;; amdgpu-corpus repo=pytorch/pytorch kind=compiled arch=gfx1100 opt=O3
	.text
	.amdgcn_target "amdgcn-amd-amdhsa--gfx1100"
	.amdhsa_code_object_version 6
	.section	.text._ZN2at6native16triu_tril_kernelIhiLb0ELi4ELb1EEEvNS_4cuda6detail10TensorInfoIT_T0_EENS4_IKS5_S6_EEllS6_,"axG",@progbits,_ZN2at6native16triu_tril_kernelIhiLb0ELi4ELb1EEEvNS_4cuda6detail10TensorInfoIT_T0_EENS4_IKS5_S6_EEllS6_,comdat
	.protected	_ZN2at6native16triu_tril_kernelIhiLb0ELi4ELb1EEEvNS_4cuda6detail10TensorInfoIT_T0_EENS4_IKS5_S6_EEllS6_ ; -- Begin function _ZN2at6native16triu_tril_kernelIhiLb0ELi4ELb1EEEvNS_4cuda6detail10TensorInfoIT_T0_EENS4_IKS5_S6_EEllS6_
	.globl	_ZN2at6native16triu_tril_kernelIhiLb0ELi4ELb1EEEvNS_4cuda6detail10TensorInfoIT_T0_EENS4_IKS5_S6_EEllS6_
	.p2align	8
	.type	_ZN2at6native16triu_tril_kernelIhiLb0ELi4ELb1EEEvNS_4cuda6detail10TensorInfoIT_T0_EENS4_IKS5_S6_EEllS6_,@function
_ZN2at6native16triu_tril_kernelIhiLb0ELi4ELb1EEEvNS_4cuda6detail10TensorInfoIT_T0_EENS4_IKS5_S6_EEllS6_: ; @_ZN2at6native16triu_tril_kernelIhiLb0ELi4ELb1EEEvNS_4cuda6detail10TensorInfoIT_T0_EENS4_IKS5_S6_EEllS6_
; %bb.0:
	s_clause 0x1
	s_load_b32 s2, s[0:1], 0x1d4
	s_load_b128 s[4:7], s[0:1], 0x1b0
	v_mov_b32_e32 v2, 0
	s_add_u32 s8, s0, 0x1c8
	s_addc_u32 s9, s1, 0
	s_delay_alu instid0(VALU_DEP_1) | instskip(SKIP_3) | instid1(VALU_DEP_1)
	v_mov_b32_e32 v1, v2
	s_waitcnt lgkmcnt(0)
	s_and_b32 s14, s2, 0xffff
	s_mov_b32 s2, exec_lo
	v_mad_u64_u32 v[3:4], null, s14, s15, v[0:1]
	s_delay_alu instid0(VALU_DEP_1) | instskip(NEXT) | instid1(VALU_DEP_1)
	v_lshlrev_b64 v[0:1], 2, v[3:4]
	v_cmpx_gt_i64_e64 s[6:7], v[0:1]
	s_cbranch_execz .LBB0_70
; %bb.1:
	s_clause 0x2
	s_load_b32 s24, s[0:1], 0x1c0
	s_load_b32 s16, s[0:1], 0x1a8
	s_load_b64 s[2:3], s[0:1], 0x0
	s_load_b32 s19, s[8:9], 0x0
	s_mov_b32 s38, 0
	s_waitcnt lgkmcnt(0)
	s_ashr_i32 s25, s24, 31
	s_ashr_i32 s17, s16, 31
	s_add_u32 s26, s0, 0xe0
	s_addc_u32 s27, s1, 0
	s_lshl_b64 s[10:11], s[16:17], 2
	v_cvt_f32_u32_e32 v3, s24
	s_add_u32 s15, s10, -8
	s_addc_u32 s18, s11, -1
	s_add_u32 s12, s26, s15
	s_addc_u32 s13, s27, s18
	v_rcp_iflag_f32_e32 v3, v3
	s_load_b32 s28, s[12:13], 0x0
	s_mul_i32 s19, s19, s14
	v_cmp_gt_i64_e64 s37, s[16:17], 2
	s_waitcnt_depctr 0xfff
	v_mul_f32_e32 v3, 0x4f7ffffe, v3
	s_delay_alu instid0(VALU_DEP_1)
	v_cvt_u32_f32_e32 v3, v3
	s_waitcnt lgkmcnt(0)
	s_ashr_i32 s29, s28, 31
	s_add_u32 s12, s10, -4
	s_addc_u32 s13, s11, -1
	s_add_u32 s30, s0, 0x6c
	s_addc_u32 s1, s1, 0
	s_add_u32 s8, s30, s12
	s_addc_u32 s9, s1, s13
	;; [unrolled: 2-line block ×3, first 2 shown]
	s_add_i32 s31, s16, -3
	s_add_u32 s12, s26, s12
	s_addc_u32 s13, s27, s13
	s_add_i32 s0, s16, 6
	s_lshl_b32 s34, s19, 2
	s_and_b32 s33, s0, 7
	s_mov_b32 s15, 0
	s_cmp_lg_u32 s33, 0
	s_cselect_b32 s35, -1, 0
	s_cmp_gt_u32 s31, 6
	s_cselect_b32 s36, -1, 0
	s_sub_i32 s0, 0, s24
	s_delay_alu instid0(SALU_CYCLE_1) | instskip(NEXT) | instid1(VALU_DEP_1)
	v_mul_lo_u32 v4, s0, v3
	v_mul_hi_u32 v4, v3, v4
	s_delay_alu instid0(VALU_DEP_1)
	v_add_nc_u32_e32 v25, v3, v4
	s_branch .LBB0_3
.LBB0_2:                                ;   in Loop: Header=BB0_3 Depth=1
	s_or_b32 exec_lo, exec_lo, s39
	v_add_co_u32 v0, vcc_lo, v0, s34
	v_add_co_ci_u32_e32 v1, vcc_lo, 0, v1, vcc_lo
	s_delay_alu instid0(VALU_DEP_1) | instskip(SKIP_1) | instid1(SALU_CYCLE_1)
	v_cmp_le_i64_e32 vcc_lo, s[6:7], v[0:1]
	s_or_b32 s38, vcc_lo, s38
	s_and_not1_b32 exec_lo, exec_lo, s38
	s_cbranch_execz .LBB0_70
.LBB0_3:                                ; =>This Loop Header: Depth=1
                                        ;     Child Loop BB0_15 Depth 2
                                        ;     Child Loop BB0_24 Depth 2
	v_or_b32_e32 v3, s25, v1
                                        ; implicit-def: $vgpr4_vgpr5
	s_mov_b32 s0, exec_lo
	s_delay_alu instid0(VALU_DEP_1)
	v_cmpx_ne_u64_e32 0, v[2:3]
	s_xor_b32 s14, exec_lo, s0
	s_cbranch_execz .LBB0_5
; %bb.4:                                ;   in Loop: Header=BB0_3 Depth=1
	s_add_u32 s18, s24, s25
	s_mov_b32 s16, s25
	s_mov_b32 s17, s25
	s_addc_u32 s19, s25, s25
	s_delay_alu instid0(SALU_CYCLE_1) | instskip(NEXT) | instid1(SALU_CYCLE_1)
	s_xor_b64 s[18:19], s[18:19], s[16:17]
	v_cvt_f32_u32_e32 v3, s18
	v_cvt_f32_u32_e32 v4, s19
	s_sub_u32 s0, 0, s18
	s_subb_u32 s20, 0, s19
	s_delay_alu instid0(VALU_DEP_1) | instskip(NEXT) | instid1(VALU_DEP_1)
	v_fmac_f32_e32 v3, 0x4f800000, v4
	v_rcp_f32_e32 v3, v3
	s_waitcnt_depctr 0xfff
	v_mul_f32_e32 v3, 0x5f7ffffc, v3
	s_delay_alu instid0(VALU_DEP_1) | instskip(NEXT) | instid1(VALU_DEP_1)
	v_mul_f32_e32 v4, 0x2f800000, v3
	v_trunc_f32_e32 v4, v4
	s_delay_alu instid0(VALU_DEP_1) | instskip(SKIP_1) | instid1(VALU_DEP_2)
	v_fmac_f32_e32 v3, 0xcf800000, v4
	v_cvt_u32_f32_e32 v4, v4
	v_cvt_u32_f32_e32 v3, v3
	s_delay_alu instid0(VALU_DEP_2) | instskip(NEXT) | instid1(VALU_DEP_2)
	v_mul_lo_u32 v5, s0, v4
	v_mul_hi_u32 v6, s0, v3
	v_mul_lo_u32 v7, s20, v3
	s_delay_alu instid0(VALU_DEP_2) | instskip(SKIP_1) | instid1(VALU_DEP_2)
	v_add_nc_u32_e32 v5, v6, v5
	v_mul_lo_u32 v6, s0, v3
	v_add_nc_u32_e32 v5, v5, v7
	s_delay_alu instid0(VALU_DEP_2) | instskip(NEXT) | instid1(VALU_DEP_2)
	v_mul_hi_u32 v7, v3, v6
	v_mul_lo_u32 v8, v3, v5
	v_mul_hi_u32 v9, v3, v5
	v_mul_hi_u32 v10, v4, v6
	v_mul_lo_u32 v6, v4, v6
	v_mul_hi_u32 v11, v4, v5
	v_mul_lo_u32 v5, v4, v5
	v_add_co_u32 v7, vcc_lo, v7, v8
	v_add_co_ci_u32_e32 v8, vcc_lo, 0, v9, vcc_lo
	s_delay_alu instid0(VALU_DEP_2) | instskip(NEXT) | instid1(VALU_DEP_2)
	v_add_co_u32 v6, vcc_lo, v7, v6
	v_add_co_ci_u32_e32 v6, vcc_lo, v8, v10, vcc_lo
	v_add_co_ci_u32_e32 v7, vcc_lo, 0, v11, vcc_lo
	v_ashrrev_i32_e32 v10, 31, v1
	s_delay_alu instid0(VALU_DEP_3) | instskip(NEXT) | instid1(VALU_DEP_3)
	v_add_co_u32 v5, vcc_lo, v6, v5
	v_add_co_ci_u32_e32 v6, vcc_lo, 0, v7, vcc_lo
	s_delay_alu instid0(VALU_DEP_2) | instskip(NEXT) | instid1(VALU_DEP_2)
	v_add_co_u32 v3, vcc_lo, v3, v5
	v_add_co_ci_u32_e32 v4, vcc_lo, v4, v6, vcc_lo
	s_delay_alu instid0(VALU_DEP_2) | instskip(SKIP_1) | instid1(VALU_DEP_3)
	v_mul_hi_u32 v5, s0, v3
	v_mul_lo_u32 v7, s20, v3
	v_mul_lo_u32 v6, s0, v4
	s_delay_alu instid0(VALU_DEP_1) | instskip(SKIP_1) | instid1(VALU_DEP_2)
	v_add_nc_u32_e32 v5, v5, v6
	v_mul_lo_u32 v6, s0, v3
	v_add_nc_u32_e32 v5, v5, v7
	s_delay_alu instid0(VALU_DEP_2) | instskip(NEXT) | instid1(VALU_DEP_2)
	v_mul_hi_u32 v7, v3, v6
	v_mul_lo_u32 v8, v3, v5
	v_mul_hi_u32 v9, v3, v5
	v_mul_hi_u32 v11, v4, v6
	v_mul_lo_u32 v6, v4, v6
	v_mul_hi_u32 v12, v4, v5
	v_mul_lo_u32 v5, v4, v5
	v_add_co_u32 v7, vcc_lo, v7, v8
	v_add_co_ci_u32_e32 v8, vcc_lo, 0, v9, vcc_lo
	s_delay_alu instid0(VALU_DEP_2) | instskip(NEXT) | instid1(VALU_DEP_2)
	v_add_co_u32 v6, vcc_lo, v7, v6
	v_add_co_ci_u32_e32 v6, vcc_lo, v8, v11, vcc_lo
	v_add_co_ci_u32_e32 v7, vcc_lo, 0, v12, vcc_lo
	v_add_co_u32 v8, vcc_lo, v0, v10
	v_add_co_ci_u32_e32 v9, vcc_lo, v1, v10, vcc_lo
	s_delay_alu instid0(VALU_DEP_4) | instskip(NEXT) | instid1(VALU_DEP_4)
	v_add_co_u32 v5, vcc_lo, v6, v5
	v_add_co_ci_u32_e32 v6, vcc_lo, 0, v7, vcc_lo
	s_delay_alu instid0(VALU_DEP_4) | instskip(NEXT) | instid1(VALU_DEP_3)
	v_xor_b32_e32 v11, v8, v10
	v_add_co_u32 v7, vcc_lo, v3, v5
	s_delay_alu instid0(VALU_DEP_3) | instskip(SKIP_1) | instid1(VALU_DEP_3)
	v_add_co_ci_u32_e32 v12, vcc_lo, v4, v6, vcc_lo
	v_xor_b32_e32 v9, v9, v10
	v_mul_hi_u32 v13, v11, v7
	s_delay_alu instid0(VALU_DEP_3) | instskip(NEXT) | instid1(VALU_DEP_3)
	v_mad_u64_u32 v[3:4], null, v11, v12, 0
	v_mad_u64_u32 v[5:6], null, v9, v7, 0
	;; [unrolled: 1-line block ×3, first 2 shown]
	s_delay_alu instid0(VALU_DEP_3) | instskip(NEXT) | instid1(VALU_DEP_4)
	v_add_co_u32 v3, vcc_lo, v13, v3
	v_add_co_ci_u32_e32 v4, vcc_lo, 0, v4, vcc_lo
	s_delay_alu instid0(VALU_DEP_2) | instskip(NEXT) | instid1(VALU_DEP_2)
	v_add_co_u32 v3, vcc_lo, v3, v5
	v_add_co_ci_u32_e32 v3, vcc_lo, v4, v6, vcc_lo
	v_add_co_ci_u32_e32 v4, vcc_lo, 0, v8, vcc_lo
	s_delay_alu instid0(VALU_DEP_2) | instskip(NEXT) | instid1(VALU_DEP_2)
	v_add_co_u32 v5, vcc_lo, v3, v7
	v_add_co_ci_u32_e32 v6, vcc_lo, 0, v4, vcc_lo
	s_delay_alu instid0(VALU_DEP_2) | instskip(SKIP_1) | instid1(VALU_DEP_3)
	v_mul_lo_u32 v7, s19, v5
	v_mad_u64_u32 v[3:4], null, s18, v5, 0
	v_mul_lo_u32 v8, s18, v6
	s_delay_alu instid0(VALU_DEP_2) | instskip(NEXT) | instid1(VALU_DEP_2)
	v_sub_co_u32 v3, vcc_lo, v11, v3
	v_add3_u32 v4, v4, v8, v7
	s_delay_alu instid0(VALU_DEP_1) | instskip(NEXT) | instid1(VALU_DEP_1)
	v_sub_nc_u32_e32 v7, v9, v4
	v_subrev_co_ci_u32_e64 v7, s0, s19, v7, vcc_lo
	v_add_co_u32 v8, s0, v5, 2
	s_delay_alu instid0(VALU_DEP_1) | instskip(SKIP_3) | instid1(VALU_DEP_3)
	v_add_co_ci_u32_e64 v11, s0, 0, v6, s0
	v_sub_co_u32 v12, s0, v3, s18
	v_sub_co_ci_u32_e32 v4, vcc_lo, v9, v4, vcc_lo
	v_subrev_co_ci_u32_e64 v7, s0, 0, v7, s0
	v_cmp_le_u32_e32 vcc_lo, s18, v12
	s_delay_alu instid0(VALU_DEP_3) | instskip(SKIP_1) | instid1(VALU_DEP_4)
	v_cmp_eq_u32_e64 s0, s19, v4
	v_cndmask_b32_e64 v9, 0, -1, vcc_lo
	v_cmp_le_u32_e32 vcc_lo, s19, v7
	v_cndmask_b32_e64 v12, 0, -1, vcc_lo
	v_cmp_le_u32_e32 vcc_lo, s18, v3
	;; [unrolled: 2-line block ×3, first 2 shown]
	v_cndmask_b32_e64 v13, 0, -1, vcc_lo
	v_cmp_eq_u32_e32 vcc_lo, s19, v7
	s_delay_alu instid0(VALU_DEP_2) | instskip(SKIP_3) | instid1(VALU_DEP_3)
	v_cndmask_b32_e64 v3, v13, v3, s0
	v_cndmask_b32_e32 v7, v12, v9, vcc_lo
	v_add_co_u32 v9, vcc_lo, v5, 1
	v_add_co_ci_u32_e32 v12, vcc_lo, 0, v6, vcc_lo
	v_cmp_ne_u32_e32 vcc_lo, 0, v7
	s_delay_alu instid0(VALU_DEP_2) | instskip(SKIP_2) | instid1(VALU_DEP_3)
	v_dual_cndmask_b32 v4, v12, v11 :: v_dual_cndmask_b32 v7, v9, v8
	v_cmp_ne_u32_e32 vcc_lo, 0, v3
	v_xor_b32_e32 v3, s16, v10
	v_dual_cndmask_b32 v5, v5, v7 :: v_dual_cndmask_b32 v4, v6, v4
	v_xor_b32_e32 v6, s17, v10
	s_delay_alu instid0(VALU_DEP_2) | instskip(NEXT) | instid1(VALU_DEP_2)
	v_xor_b32_e32 v5, v5, v3
	v_xor_b32_e32 v7, v4, v6
	s_delay_alu instid0(VALU_DEP_2) | instskip(NEXT) | instid1(VALU_DEP_2)
	v_sub_co_u32 v4, vcc_lo, v5, v3
	v_sub_co_ci_u32_e32 v5, vcc_lo, v7, v6, vcc_lo
.LBB0_5:                                ;   in Loop: Header=BB0_3 Depth=1
	s_and_not1_saveexec_b32 s0, s14
; %bb.6:                                ;   in Loop: Header=BB0_3 Depth=1
	v_mul_hi_u32 v3, v0, v25
	s_delay_alu instid0(VALU_DEP_1) | instskip(NEXT) | instid1(VALU_DEP_1)
	v_mul_lo_u32 v4, v3, s24
	v_sub_nc_u32_e32 v4, v0, v4
	s_delay_alu instid0(VALU_DEP_1) | instskip(SKIP_1) | instid1(VALU_DEP_2)
	v_subrev_nc_u32_e32 v6, s24, v4
	v_cmp_le_u32_e32 vcc_lo, s24, v4
	v_dual_cndmask_b32 v4, v4, v6 :: v_dual_add_nc_u32 v5, 1, v3
	s_delay_alu instid0(VALU_DEP_1) | instskip(NEXT) | instid1(VALU_DEP_2)
	v_cndmask_b32_e32 v3, v3, v5, vcc_lo
	v_cmp_le_u32_e32 vcc_lo, s24, v4
	s_delay_alu instid0(VALU_DEP_2) | instskip(NEXT) | instid1(VALU_DEP_1)
	v_add_nc_u32_e32 v5, 1, v3
	v_dual_cndmask_b32 v4, v3, v5 :: v_dual_mov_b32 v5, v2
; %bb.7:                                ;   in Loop: Header=BB0_3 Depth=1
	s_or_b32 exec_lo, exec_lo, s0
	s_delay_alu instid0(VALU_DEP_1) | instskip(SKIP_1) | instid1(VALU_DEP_1)
	v_or_b32_e32 v3, s29, v5
                                        ; implicit-def: $vgpr7_vgpr8
	s_mov_b32 s0, exec_lo
	v_cmpx_ne_u64_e32 0, v[2:3]
	s_xor_b32 s14, exec_lo, s0
	s_cbranch_execz .LBB0_9
; %bb.8:                                ;   in Loop: Header=BB0_3 Depth=1
	s_add_u32 s18, s28, s29
	s_mov_b32 s16, s29
	s_mov_b32 s17, s29
	s_addc_u32 s19, s29, s29
	s_delay_alu instid0(SALU_CYCLE_1) | instskip(NEXT) | instid1(SALU_CYCLE_1)
	s_xor_b64 s[18:19], s[18:19], s[16:17]
	v_cvt_f32_u32_e32 v3, s18
	v_cvt_f32_u32_e32 v6, s19
	s_sub_u32 s0, 0, s18
	s_subb_u32 s20, 0, s19
	s_delay_alu instid0(VALU_DEP_1) | instskip(NEXT) | instid1(VALU_DEP_1)
	v_fmac_f32_e32 v3, 0x4f800000, v6
	v_rcp_f32_e32 v3, v3
	s_waitcnt_depctr 0xfff
	v_mul_f32_e32 v3, 0x5f7ffffc, v3
	s_delay_alu instid0(VALU_DEP_1) | instskip(NEXT) | instid1(VALU_DEP_1)
	v_mul_f32_e32 v6, 0x2f800000, v3
	v_trunc_f32_e32 v6, v6
	s_delay_alu instid0(VALU_DEP_1) | instskip(SKIP_1) | instid1(VALU_DEP_2)
	v_fmac_f32_e32 v3, 0xcf800000, v6
	v_cvt_u32_f32_e32 v6, v6
	v_cvt_u32_f32_e32 v3, v3
	s_delay_alu instid0(VALU_DEP_2) | instskip(NEXT) | instid1(VALU_DEP_2)
	v_mul_lo_u32 v7, s0, v6
	v_mul_hi_u32 v8, s0, v3
	v_mul_lo_u32 v9, s20, v3
	s_delay_alu instid0(VALU_DEP_2) | instskip(SKIP_1) | instid1(VALU_DEP_2)
	v_add_nc_u32_e32 v7, v8, v7
	v_mul_lo_u32 v8, s0, v3
	v_add_nc_u32_e32 v7, v7, v9
	s_delay_alu instid0(VALU_DEP_2) | instskip(NEXT) | instid1(VALU_DEP_2)
	v_mul_hi_u32 v9, v3, v8
	v_mul_lo_u32 v10, v3, v7
	v_mul_hi_u32 v11, v3, v7
	v_mul_hi_u32 v12, v6, v8
	v_mul_lo_u32 v8, v6, v8
	v_mul_hi_u32 v13, v6, v7
	v_mul_lo_u32 v7, v6, v7
	v_add_co_u32 v9, vcc_lo, v9, v10
	v_add_co_ci_u32_e32 v10, vcc_lo, 0, v11, vcc_lo
	s_delay_alu instid0(VALU_DEP_2) | instskip(NEXT) | instid1(VALU_DEP_2)
	v_add_co_u32 v8, vcc_lo, v9, v8
	v_add_co_ci_u32_e32 v8, vcc_lo, v10, v12, vcc_lo
	v_add_co_ci_u32_e32 v9, vcc_lo, 0, v13, vcc_lo
	v_ashrrev_i32_e32 v12, 31, v5
	s_delay_alu instid0(VALU_DEP_3) | instskip(NEXT) | instid1(VALU_DEP_3)
	v_add_co_u32 v7, vcc_lo, v8, v7
	v_add_co_ci_u32_e32 v8, vcc_lo, 0, v9, vcc_lo
	s_delay_alu instid0(VALU_DEP_2) | instskip(NEXT) | instid1(VALU_DEP_2)
	v_add_co_u32 v3, vcc_lo, v3, v7
	v_add_co_ci_u32_e32 v6, vcc_lo, v6, v8, vcc_lo
	s_delay_alu instid0(VALU_DEP_2) | instskip(SKIP_1) | instid1(VALU_DEP_3)
	v_mul_hi_u32 v7, s0, v3
	v_mul_lo_u32 v9, s20, v3
	v_mul_lo_u32 v8, s0, v6
	s_delay_alu instid0(VALU_DEP_1) | instskip(SKIP_1) | instid1(VALU_DEP_2)
	v_add_nc_u32_e32 v7, v7, v8
	v_mul_lo_u32 v8, s0, v3
	v_add_nc_u32_e32 v7, v7, v9
	s_delay_alu instid0(VALU_DEP_2) | instskip(NEXT) | instid1(VALU_DEP_2)
	v_mul_hi_u32 v9, v3, v8
	v_mul_lo_u32 v10, v3, v7
	v_mul_hi_u32 v11, v3, v7
	v_mul_hi_u32 v13, v6, v8
	v_mul_lo_u32 v8, v6, v8
	v_mul_hi_u32 v14, v6, v7
	v_mul_lo_u32 v7, v6, v7
	v_add_co_u32 v9, vcc_lo, v9, v10
	v_add_co_ci_u32_e32 v10, vcc_lo, 0, v11, vcc_lo
	s_delay_alu instid0(VALU_DEP_2) | instskip(NEXT) | instid1(VALU_DEP_2)
	v_add_co_u32 v8, vcc_lo, v9, v8
	v_add_co_ci_u32_e32 v8, vcc_lo, v10, v13, vcc_lo
	v_add_co_ci_u32_e32 v9, vcc_lo, 0, v14, vcc_lo
	v_add_co_u32 v10, vcc_lo, v4, v12
	v_add_co_ci_u32_e32 v5, vcc_lo, v5, v12, vcc_lo
	s_delay_alu instid0(VALU_DEP_4) | instskip(NEXT) | instid1(VALU_DEP_4)
	v_add_co_u32 v7, vcc_lo, v8, v7
	v_add_co_ci_u32_e32 v8, vcc_lo, 0, v9, vcc_lo
	s_delay_alu instid0(VALU_DEP_4) | instskip(NEXT) | instid1(VALU_DEP_3)
	v_xor_b32_e32 v11, v10, v12
	v_add_co_u32 v3, vcc_lo, v3, v7
	s_delay_alu instid0(VALU_DEP_3) | instskip(SKIP_1) | instid1(VALU_DEP_3)
	v_add_co_ci_u32_e32 v13, vcc_lo, v6, v8, vcc_lo
	v_xor_b32_e32 v14, v5, v12
	v_mul_hi_u32 v15, v11, v3
	s_delay_alu instid0(VALU_DEP_3) | instskip(NEXT) | instid1(VALU_DEP_3)
	v_mad_u64_u32 v[5:6], null, v11, v13, 0
	v_mad_u64_u32 v[7:8], null, v14, v3, 0
	;; [unrolled: 1-line block ×3, first 2 shown]
	s_delay_alu instid0(VALU_DEP_3) | instskip(NEXT) | instid1(VALU_DEP_4)
	v_add_co_u32 v3, vcc_lo, v15, v5
	v_add_co_ci_u32_e32 v5, vcc_lo, 0, v6, vcc_lo
	s_delay_alu instid0(VALU_DEP_2) | instskip(NEXT) | instid1(VALU_DEP_2)
	v_add_co_u32 v3, vcc_lo, v3, v7
	v_add_co_ci_u32_e32 v3, vcc_lo, v5, v8, vcc_lo
	v_add_co_ci_u32_e32 v5, vcc_lo, 0, v10, vcc_lo
	s_delay_alu instid0(VALU_DEP_2) | instskip(NEXT) | instid1(VALU_DEP_2)
	v_add_co_u32 v3, vcc_lo, v3, v9
	v_add_co_ci_u32_e32 v7, vcc_lo, 0, v5, vcc_lo
	s_delay_alu instid0(VALU_DEP_2) | instskip(SKIP_1) | instid1(VALU_DEP_3)
	v_mul_lo_u32 v8, s19, v3
	v_mad_u64_u32 v[5:6], null, s18, v3, 0
	v_mul_lo_u32 v9, s18, v7
	s_delay_alu instid0(VALU_DEP_2) | instskip(NEXT) | instid1(VALU_DEP_2)
	v_sub_co_u32 v5, vcc_lo, v11, v5
	v_add3_u32 v6, v6, v9, v8
	s_delay_alu instid0(VALU_DEP_1) | instskip(NEXT) | instid1(VALU_DEP_1)
	v_sub_nc_u32_e32 v8, v14, v6
	v_subrev_co_ci_u32_e64 v8, s0, s19, v8, vcc_lo
	v_add_co_u32 v9, s0, v3, 2
	s_delay_alu instid0(VALU_DEP_1) | instskip(SKIP_3) | instid1(VALU_DEP_3)
	v_add_co_ci_u32_e64 v10, s0, 0, v7, s0
	v_sub_co_u32 v11, s0, v5, s18
	v_sub_co_ci_u32_e32 v6, vcc_lo, v14, v6, vcc_lo
	v_subrev_co_ci_u32_e64 v8, s0, 0, v8, s0
	v_cmp_le_u32_e32 vcc_lo, s18, v11
	s_delay_alu instid0(VALU_DEP_3) | instskip(SKIP_1) | instid1(VALU_DEP_4)
	v_cmp_eq_u32_e64 s0, s19, v6
	v_cndmask_b32_e64 v11, 0, -1, vcc_lo
	v_cmp_le_u32_e32 vcc_lo, s19, v8
	v_cndmask_b32_e64 v13, 0, -1, vcc_lo
	v_cmp_le_u32_e32 vcc_lo, s18, v5
	;; [unrolled: 2-line block ×3, first 2 shown]
	v_cndmask_b32_e64 v14, 0, -1, vcc_lo
	v_cmp_eq_u32_e32 vcc_lo, s19, v8
	s_delay_alu instid0(VALU_DEP_2) | instskip(SKIP_3) | instid1(VALU_DEP_3)
	v_cndmask_b32_e64 v5, v14, v5, s0
	v_cndmask_b32_e32 v8, v13, v11, vcc_lo
	v_add_co_u32 v11, vcc_lo, v3, 1
	v_add_co_ci_u32_e32 v13, vcc_lo, 0, v7, vcc_lo
	v_cmp_ne_u32_e32 vcc_lo, 0, v8
	s_delay_alu instid0(VALU_DEP_3) | instskip(NEXT) | instid1(VALU_DEP_3)
	v_cndmask_b32_e32 v8, v11, v9, vcc_lo
	v_cndmask_b32_e32 v6, v13, v10, vcc_lo
	v_cmp_ne_u32_e32 vcc_lo, 0, v5
	v_xor_b32_e32 v5, s16, v12
	s_delay_alu instid0(VALU_DEP_4) | instskip(NEXT) | instid1(VALU_DEP_4)
	v_cndmask_b32_e32 v3, v3, v8, vcc_lo
	v_cndmask_b32_e32 v6, v7, v6, vcc_lo
	v_xor_b32_e32 v8, s17, v12
	s_delay_alu instid0(VALU_DEP_3) | instskip(NEXT) | instid1(VALU_DEP_2)
	v_xor_b32_e32 v3, v3, v5
	v_xor_b32_e32 v6, v6, v8
	s_delay_alu instid0(VALU_DEP_2) | instskip(NEXT) | instid1(VALU_DEP_2)
	v_sub_co_u32 v7, vcc_lo, v3, v5
	v_sub_co_ci_u32_e32 v8, vcc_lo, v6, v8, vcc_lo
.LBB0_9:                                ;   in Loop: Header=BB0_3 Depth=1
	s_and_not1_saveexec_b32 s0, s14
	s_cbranch_execz .LBB0_11
; %bb.10:                               ;   in Loop: Header=BB0_3 Depth=1
	v_cvt_f32_u32_e32 v3, s28
	s_sub_i32 s14, 0, s28
	v_mov_b32_e32 v8, v2
	s_delay_alu instid0(VALU_DEP_2) | instskip(SKIP_2) | instid1(VALU_DEP_1)
	v_rcp_iflag_f32_e32 v3, v3
	s_waitcnt_depctr 0xfff
	v_mul_f32_e32 v3, 0x4f7ffffe, v3
	v_cvt_u32_f32_e32 v3, v3
	s_delay_alu instid0(VALU_DEP_1) | instskip(NEXT) | instid1(VALU_DEP_1)
	v_mul_lo_u32 v5, s14, v3
	v_mul_hi_u32 v5, v3, v5
	s_delay_alu instid0(VALU_DEP_1) | instskip(NEXT) | instid1(VALU_DEP_1)
	v_add_nc_u32_e32 v3, v3, v5
	v_mul_hi_u32 v3, v4, v3
	s_delay_alu instid0(VALU_DEP_1) | instskip(SKIP_1) | instid1(VALU_DEP_2)
	v_mul_lo_u32 v5, v3, s28
	v_add_nc_u32_e32 v6, 1, v3
	v_sub_nc_u32_e32 v5, v4, v5
	s_delay_alu instid0(VALU_DEP_1) | instskip(SKIP_1) | instid1(VALU_DEP_2)
	v_subrev_nc_u32_e32 v7, s28, v5
	v_cmp_le_u32_e32 vcc_lo, s28, v5
	v_cndmask_b32_e32 v5, v5, v7, vcc_lo
	v_cndmask_b32_e32 v3, v3, v6, vcc_lo
	s_delay_alu instid0(VALU_DEP_2) | instskip(NEXT) | instid1(VALU_DEP_2)
	v_cmp_le_u32_e32 vcc_lo, s28, v5
	v_add_nc_u32_e32 v6, 1, v3
	s_delay_alu instid0(VALU_DEP_1)
	v_cndmask_b32_e32 v7, v3, v6, vcc_lo
.LBB0_11:                               ;   in Loop: Header=BB0_3 Depth=1
	s_or_b32 exec_lo, exec_lo, s0
	v_mad_u64_u32 v[5:6], null, v4, s24, 0
	s_delay_alu instid0(VALU_DEP_2) | instskip(SKIP_1) | instid1(VALU_DEP_2)
	v_mad_u64_u32 v[9:10], null, v7, s28, 0
	s_mov_b32 s39, exec_lo
	v_sub_co_u32 v27, null, v0, v5
	s_delay_alu instid0(VALU_DEP_2) | instskip(NEXT) | instid1(VALU_DEP_1)
	v_sub_co_u32 v26, null, v4, v9
	v_sub_nc_u32_e32 v6, v27, v26
	s_delay_alu instid0(VALU_DEP_1) | instskip(NEXT) | instid1(VALU_DEP_1)
	v_add_nc_u32_e32 v3, 4, v6
	v_ashrrev_i32_e32 v4, 31, v3
	s_delay_alu instid0(VALU_DEP_1)
	v_cmpx_lt_i64_e64 s[4:5], v[3:4]
	s_cbranch_execz .LBB0_2
; %bb.12:                               ;   in Loop: Header=BB0_3 Depth=1
	s_clause 0x1
	s_load_b32 s40, s[8:9], 0x0
	s_load_b32 s0, s[10:11], 0x0
	s_and_not1_b32 vcc_lo, exec_lo, s37
	s_waitcnt lgkmcnt(0)
	v_mul_lo_u32 v3, s40, v27
	s_delay_alu instid0(VALU_DEP_1)
	v_mad_u64_u32 v[4:5], null, s0, v26, v[3:4]
	s_cbranch_vccnz .LBB0_58
; %bb.13:                               ;   in Loop: Header=BB0_3 Depth=1
	s_and_not1_b32 vcc_lo, exec_lo, s35
	s_cbranch_vccnz .LBB0_21
; %bb.14:                               ;   in Loop: Header=BB0_3 Depth=1
	v_dual_mov_b32 v10, v8 :: v_dual_mov_b32 v9, v7
	s_mov_b32 s22, s33
	s_mov_b32 s14, s31
.LBB0_15:                               ;   Parent Loop BB0_3 Depth=1
                                        ; =>  This Inner Loop Header: Depth=2
	s_delay_alu instid0(SALU_CYCLE_1) | instskip(NEXT) | instid1(SALU_CYCLE_1)
	s_lshl_b64 s[16:17], s[14:15], 2
                                        ; implicit-def: $vgpr7_vgpr8
	s_add_u32 s18, s26, s16
	s_addc_u32 s19, s27, s17
	s_load_b32 s23, s[18:19], 0x0
	s_mov_b32 s18, exec_lo
	s_waitcnt lgkmcnt(0)
	s_ashr_i32 s0, s23, 31
	s_delay_alu instid0(SALU_CYCLE_1) | instskip(NEXT) | instid1(VALU_DEP_1)
	v_or_b32_e32 v3, s0, v10
	v_cmpx_ne_u64_e32 0, v[2:3]
	s_xor_b32 s41, exec_lo, s18
	s_cbranch_execz .LBB0_17
; %bb.16:                               ;   in Loop: Header=BB0_15 Depth=2
	s_add_u32 s20, s23, s0
	s_mov_b32 s18, s0
	s_mov_b32 s19, s0
	s_addc_u32 s21, s0, s0
	s_delay_alu instid0(SALU_CYCLE_1) | instskip(NEXT) | instid1(SALU_CYCLE_1)
	s_xor_b64 s[20:21], s[20:21], s[18:19]
	v_cvt_f32_u32_e32 v3, s20
	v_cvt_f32_u32_e32 v5, s21
	s_sub_u32 s0, 0, s20
	s_subb_u32 s42, 0, s21
	s_delay_alu instid0(VALU_DEP_1) | instskip(NEXT) | instid1(VALU_DEP_1)
	v_fmac_f32_e32 v3, 0x4f800000, v5
	v_rcp_f32_e32 v3, v3
	s_waitcnt_depctr 0xfff
	v_mul_f32_e32 v3, 0x5f7ffffc, v3
	s_delay_alu instid0(VALU_DEP_1) | instskip(NEXT) | instid1(VALU_DEP_1)
	v_mul_f32_e32 v5, 0x2f800000, v3
	v_trunc_f32_e32 v5, v5
	s_delay_alu instid0(VALU_DEP_1) | instskip(SKIP_1) | instid1(VALU_DEP_2)
	v_fmac_f32_e32 v3, 0xcf800000, v5
	v_cvt_u32_f32_e32 v5, v5
	v_cvt_u32_f32_e32 v3, v3
	s_delay_alu instid0(VALU_DEP_2) | instskip(NEXT) | instid1(VALU_DEP_2)
	v_mul_lo_u32 v7, s0, v5
	v_mul_hi_u32 v8, s0, v3
	v_mul_lo_u32 v11, s42, v3
	s_delay_alu instid0(VALU_DEP_2) | instskip(SKIP_1) | instid1(VALU_DEP_2)
	v_add_nc_u32_e32 v7, v8, v7
	v_mul_lo_u32 v8, s0, v3
	v_add_nc_u32_e32 v7, v7, v11
	s_delay_alu instid0(VALU_DEP_2) | instskip(NEXT) | instid1(VALU_DEP_2)
	v_mul_hi_u32 v11, v3, v8
	v_mul_lo_u32 v12, v3, v7
	v_mul_hi_u32 v13, v3, v7
	v_mul_hi_u32 v14, v5, v8
	v_mul_lo_u32 v8, v5, v8
	v_mul_hi_u32 v15, v5, v7
	v_mul_lo_u32 v7, v5, v7
	v_add_co_u32 v11, vcc_lo, v11, v12
	v_add_co_ci_u32_e32 v12, vcc_lo, 0, v13, vcc_lo
	s_delay_alu instid0(VALU_DEP_2) | instskip(NEXT) | instid1(VALU_DEP_2)
	v_add_co_u32 v8, vcc_lo, v11, v8
	v_add_co_ci_u32_e32 v8, vcc_lo, v12, v14, vcc_lo
	v_add_co_ci_u32_e32 v11, vcc_lo, 0, v15, vcc_lo
	v_ashrrev_i32_e32 v14, 31, v10
	s_delay_alu instid0(VALU_DEP_3) | instskip(NEXT) | instid1(VALU_DEP_3)
	v_add_co_u32 v7, vcc_lo, v8, v7
	v_add_co_ci_u32_e32 v8, vcc_lo, 0, v11, vcc_lo
	s_delay_alu instid0(VALU_DEP_2) | instskip(NEXT) | instid1(VALU_DEP_2)
	v_add_co_u32 v3, vcc_lo, v3, v7
	v_add_co_ci_u32_e32 v5, vcc_lo, v5, v8, vcc_lo
	s_delay_alu instid0(VALU_DEP_2) | instskip(SKIP_1) | instid1(VALU_DEP_3)
	v_mul_hi_u32 v7, s0, v3
	v_mul_lo_u32 v11, s42, v3
	v_mul_lo_u32 v8, s0, v5
	s_delay_alu instid0(VALU_DEP_1) | instskip(SKIP_1) | instid1(VALU_DEP_2)
	v_add_nc_u32_e32 v7, v7, v8
	v_mul_lo_u32 v8, s0, v3
	v_add_nc_u32_e32 v7, v7, v11
	s_delay_alu instid0(VALU_DEP_2) | instskip(NEXT) | instid1(VALU_DEP_2)
	v_mul_hi_u32 v11, v3, v8
	v_mul_lo_u32 v12, v3, v7
	v_mul_hi_u32 v13, v3, v7
	v_mul_hi_u32 v15, v5, v8
	v_mul_lo_u32 v8, v5, v8
	v_mul_hi_u32 v16, v5, v7
	v_mul_lo_u32 v7, v5, v7
	v_add_co_u32 v11, vcc_lo, v11, v12
	v_add_co_ci_u32_e32 v12, vcc_lo, 0, v13, vcc_lo
	s_delay_alu instid0(VALU_DEP_2) | instskip(NEXT) | instid1(VALU_DEP_2)
	v_add_co_u32 v8, vcc_lo, v11, v8
	v_add_co_ci_u32_e32 v8, vcc_lo, v12, v15, vcc_lo
	v_add_co_ci_u32_e32 v11, vcc_lo, 0, v16, vcc_lo
	v_add_co_u32 v12, vcc_lo, v9, v14
	v_add_co_ci_u32_e32 v10, vcc_lo, v10, v14, vcc_lo
	s_delay_alu instid0(VALU_DEP_4) | instskip(NEXT) | instid1(VALU_DEP_4)
	v_add_co_u32 v7, vcc_lo, v8, v7
	v_add_co_ci_u32_e32 v8, vcc_lo, 0, v11, vcc_lo
	s_delay_alu instid0(VALU_DEP_4) | instskip(NEXT) | instid1(VALU_DEP_3)
	v_xor_b32_e32 v15, v12, v14
	v_add_co_u32 v3, vcc_lo, v3, v7
	s_delay_alu instid0(VALU_DEP_3) | instskip(SKIP_1) | instid1(VALU_DEP_3)
	v_add_co_ci_u32_e32 v5, vcc_lo, v5, v8, vcc_lo
	v_xor_b32_e32 v16, v10, v14
	v_mul_hi_u32 v17, v15, v3
	s_delay_alu instid0(VALU_DEP_3) | instskip(NEXT) | instid1(VALU_DEP_3)
	v_mad_u64_u32 v[7:8], null, v15, v5, 0
	v_mad_u64_u32 v[10:11], null, v16, v3, 0
	;; [unrolled: 1-line block ×3, first 2 shown]
	s_delay_alu instid0(VALU_DEP_3) | instskip(NEXT) | instid1(VALU_DEP_4)
	v_add_co_u32 v3, vcc_lo, v17, v7
	v_add_co_ci_u32_e32 v5, vcc_lo, 0, v8, vcc_lo
	s_delay_alu instid0(VALU_DEP_2) | instskip(NEXT) | instid1(VALU_DEP_2)
	v_add_co_u32 v3, vcc_lo, v3, v10
	v_add_co_ci_u32_e32 v3, vcc_lo, v5, v11, vcc_lo
	v_add_co_ci_u32_e32 v5, vcc_lo, 0, v13, vcc_lo
	s_delay_alu instid0(VALU_DEP_2) | instskip(NEXT) | instid1(VALU_DEP_2)
	v_add_co_u32 v3, vcc_lo, v3, v12
	v_add_co_ci_u32_e32 v5, vcc_lo, 0, v5, vcc_lo
	s_delay_alu instid0(VALU_DEP_2) | instskip(SKIP_1) | instid1(VALU_DEP_3)
	v_mul_lo_u32 v10, s21, v3
	v_mad_u64_u32 v[7:8], null, s20, v3, 0
	v_mul_lo_u32 v11, s20, v5
	s_delay_alu instid0(VALU_DEP_2) | instskip(NEXT) | instid1(VALU_DEP_2)
	v_sub_co_u32 v7, vcc_lo, v15, v7
	v_add3_u32 v8, v8, v11, v10
	s_delay_alu instid0(VALU_DEP_1) | instskip(NEXT) | instid1(VALU_DEP_1)
	v_sub_nc_u32_e32 v10, v16, v8
	v_subrev_co_ci_u32_e64 v10, s0, s21, v10, vcc_lo
	v_add_co_u32 v11, s0, v3, 2
	s_delay_alu instid0(VALU_DEP_1) | instskip(SKIP_3) | instid1(VALU_DEP_3)
	v_add_co_ci_u32_e64 v12, s0, 0, v5, s0
	v_sub_co_u32 v13, s0, v7, s20
	v_sub_co_ci_u32_e32 v8, vcc_lo, v16, v8, vcc_lo
	v_subrev_co_ci_u32_e64 v10, s0, 0, v10, s0
	v_cmp_le_u32_e32 vcc_lo, s20, v13
	s_delay_alu instid0(VALU_DEP_3) | instskip(SKIP_1) | instid1(VALU_DEP_4)
	v_cmp_eq_u32_e64 s0, s21, v8
	v_cndmask_b32_e64 v13, 0, -1, vcc_lo
	v_cmp_le_u32_e32 vcc_lo, s21, v10
	v_cndmask_b32_e64 v15, 0, -1, vcc_lo
	v_cmp_le_u32_e32 vcc_lo, s20, v7
	v_cndmask_b32_e64 v7, 0, -1, vcc_lo
	v_cmp_le_u32_e32 vcc_lo, s21, v8
	v_cndmask_b32_e64 v16, 0, -1, vcc_lo
	v_cmp_eq_u32_e32 vcc_lo, s21, v10
	s_delay_alu instid0(VALU_DEP_2) | instskip(SKIP_3) | instid1(VALU_DEP_3)
	v_cndmask_b32_e64 v7, v16, v7, s0
	v_cndmask_b32_e32 v10, v15, v13, vcc_lo
	v_add_co_u32 v13, vcc_lo, v3, 1
	v_add_co_ci_u32_e32 v15, vcc_lo, 0, v5, vcc_lo
	v_cmp_ne_u32_e32 vcc_lo, 0, v10
	s_delay_alu instid0(VALU_DEP_3) | instskip(NEXT) | instid1(VALU_DEP_3)
	v_cndmask_b32_e32 v10, v13, v11, vcc_lo
	v_cndmask_b32_e32 v8, v15, v12, vcc_lo
	v_cmp_ne_u32_e32 vcc_lo, 0, v7
	v_xor_b32_e32 v7, s18, v14
	s_delay_alu instid0(VALU_DEP_4) | instskip(NEXT) | instid1(VALU_DEP_4)
	v_cndmask_b32_e32 v3, v3, v10, vcc_lo
	v_cndmask_b32_e32 v5, v5, v8, vcc_lo
	v_xor_b32_e32 v8, s19, v14
	s_delay_alu instid0(VALU_DEP_3) | instskip(NEXT) | instid1(VALU_DEP_2)
	v_xor_b32_e32 v3, v3, v7
	v_xor_b32_e32 v5, v5, v8
	s_delay_alu instid0(VALU_DEP_2) | instskip(NEXT) | instid1(VALU_DEP_2)
	v_sub_co_u32 v7, vcc_lo, v3, v7
	v_sub_co_ci_u32_e32 v8, vcc_lo, v5, v8, vcc_lo
.LBB0_17:                               ;   in Loop: Header=BB0_15 Depth=2
	s_and_not1_saveexec_b32 s0, s41
	s_cbranch_execz .LBB0_19
; %bb.18:                               ;   in Loop: Header=BB0_15 Depth=2
	v_cvt_f32_u32_e32 v3, s23
	s_sub_i32 s18, 0, s23
	s_delay_alu instid0(VALU_DEP_1) | instskip(SKIP_2) | instid1(VALU_DEP_1)
	v_rcp_iflag_f32_e32 v3, v3
	s_waitcnt_depctr 0xfff
	v_mul_f32_e32 v3, 0x4f7ffffe, v3
	v_cvt_u32_f32_e32 v3, v3
	s_delay_alu instid0(VALU_DEP_1) | instskip(NEXT) | instid1(VALU_DEP_1)
	v_mul_lo_u32 v5, s18, v3
	v_mul_hi_u32 v5, v3, v5
	s_delay_alu instid0(VALU_DEP_1) | instskip(NEXT) | instid1(VALU_DEP_1)
	v_add_nc_u32_e32 v3, v3, v5
	v_mul_hi_u32 v3, v9, v3
	s_delay_alu instid0(VALU_DEP_1) | instskip(SKIP_1) | instid1(VALU_DEP_2)
	v_mul_lo_u32 v5, v3, s23
	v_add_nc_u32_e32 v7, 1, v3
	v_sub_nc_u32_e32 v5, v9, v5
	s_delay_alu instid0(VALU_DEP_1) | instskip(SKIP_1) | instid1(VALU_DEP_2)
	v_subrev_nc_u32_e32 v8, s23, v5
	v_cmp_le_u32_e32 vcc_lo, s23, v5
	v_dual_cndmask_b32 v5, v5, v8 :: v_dual_mov_b32 v8, v2
	v_cndmask_b32_e32 v3, v3, v7, vcc_lo
	s_delay_alu instid0(VALU_DEP_2) | instskip(NEXT) | instid1(VALU_DEP_2)
	v_cmp_le_u32_e32 vcc_lo, s23, v5
	v_add_nc_u32_e32 v7, 1, v3
	s_delay_alu instid0(VALU_DEP_1)
	v_cndmask_b32_e32 v7, v3, v7, vcc_lo
.LBB0_19:                               ;   in Loop: Header=BB0_15 Depth=2
	s_or_b32 exec_lo, exec_lo, s0
	s_add_u32 s16, s30, s16
	s_addc_u32 s17, s1, s17
	s_delay_alu instid0(VALU_DEP_1) | instskip(SKIP_4) | instid1(VALU_DEP_1)
	v_mul_lo_u32 v3, v7, s23
	s_load_b32 s0, s[16:17], 0x0
	s_add_i32 s22, s22, -1
	s_add_i32 s14, s14, -1
	s_cmp_lg_u32 s22, 0
	v_sub_nc_u32_e32 v3, v9, v3
	s_waitcnt lgkmcnt(0)
	s_delay_alu instid0(VALU_DEP_1) | instskip(NEXT) | instid1(VALU_DEP_1)
	v_mad_u64_u32 v[9:10], null, s0, v3, v[4:5]
	v_mov_b32_e32 v4, v9
	s_cbranch_scc0 .LBB0_22
; %bb.20:                               ;   in Loop: Header=BB0_15 Depth=2
	v_dual_mov_b32 v10, v8 :: v_dual_mov_b32 v9, v7
	s_branch .LBB0_15
.LBB0_21:                               ;   in Loop: Header=BB0_3 Depth=1
	s_mov_b32 s14, s31
.LBB0_22:                               ;   in Loop: Header=BB0_3 Depth=1
	s_and_not1_b32 vcc_lo, exec_lo, s36
	s_cbranch_vccnz .LBB0_58
; %bb.23:                               ;   in Loop: Header=BB0_3 Depth=1
	s_add_i32 s16, s14, -7
.LBB0_24:                               ;   Parent Loop BB0_3 Depth=1
                                        ; =>  This Inner Loop Header: Depth=2
	s_delay_alu instid0(SALU_CYCLE_1) | instskip(NEXT) | instid1(SALU_CYCLE_1)
	s_add_i32 s14, s16, 7
                                        ; implicit-def: $vgpr9_vgpr10
	s_lshl_b64 s[18:19], s[14:15], 2
	s_mov_b32 s14, exec_lo
	s_add_u32 s20, s26, s18
	s_addc_u32 s21, s27, s19
	s_load_b32 s41, s[20:21], 0x0
	s_waitcnt lgkmcnt(0)
	s_ashr_i32 s0, s41, 31
	s_delay_alu instid0(SALU_CYCLE_1) | instskip(NEXT) | instid1(VALU_DEP_1)
	v_or_b32_e32 v3, s0, v8
	v_cmpx_ne_u64_e32 0, v[2:3]
	s_xor_b32 s14, exec_lo, s14
	s_cbranch_execz .LBB0_26
; %bb.25:                               ;   in Loop: Header=BB0_24 Depth=2
	s_add_u32 s22, s41, s0
	s_mov_b32 s20, s0
	s_mov_b32 s21, s0
	s_addc_u32 s23, s0, s0
	s_delay_alu instid0(SALU_CYCLE_1) | instskip(NEXT) | instid1(SALU_CYCLE_1)
	s_xor_b64 s[22:23], s[22:23], s[20:21]
	v_cvt_f32_u32_e32 v3, s22
	v_cvt_f32_u32_e32 v5, s23
	s_sub_u32 s0, 0, s22
	s_subb_u32 s17, 0, s23
	s_delay_alu instid0(VALU_DEP_1) | instskip(NEXT) | instid1(VALU_DEP_1)
	v_fmac_f32_e32 v3, 0x4f800000, v5
	v_rcp_f32_e32 v3, v3
	s_waitcnt_depctr 0xfff
	v_mul_f32_e32 v3, 0x5f7ffffc, v3
	s_delay_alu instid0(VALU_DEP_1) | instskip(NEXT) | instid1(VALU_DEP_1)
	v_mul_f32_e32 v5, 0x2f800000, v3
	v_trunc_f32_e32 v5, v5
	s_delay_alu instid0(VALU_DEP_1) | instskip(SKIP_1) | instid1(VALU_DEP_2)
	v_fmac_f32_e32 v3, 0xcf800000, v5
	v_cvt_u32_f32_e32 v5, v5
	v_cvt_u32_f32_e32 v3, v3
	s_delay_alu instid0(VALU_DEP_2) | instskip(NEXT) | instid1(VALU_DEP_2)
	v_mul_lo_u32 v9, s0, v5
	v_mul_hi_u32 v10, s0, v3
	v_mul_lo_u32 v11, s17, v3
	s_delay_alu instid0(VALU_DEP_2) | instskip(SKIP_1) | instid1(VALU_DEP_2)
	v_add_nc_u32_e32 v9, v10, v9
	v_mul_lo_u32 v10, s0, v3
	v_add_nc_u32_e32 v9, v9, v11
	s_delay_alu instid0(VALU_DEP_2) | instskip(NEXT) | instid1(VALU_DEP_2)
	v_mul_hi_u32 v11, v3, v10
	v_mul_lo_u32 v12, v3, v9
	v_mul_hi_u32 v13, v3, v9
	v_mul_hi_u32 v14, v5, v10
	v_mul_lo_u32 v10, v5, v10
	v_mul_hi_u32 v15, v5, v9
	v_mul_lo_u32 v9, v5, v9
	v_add_co_u32 v11, vcc_lo, v11, v12
	v_add_co_ci_u32_e32 v12, vcc_lo, 0, v13, vcc_lo
	s_delay_alu instid0(VALU_DEP_2) | instskip(NEXT) | instid1(VALU_DEP_2)
	v_add_co_u32 v10, vcc_lo, v11, v10
	v_add_co_ci_u32_e32 v10, vcc_lo, v12, v14, vcc_lo
	v_add_co_ci_u32_e32 v11, vcc_lo, 0, v15, vcc_lo
	v_ashrrev_i32_e32 v14, 31, v8
	s_delay_alu instid0(VALU_DEP_3) | instskip(NEXT) | instid1(VALU_DEP_3)
	v_add_co_u32 v9, vcc_lo, v10, v9
	v_add_co_ci_u32_e32 v10, vcc_lo, 0, v11, vcc_lo
	s_delay_alu instid0(VALU_DEP_2) | instskip(NEXT) | instid1(VALU_DEP_2)
	v_add_co_u32 v3, vcc_lo, v3, v9
	v_add_co_ci_u32_e32 v5, vcc_lo, v5, v10, vcc_lo
	s_delay_alu instid0(VALU_DEP_2) | instskip(SKIP_1) | instid1(VALU_DEP_3)
	v_mul_hi_u32 v9, s0, v3
	v_mul_lo_u32 v11, s17, v3
	v_mul_lo_u32 v10, s0, v5
	s_delay_alu instid0(VALU_DEP_1) | instskip(SKIP_1) | instid1(VALU_DEP_2)
	v_add_nc_u32_e32 v9, v9, v10
	v_mul_lo_u32 v10, s0, v3
	v_add_nc_u32_e32 v9, v9, v11
	s_delay_alu instid0(VALU_DEP_2) | instskip(NEXT) | instid1(VALU_DEP_2)
	v_mul_hi_u32 v11, v3, v10
	v_mul_lo_u32 v12, v3, v9
	v_mul_hi_u32 v13, v3, v9
	v_mul_hi_u32 v15, v5, v10
	v_mul_lo_u32 v10, v5, v10
	v_mul_hi_u32 v16, v5, v9
	v_mul_lo_u32 v9, v5, v9
	v_add_co_u32 v11, vcc_lo, v11, v12
	v_add_co_ci_u32_e32 v12, vcc_lo, 0, v13, vcc_lo
	s_delay_alu instid0(VALU_DEP_2) | instskip(NEXT) | instid1(VALU_DEP_2)
	v_add_co_u32 v10, vcc_lo, v11, v10
	v_add_co_ci_u32_e32 v10, vcc_lo, v12, v15, vcc_lo
	v_add_co_ci_u32_e32 v11, vcc_lo, 0, v16, vcc_lo
	v_add_co_u32 v12, vcc_lo, v7, v14
	v_add_co_ci_u32_e32 v8, vcc_lo, v8, v14, vcc_lo
	s_delay_alu instid0(VALU_DEP_4) | instskip(NEXT) | instid1(VALU_DEP_4)
	v_add_co_u32 v9, vcc_lo, v10, v9
	v_add_co_ci_u32_e32 v10, vcc_lo, 0, v11, vcc_lo
	s_delay_alu instid0(VALU_DEP_4) | instskip(NEXT) | instid1(VALU_DEP_3)
	v_xor_b32_e32 v15, v12, v14
	v_add_co_u32 v3, vcc_lo, v3, v9
	s_delay_alu instid0(VALU_DEP_3) | instskip(SKIP_1) | instid1(VALU_DEP_3)
	v_add_co_ci_u32_e32 v5, vcc_lo, v5, v10, vcc_lo
	v_xor_b32_e32 v16, v8, v14
	v_mul_hi_u32 v17, v15, v3
	s_delay_alu instid0(VALU_DEP_3) | instskip(NEXT) | instid1(VALU_DEP_3)
	v_mad_u64_u32 v[8:9], null, v15, v5, 0
	v_mad_u64_u32 v[10:11], null, v16, v3, 0
	;; [unrolled: 1-line block ×3, first 2 shown]
	s_delay_alu instid0(VALU_DEP_3) | instskip(NEXT) | instid1(VALU_DEP_4)
	v_add_co_u32 v3, vcc_lo, v17, v8
	v_add_co_ci_u32_e32 v5, vcc_lo, 0, v9, vcc_lo
	s_delay_alu instid0(VALU_DEP_2) | instskip(NEXT) | instid1(VALU_DEP_2)
	v_add_co_u32 v3, vcc_lo, v3, v10
	v_add_co_ci_u32_e32 v3, vcc_lo, v5, v11, vcc_lo
	v_add_co_ci_u32_e32 v5, vcc_lo, 0, v13, vcc_lo
	s_delay_alu instid0(VALU_DEP_2) | instskip(NEXT) | instid1(VALU_DEP_2)
	v_add_co_u32 v3, vcc_lo, v3, v12
	v_add_co_ci_u32_e32 v5, vcc_lo, 0, v5, vcc_lo
	s_delay_alu instid0(VALU_DEP_2) | instskip(SKIP_1) | instid1(VALU_DEP_3)
	v_mul_lo_u32 v10, s23, v3
	v_mad_u64_u32 v[8:9], null, s22, v3, 0
	v_mul_lo_u32 v11, s22, v5
	s_delay_alu instid0(VALU_DEP_2) | instskip(NEXT) | instid1(VALU_DEP_2)
	v_sub_co_u32 v8, vcc_lo, v15, v8
	v_add3_u32 v9, v9, v11, v10
	s_delay_alu instid0(VALU_DEP_1) | instskip(NEXT) | instid1(VALU_DEP_1)
	v_sub_nc_u32_e32 v10, v16, v9
	v_subrev_co_ci_u32_e64 v10, s0, s23, v10, vcc_lo
	v_add_co_u32 v11, s0, v3, 2
	s_delay_alu instid0(VALU_DEP_1) | instskip(SKIP_3) | instid1(VALU_DEP_3)
	v_add_co_ci_u32_e64 v12, s0, 0, v5, s0
	v_sub_co_u32 v13, s0, v8, s22
	v_sub_co_ci_u32_e32 v9, vcc_lo, v16, v9, vcc_lo
	v_subrev_co_ci_u32_e64 v10, s0, 0, v10, s0
	v_cmp_le_u32_e32 vcc_lo, s22, v13
	s_delay_alu instid0(VALU_DEP_3) | instskip(SKIP_1) | instid1(VALU_DEP_4)
	v_cmp_eq_u32_e64 s0, s23, v9
	v_cndmask_b32_e64 v13, 0, -1, vcc_lo
	v_cmp_le_u32_e32 vcc_lo, s23, v10
	v_cndmask_b32_e64 v15, 0, -1, vcc_lo
	v_cmp_le_u32_e32 vcc_lo, s22, v8
	;; [unrolled: 2-line block ×3, first 2 shown]
	v_cndmask_b32_e64 v16, 0, -1, vcc_lo
	v_cmp_eq_u32_e32 vcc_lo, s23, v10
	s_delay_alu instid0(VALU_DEP_2) | instskip(SKIP_3) | instid1(VALU_DEP_3)
	v_cndmask_b32_e64 v8, v16, v8, s0
	v_cndmask_b32_e32 v10, v15, v13, vcc_lo
	v_add_co_u32 v13, vcc_lo, v3, 1
	v_add_co_ci_u32_e32 v15, vcc_lo, 0, v5, vcc_lo
	v_cmp_ne_u32_e32 vcc_lo, 0, v10
	s_delay_alu instid0(VALU_DEP_2) | instskip(SKIP_2) | instid1(VALU_DEP_3)
	v_dual_cndmask_b32 v9, v15, v12 :: v_dual_cndmask_b32 v10, v13, v11
	v_cmp_ne_u32_e32 vcc_lo, 0, v8
	v_xor_b32_e32 v8, s20, v14
	v_cndmask_b32_e32 v3, v3, v10, vcc_lo
	s_delay_alu instid0(VALU_DEP_4) | instskip(SKIP_1) | instid1(VALU_DEP_3)
	v_cndmask_b32_e32 v5, v5, v9, vcc_lo
	v_xor_b32_e32 v10, s21, v14
	v_xor_b32_e32 v3, v3, v8
	s_delay_alu instid0(VALU_DEP_2) | instskip(NEXT) | instid1(VALU_DEP_2)
	v_xor_b32_e32 v5, v5, v10
	v_sub_co_u32 v9, vcc_lo, v3, v8
	s_delay_alu instid0(VALU_DEP_2)
	v_sub_co_ci_u32_e32 v10, vcc_lo, v5, v10, vcc_lo
.LBB0_26:                               ;   in Loop: Header=BB0_24 Depth=2
	s_and_not1_saveexec_b32 s0, s14
	s_cbranch_execz .LBB0_28
; %bb.27:                               ;   in Loop: Header=BB0_24 Depth=2
	v_cvt_f32_u32_e32 v3, s41
	s_sub_i32 s14, 0, s41
	v_mov_b32_e32 v10, v2
	s_delay_alu instid0(VALU_DEP_2) | instskip(SKIP_2) | instid1(VALU_DEP_1)
	v_rcp_iflag_f32_e32 v3, v3
	s_waitcnt_depctr 0xfff
	v_mul_f32_e32 v3, 0x4f7ffffe, v3
	v_cvt_u32_f32_e32 v3, v3
	s_delay_alu instid0(VALU_DEP_1) | instskip(NEXT) | instid1(VALU_DEP_1)
	v_mul_lo_u32 v5, s14, v3
	v_mul_hi_u32 v5, v3, v5
	s_delay_alu instid0(VALU_DEP_1) | instskip(NEXT) | instid1(VALU_DEP_1)
	v_add_nc_u32_e32 v3, v3, v5
	v_mul_hi_u32 v3, v7, v3
	s_delay_alu instid0(VALU_DEP_1) | instskip(NEXT) | instid1(VALU_DEP_1)
	v_mul_lo_u32 v5, v3, s41
	v_sub_nc_u32_e32 v5, v7, v5
	s_delay_alu instid0(VALU_DEP_1) | instskip(SKIP_1) | instid1(VALU_DEP_2)
	v_subrev_nc_u32_e32 v9, s41, v5
	v_cmp_le_u32_e32 vcc_lo, s41, v5
	v_dual_cndmask_b32 v5, v5, v9 :: v_dual_add_nc_u32 v8, 1, v3
	s_delay_alu instid0(VALU_DEP_1) | instskip(NEXT) | instid1(VALU_DEP_2)
	v_cndmask_b32_e32 v3, v3, v8, vcc_lo
	v_cmp_le_u32_e32 vcc_lo, s41, v5
	s_delay_alu instid0(VALU_DEP_2) | instskip(NEXT) | instid1(VALU_DEP_1)
	v_add_nc_u32_e32 v8, 1, v3
	v_cndmask_b32_e32 v9, v3, v8, vcc_lo
.LBB0_28:                               ;   in Loop: Header=BB0_24 Depth=2
	s_or_b32 exec_lo, exec_lo, s0
	s_add_u32 s20, s30, s18
	s_addc_u32 s21, s1, s19
	s_add_i32 s14, s16, 6
                                        ; implicit-def: $vgpr11_vgpr12
	s_delay_alu instid0(SALU_CYCLE_1)
	s_lshl_b64 s[18:19], s[14:15], 2
	s_mov_b32 s14, exec_lo
	s_add_u32 s22, s26, s18
	s_addc_u32 s23, s27, s19
	s_clause 0x1
	s_load_b32 s43, s[22:23], 0x0
	s_load_b32 s42, s[20:21], 0x0
	s_waitcnt lgkmcnt(0)
	s_ashr_i32 s0, s43, 31
	s_delay_alu instid0(SALU_CYCLE_1) | instskip(NEXT) | instid1(VALU_DEP_1)
	v_or_b32_e32 v3, s0, v10
	v_cmpx_ne_u64_e32 0, v[2:3]
	s_xor_b32 s14, exec_lo, s14
	s_cbranch_execz .LBB0_30
; %bb.29:                               ;   in Loop: Header=BB0_24 Depth=2
	s_add_u32 s22, s43, s0
	s_mov_b32 s20, s0
	s_mov_b32 s21, s0
	s_addc_u32 s23, s0, s0
	s_delay_alu instid0(SALU_CYCLE_1) | instskip(NEXT) | instid1(SALU_CYCLE_1)
	s_xor_b64 s[22:23], s[22:23], s[20:21]
	v_cvt_f32_u32_e32 v3, s22
	v_cvt_f32_u32_e32 v5, s23
	s_sub_u32 s0, 0, s22
	s_subb_u32 s17, 0, s23
	s_delay_alu instid0(VALU_DEP_1) | instskip(NEXT) | instid1(VALU_DEP_1)
	v_fmac_f32_e32 v3, 0x4f800000, v5
	v_rcp_f32_e32 v3, v3
	s_waitcnt_depctr 0xfff
	v_mul_f32_e32 v3, 0x5f7ffffc, v3
	s_delay_alu instid0(VALU_DEP_1) | instskip(NEXT) | instid1(VALU_DEP_1)
	v_mul_f32_e32 v5, 0x2f800000, v3
	v_trunc_f32_e32 v5, v5
	s_delay_alu instid0(VALU_DEP_1) | instskip(SKIP_1) | instid1(VALU_DEP_2)
	v_fmac_f32_e32 v3, 0xcf800000, v5
	v_cvt_u32_f32_e32 v5, v5
	v_cvt_u32_f32_e32 v3, v3
	s_delay_alu instid0(VALU_DEP_2) | instskip(NEXT) | instid1(VALU_DEP_2)
	v_mul_lo_u32 v8, s0, v5
	v_mul_hi_u32 v11, s0, v3
	v_mul_lo_u32 v12, s17, v3
	s_delay_alu instid0(VALU_DEP_2) | instskip(SKIP_1) | instid1(VALU_DEP_2)
	v_add_nc_u32_e32 v8, v11, v8
	v_mul_lo_u32 v11, s0, v3
	v_add_nc_u32_e32 v8, v8, v12
	s_delay_alu instid0(VALU_DEP_2) | instskip(NEXT) | instid1(VALU_DEP_2)
	v_mul_hi_u32 v12, v3, v11
	v_mul_lo_u32 v13, v3, v8
	v_mul_hi_u32 v14, v3, v8
	v_mul_hi_u32 v15, v5, v11
	v_mul_lo_u32 v11, v5, v11
	v_mul_hi_u32 v16, v5, v8
	v_mul_lo_u32 v8, v5, v8
	v_add_co_u32 v12, vcc_lo, v12, v13
	v_add_co_ci_u32_e32 v13, vcc_lo, 0, v14, vcc_lo
	s_delay_alu instid0(VALU_DEP_2) | instskip(NEXT) | instid1(VALU_DEP_2)
	v_add_co_u32 v11, vcc_lo, v12, v11
	v_add_co_ci_u32_e32 v11, vcc_lo, v13, v15, vcc_lo
	v_add_co_ci_u32_e32 v12, vcc_lo, 0, v16, vcc_lo
	v_ashrrev_i32_e32 v16, 31, v10
	s_delay_alu instid0(VALU_DEP_3) | instskip(NEXT) | instid1(VALU_DEP_3)
	v_add_co_u32 v8, vcc_lo, v11, v8
	v_add_co_ci_u32_e32 v11, vcc_lo, 0, v12, vcc_lo
	s_delay_alu instid0(VALU_DEP_2) | instskip(NEXT) | instid1(VALU_DEP_2)
	v_add_co_u32 v3, vcc_lo, v3, v8
	v_add_co_ci_u32_e32 v5, vcc_lo, v5, v11, vcc_lo
	s_delay_alu instid0(VALU_DEP_2) | instskip(SKIP_1) | instid1(VALU_DEP_3)
	v_mul_hi_u32 v8, s0, v3
	v_mul_lo_u32 v12, s17, v3
	v_mul_lo_u32 v11, s0, v5
	s_delay_alu instid0(VALU_DEP_1) | instskip(SKIP_1) | instid1(VALU_DEP_2)
	v_add_nc_u32_e32 v8, v8, v11
	v_mul_lo_u32 v11, s0, v3
	v_add_nc_u32_e32 v8, v8, v12
	s_delay_alu instid0(VALU_DEP_2) | instskip(NEXT) | instid1(VALU_DEP_2)
	v_mul_hi_u32 v12, v3, v11
	v_mul_lo_u32 v13, v3, v8
	v_mul_hi_u32 v14, v3, v8
	v_mul_hi_u32 v15, v5, v11
	v_mul_lo_u32 v11, v5, v11
	v_mul_hi_u32 v17, v5, v8
	v_mul_lo_u32 v8, v5, v8
	v_add_co_u32 v12, vcc_lo, v12, v13
	v_add_co_ci_u32_e32 v13, vcc_lo, 0, v14, vcc_lo
	s_delay_alu instid0(VALU_DEP_2) | instskip(NEXT) | instid1(VALU_DEP_2)
	v_add_co_u32 v11, vcc_lo, v12, v11
	v_add_co_ci_u32_e32 v11, vcc_lo, v13, v15, vcc_lo
	v_add_co_ci_u32_e32 v12, vcc_lo, 0, v17, vcc_lo
	v_add_co_u32 v13, vcc_lo, v9, v16
	v_add_co_ci_u32_e32 v10, vcc_lo, v10, v16, vcc_lo
	s_delay_alu instid0(VALU_DEP_4) | instskip(NEXT) | instid1(VALU_DEP_4)
	v_add_co_u32 v8, vcc_lo, v11, v8
	v_add_co_ci_u32_e32 v11, vcc_lo, 0, v12, vcc_lo
	s_delay_alu instid0(VALU_DEP_4) | instskip(NEXT) | instid1(VALU_DEP_3)
	v_xor_b32_e32 v17, v13, v16
	v_add_co_u32 v3, vcc_lo, v3, v8
	s_delay_alu instid0(VALU_DEP_3) | instskip(SKIP_1) | instid1(VALU_DEP_3)
	v_add_co_ci_u32_e32 v5, vcc_lo, v5, v11, vcc_lo
	v_xor_b32_e32 v8, v10, v16
	v_mul_hi_u32 v18, v17, v3
	s_delay_alu instid0(VALU_DEP_3) | instskip(NEXT) | instid1(VALU_DEP_3)
	v_mad_u64_u32 v[10:11], null, v17, v5, 0
	v_mad_u64_u32 v[12:13], null, v8, v3, 0
	;; [unrolled: 1-line block ×3, first 2 shown]
	s_delay_alu instid0(VALU_DEP_3) | instskip(NEXT) | instid1(VALU_DEP_4)
	v_add_co_u32 v3, vcc_lo, v18, v10
	v_add_co_ci_u32_e32 v5, vcc_lo, 0, v11, vcc_lo
	s_delay_alu instid0(VALU_DEP_2) | instskip(NEXT) | instid1(VALU_DEP_2)
	v_add_co_u32 v3, vcc_lo, v3, v12
	v_add_co_ci_u32_e32 v3, vcc_lo, v5, v13, vcc_lo
	v_add_co_ci_u32_e32 v5, vcc_lo, 0, v15, vcc_lo
	s_delay_alu instid0(VALU_DEP_2) | instskip(NEXT) | instid1(VALU_DEP_2)
	v_add_co_u32 v3, vcc_lo, v3, v14
	v_add_co_ci_u32_e32 v5, vcc_lo, 0, v5, vcc_lo
	s_delay_alu instid0(VALU_DEP_2) | instskip(SKIP_1) | instid1(VALU_DEP_3)
	v_mul_lo_u32 v12, s23, v3
	v_mad_u64_u32 v[10:11], null, s22, v3, 0
	v_mul_lo_u32 v13, s22, v5
	s_delay_alu instid0(VALU_DEP_2) | instskip(NEXT) | instid1(VALU_DEP_2)
	v_sub_co_u32 v10, vcc_lo, v17, v10
	v_add3_u32 v11, v11, v13, v12
	s_delay_alu instid0(VALU_DEP_1) | instskip(NEXT) | instid1(VALU_DEP_1)
	v_sub_nc_u32_e32 v12, v8, v11
	v_subrev_co_ci_u32_e64 v12, s0, s23, v12, vcc_lo
	v_add_co_u32 v13, s0, v3, 2
	s_delay_alu instid0(VALU_DEP_1) | instskip(SKIP_3) | instid1(VALU_DEP_3)
	v_add_co_ci_u32_e64 v14, s0, 0, v5, s0
	v_sub_co_u32 v15, s0, v10, s22
	v_sub_co_ci_u32_e32 v8, vcc_lo, v8, v11, vcc_lo
	v_subrev_co_ci_u32_e64 v12, s0, 0, v12, s0
	v_cmp_le_u32_e32 vcc_lo, s22, v15
	s_delay_alu instid0(VALU_DEP_3) | instskip(SKIP_1) | instid1(VALU_DEP_4)
	v_cmp_eq_u32_e64 s0, s23, v8
	v_cndmask_b32_e64 v11, 0, -1, vcc_lo
	v_cmp_le_u32_e32 vcc_lo, s23, v12
	v_cndmask_b32_e64 v15, 0, -1, vcc_lo
	v_cmp_le_u32_e32 vcc_lo, s22, v10
	;; [unrolled: 2-line block ×3, first 2 shown]
	v_cndmask_b32_e64 v17, 0, -1, vcc_lo
	v_cmp_eq_u32_e32 vcc_lo, s23, v12
	s_delay_alu instid0(VALU_DEP_2) | instskip(SKIP_3) | instid1(VALU_DEP_3)
	v_cndmask_b32_e64 v8, v17, v10, s0
	v_cndmask_b32_e32 v11, v15, v11, vcc_lo
	v_add_co_u32 v12, vcc_lo, v3, 1
	v_add_co_ci_u32_e32 v15, vcc_lo, 0, v5, vcc_lo
	v_cmp_ne_u32_e32 vcc_lo, 0, v11
	s_delay_alu instid0(VALU_DEP_2) | instskip(SKIP_2) | instid1(VALU_DEP_3)
	v_dual_cndmask_b32 v10, v15, v14 :: v_dual_cndmask_b32 v11, v12, v13
	v_cmp_ne_u32_e32 vcc_lo, 0, v8
	v_xor_b32_e32 v8, s20, v16
	v_cndmask_b32_e32 v3, v3, v11, vcc_lo
	s_delay_alu instid0(VALU_DEP_4) | instskip(SKIP_1) | instid1(VALU_DEP_3)
	v_cndmask_b32_e32 v5, v5, v10, vcc_lo
	v_xor_b32_e32 v10, s21, v16
	v_xor_b32_e32 v3, v3, v8
	s_delay_alu instid0(VALU_DEP_2) | instskip(NEXT) | instid1(VALU_DEP_2)
	v_xor_b32_e32 v5, v5, v10
	v_sub_co_u32 v11, vcc_lo, v3, v8
	s_delay_alu instid0(VALU_DEP_2)
	v_sub_co_ci_u32_e32 v12, vcc_lo, v5, v10, vcc_lo
.LBB0_30:                               ;   in Loop: Header=BB0_24 Depth=2
	s_and_not1_saveexec_b32 s0, s14
	s_cbranch_execz .LBB0_32
; %bb.31:                               ;   in Loop: Header=BB0_24 Depth=2
	v_cvt_f32_u32_e32 v3, s43
	s_sub_i32 s14, 0, s43
	v_mov_b32_e32 v12, v2
	s_delay_alu instid0(VALU_DEP_2) | instskip(SKIP_2) | instid1(VALU_DEP_1)
	v_rcp_iflag_f32_e32 v3, v3
	s_waitcnt_depctr 0xfff
	v_mul_f32_e32 v3, 0x4f7ffffe, v3
	v_cvt_u32_f32_e32 v3, v3
	s_delay_alu instid0(VALU_DEP_1) | instskip(NEXT) | instid1(VALU_DEP_1)
	v_mul_lo_u32 v5, s14, v3
	v_mul_hi_u32 v5, v3, v5
	s_delay_alu instid0(VALU_DEP_1) | instskip(NEXT) | instid1(VALU_DEP_1)
	v_add_nc_u32_e32 v3, v3, v5
	v_mul_hi_u32 v3, v9, v3
	s_delay_alu instid0(VALU_DEP_1) | instskip(NEXT) | instid1(VALU_DEP_1)
	v_mul_lo_u32 v5, v3, s43
	v_sub_nc_u32_e32 v5, v9, v5
	s_delay_alu instid0(VALU_DEP_1) | instskip(SKIP_1) | instid1(VALU_DEP_2)
	v_subrev_nc_u32_e32 v10, s43, v5
	v_cmp_le_u32_e32 vcc_lo, s43, v5
	v_dual_cndmask_b32 v5, v5, v10 :: v_dual_add_nc_u32 v8, 1, v3
	s_delay_alu instid0(VALU_DEP_1) | instskip(NEXT) | instid1(VALU_DEP_2)
	v_cndmask_b32_e32 v3, v3, v8, vcc_lo
	v_cmp_le_u32_e32 vcc_lo, s43, v5
	s_delay_alu instid0(VALU_DEP_2) | instskip(NEXT) | instid1(VALU_DEP_1)
	v_add_nc_u32_e32 v8, 1, v3
	v_cndmask_b32_e32 v11, v3, v8, vcc_lo
.LBB0_32:                               ;   in Loop: Header=BB0_24 Depth=2
	s_or_b32 exec_lo, exec_lo, s0
	s_add_u32 s20, s30, s18
	s_addc_u32 s21, s1, s19
	s_add_i32 s14, s16, 5
                                        ; implicit-def: $vgpr13_vgpr14
	s_delay_alu instid0(SALU_CYCLE_1)
	s_lshl_b64 s[18:19], s[14:15], 2
	s_mov_b32 s14, exec_lo
	s_add_u32 s22, s26, s18
	s_addc_u32 s23, s27, s19
	s_clause 0x1
	s_load_b32 s45, s[22:23], 0x0
	s_load_b32 s44, s[20:21], 0x0
	s_waitcnt lgkmcnt(0)
	s_ashr_i32 s0, s45, 31
	s_delay_alu instid0(SALU_CYCLE_1) | instskip(NEXT) | instid1(VALU_DEP_1)
	v_or_b32_e32 v3, s0, v12
	v_cmpx_ne_u64_e32 0, v[2:3]
	s_xor_b32 s14, exec_lo, s14
	s_cbranch_execz .LBB0_34
; %bb.33:                               ;   in Loop: Header=BB0_24 Depth=2
	s_add_u32 s22, s45, s0
	s_mov_b32 s20, s0
	s_mov_b32 s21, s0
	s_addc_u32 s23, s0, s0
	v_ashrrev_i32_e32 v18, 31, v12
	s_xor_b64 s[22:23], s[22:23], s[20:21]
	s_delay_alu instid0(SALU_CYCLE_1) | instskip(SKIP_3) | instid1(VALU_DEP_1)
	v_cvt_f32_u32_e32 v3, s22
	v_cvt_f32_u32_e32 v5, s23
	s_sub_u32 s0, 0, s22
	s_subb_u32 s17, 0, s23
	v_fmac_f32_e32 v3, 0x4f800000, v5
	s_delay_alu instid0(VALU_DEP_1) | instskip(SKIP_2) | instid1(VALU_DEP_1)
	v_rcp_f32_e32 v3, v3
	s_waitcnt_depctr 0xfff
	v_mul_f32_e32 v3, 0x5f7ffffc, v3
	v_mul_f32_e32 v5, 0x2f800000, v3
	s_delay_alu instid0(VALU_DEP_1) | instskip(NEXT) | instid1(VALU_DEP_1)
	v_trunc_f32_e32 v5, v5
	v_fmac_f32_e32 v3, 0xcf800000, v5
	v_cvt_u32_f32_e32 v5, v5
	s_delay_alu instid0(VALU_DEP_2) | instskip(NEXT) | instid1(VALU_DEP_2)
	v_cvt_u32_f32_e32 v3, v3
	v_mul_lo_u32 v8, s0, v5
	s_delay_alu instid0(VALU_DEP_2) | instskip(SKIP_1) | instid1(VALU_DEP_2)
	v_mul_hi_u32 v10, s0, v3
	v_mul_lo_u32 v13, s17, v3
	v_add_nc_u32_e32 v8, v10, v8
	v_mul_lo_u32 v10, s0, v3
	s_delay_alu instid0(VALU_DEP_2) | instskip(NEXT) | instid1(VALU_DEP_2)
	v_add_nc_u32_e32 v8, v8, v13
	v_mul_hi_u32 v13, v3, v10
	s_delay_alu instid0(VALU_DEP_2)
	v_mul_lo_u32 v14, v3, v8
	v_mul_hi_u32 v15, v3, v8
	v_mul_hi_u32 v16, v5, v10
	v_mul_lo_u32 v10, v5, v10
	v_mul_hi_u32 v17, v5, v8
	v_mul_lo_u32 v8, v5, v8
	v_add_co_u32 v13, vcc_lo, v13, v14
	v_add_co_ci_u32_e32 v14, vcc_lo, 0, v15, vcc_lo
	s_delay_alu instid0(VALU_DEP_2) | instskip(NEXT) | instid1(VALU_DEP_2)
	v_add_co_u32 v10, vcc_lo, v13, v10
	v_add_co_ci_u32_e32 v10, vcc_lo, v14, v16, vcc_lo
	v_add_co_ci_u32_e32 v13, vcc_lo, 0, v17, vcc_lo
	s_delay_alu instid0(VALU_DEP_2) | instskip(NEXT) | instid1(VALU_DEP_2)
	v_add_co_u32 v8, vcc_lo, v10, v8
	v_add_co_ci_u32_e32 v10, vcc_lo, 0, v13, vcc_lo
	s_delay_alu instid0(VALU_DEP_2) | instskip(NEXT) | instid1(VALU_DEP_2)
	v_add_co_u32 v3, vcc_lo, v3, v8
	v_add_co_ci_u32_e32 v5, vcc_lo, v5, v10, vcc_lo
	s_delay_alu instid0(VALU_DEP_2) | instskip(SKIP_1) | instid1(VALU_DEP_3)
	v_mul_hi_u32 v8, s0, v3
	v_mul_lo_u32 v13, s17, v3
	v_mul_lo_u32 v10, s0, v5
	s_delay_alu instid0(VALU_DEP_1) | instskip(SKIP_1) | instid1(VALU_DEP_2)
	v_add_nc_u32_e32 v8, v8, v10
	v_mul_lo_u32 v10, s0, v3
	v_add_nc_u32_e32 v8, v8, v13
	s_delay_alu instid0(VALU_DEP_2) | instskip(NEXT) | instid1(VALU_DEP_2)
	v_mul_hi_u32 v13, v3, v10
	v_mul_lo_u32 v14, v3, v8
	v_mul_hi_u32 v15, v3, v8
	v_mul_hi_u32 v16, v5, v10
	v_mul_lo_u32 v10, v5, v10
	v_mul_hi_u32 v17, v5, v8
	v_mul_lo_u32 v8, v5, v8
	v_add_co_u32 v13, vcc_lo, v13, v14
	v_add_co_ci_u32_e32 v14, vcc_lo, 0, v15, vcc_lo
	s_delay_alu instid0(VALU_DEP_2) | instskip(NEXT) | instid1(VALU_DEP_2)
	v_add_co_u32 v10, vcc_lo, v13, v10
	v_add_co_ci_u32_e32 v10, vcc_lo, v14, v16, vcc_lo
	v_add_co_ci_u32_e32 v13, vcc_lo, 0, v17, vcc_lo
	v_add_co_u32 v14, vcc_lo, v11, v18
	v_add_co_ci_u32_e32 v12, vcc_lo, v12, v18, vcc_lo
	s_delay_alu instid0(VALU_DEP_4) | instskip(NEXT) | instid1(VALU_DEP_4)
	v_add_co_u32 v8, vcc_lo, v10, v8
	v_add_co_ci_u32_e32 v10, vcc_lo, 0, v13, vcc_lo
	s_delay_alu instid0(VALU_DEP_4) | instskip(NEXT) | instid1(VALU_DEP_3)
	v_xor_b32_e32 v19, v14, v18
	v_add_co_u32 v3, vcc_lo, v3, v8
	s_delay_alu instid0(VALU_DEP_3) | instskip(SKIP_1) | instid1(VALU_DEP_3)
	v_add_co_ci_u32_e32 v5, vcc_lo, v5, v10, vcc_lo
	v_xor_b32_e32 v8, v12, v18
	v_mul_hi_u32 v10, v19, v3
	s_delay_alu instid0(VALU_DEP_3) | instskip(NEXT) | instid1(VALU_DEP_3)
	v_mad_u64_u32 v[12:13], null, v19, v5, 0
	v_mad_u64_u32 v[14:15], null, v8, v3, 0
	;; [unrolled: 1-line block ×3, first 2 shown]
	s_delay_alu instid0(VALU_DEP_3) | instskip(NEXT) | instid1(VALU_DEP_4)
	v_add_co_u32 v3, vcc_lo, v10, v12
	v_add_co_ci_u32_e32 v5, vcc_lo, 0, v13, vcc_lo
	s_delay_alu instid0(VALU_DEP_2) | instskip(NEXT) | instid1(VALU_DEP_2)
	v_add_co_u32 v3, vcc_lo, v3, v14
	v_add_co_ci_u32_e32 v3, vcc_lo, v5, v15, vcc_lo
	v_add_co_ci_u32_e32 v5, vcc_lo, 0, v17, vcc_lo
	s_delay_alu instid0(VALU_DEP_2) | instskip(NEXT) | instid1(VALU_DEP_2)
	v_add_co_u32 v3, vcc_lo, v3, v16
	v_add_co_ci_u32_e32 v5, vcc_lo, 0, v5, vcc_lo
	s_delay_alu instid0(VALU_DEP_2) | instskip(SKIP_1) | instid1(VALU_DEP_3)
	v_mul_lo_u32 v10, s23, v3
	v_mad_u64_u32 v[12:13], null, s22, v3, 0
	v_mul_lo_u32 v14, s22, v5
	s_delay_alu instid0(VALU_DEP_2) | instskip(NEXT) | instid1(VALU_DEP_2)
	v_sub_co_u32 v12, vcc_lo, v19, v12
	v_add3_u32 v10, v13, v14, v10
	s_delay_alu instid0(VALU_DEP_1) | instskip(NEXT) | instid1(VALU_DEP_1)
	v_sub_nc_u32_e32 v13, v8, v10
	v_subrev_co_ci_u32_e64 v13, s0, s23, v13, vcc_lo
	v_add_co_u32 v14, s0, v3, 2
	s_delay_alu instid0(VALU_DEP_1) | instskip(SKIP_3) | instid1(VALU_DEP_3)
	v_add_co_ci_u32_e64 v15, s0, 0, v5, s0
	v_sub_co_u32 v16, s0, v12, s22
	v_sub_co_ci_u32_e32 v8, vcc_lo, v8, v10, vcc_lo
	v_subrev_co_ci_u32_e64 v13, s0, 0, v13, s0
	v_cmp_le_u32_e32 vcc_lo, s22, v16
	s_delay_alu instid0(VALU_DEP_3) | instskip(SKIP_1) | instid1(VALU_DEP_4)
	v_cmp_eq_u32_e64 s0, s23, v8
	v_cndmask_b32_e64 v10, 0, -1, vcc_lo
	v_cmp_le_u32_e32 vcc_lo, s23, v13
	v_cndmask_b32_e64 v16, 0, -1, vcc_lo
	v_cmp_le_u32_e32 vcc_lo, s22, v12
	v_cndmask_b32_e64 v12, 0, -1, vcc_lo
	v_cmp_le_u32_e32 vcc_lo, s23, v8
	v_cndmask_b32_e64 v17, 0, -1, vcc_lo
	v_cmp_eq_u32_e32 vcc_lo, s23, v13
	s_delay_alu instid0(VALU_DEP_2) | instskip(SKIP_3) | instid1(VALU_DEP_3)
	v_cndmask_b32_e64 v8, v17, v12, s0
	v_cndmask_b32_e32 v10, v16, v10, vcc_lo
	v_add_co_u32 v13, vcc_lo, v3, 1
	v_add_co_ci_u32_e32 v16, vcc_lo, 0, v5, vcc_lo
	v_cmp_ne_u32_e32 vcc_lo, 0, v10
	s_delay_alu instid0(VALU_DEP_3) | instskip(NEXT) | instid1(VALU_DEP_3)
	v_cndmask_b32_e32 v12, v13, v14, vcc_lo
	v_cndmask_b32_e32 v10, v16, v15, vcc_lo
	v_cmp_ne_u32_e32 vcc_lo, 0, v8
	v_xor_b32_e32 v8, s20, v18
	s_delay_alu instid0(VALU_DEP_4) | instskip(NEXT) | instid1(VALU_DEP_4)
	v_cndmask_b32_e32 v3, v3, v12, vcc_lo
	v_cndmask_b32_e32 v5, v5, v10, vcc_lo
	v_xor_b32_e32 v10, s21, v18
	s_delay_alu instid0(VALU_DEP_3) | instskip(NEXT) | instid1(VALU_DEP_2)
	v_xor_b32_e32 v3, v3, v8
	v_xor_b32_e32 v5, v5, v10
	s_delay_alu instid0(VALU_DEP_2) | instskip(NEXT) | instid1(VALU_DEP_2)
	v_sub_co_u32 v13, vcc_lo, v3, v8
	v_sub_co_ci_u32_e32 v14, vcc_lo, v5, v10, vcc_lo
.LBB0_34:                               ;   in Loop: Header=BB0_24 Depth=2
	s_and_not1_saveexec_b32 s0, s14
	s_cbranch_execz .LBB0_36
; %bb.35:                               ;   in Loop: Header=BB0_24 Depth=2
	v_cvt_f32_u32_e32 v3, s45
	s_sub_i32 s14, 0, s45
	v_mov_b32_e32 v14, v2
	s_delay_alu instid0(VALU_DEP_2) | instskip(SKIP_2) | instid1(VALU_DEP_1)
	v_rcp_iflag_f32_e32 v3, v3
	s_waitcnt_depctr 0xfff
	v_mul_f32_e32 v3, 0x4f7ffffe, v3
	v_cvt_u32_f32_e32 v3, v3
	s_delay_alu instid0(VALU_DEP_1) | instskip(NEXT) | instid1(VALU_DEP_1)
	v_mul_lo_u32 v5, s14, v3
	v_mul_hi_u32 v5, v3, v5
	s_delay_alu instid0(VALU_DEP_1) | instskip(NEXT) | instid1(VALU_DEP_1)
	v_add_nc_u32_e32 v3, v3, v5
	v_mul_hi_u32 v3, v11, v3
	s_delay_alu instid0(VALU_DEP_1) | instskip(NEXT) | instid1(VALU_DEP_1)
	v_mul_lo_u32 v5, v3, s45
	v_sub_nc_u32_e32 v5, v11, v5
	s_delay_alu instid0(VALU_DEP_1) | instskip(SKIP_1) | instid1(VALU_DEP_2)
	v_subrev_nc_u32_e32 v10, s45, v5
	v_cmp_le_u32_e32 vcc_lo, s45, v5
	v_dual_cndmask_b32 v5, v5, v10 :: v_dual_add_nc_u32 v8, 1, v3
	s_delay_alu instid0(VALU_DEP_1) | instskip(NEXT) | instid1(VALU_DEP_2)
	v_cndmask_b32_e32 v3, v3, v8, vcc_lo
	v_cmp_le_u32_e32 vcc_lo, s45, v5
	s_delay_alu instid0(VALU_DEP_2) | instskip(NEXT) | instid1(VALU_DEP_1)
	v_add_nc_u32_e32 v8, 1, v3
	v_cndmask_b32_e32 v13, v3, v8, vcc_lo
.LBB0_36:                               ;   in Loop: Header=BB0_24 Depth=2
	s_or_b32 exec_lo, exec_lo, s0
	s_add_u32 s20, s30, s18
	s_addc_u32 s21, s1, s19
	s_add_i32 s14, s16, 4
                                        ; implicit-def: $vgpr15_vgpr16
	s_delay_alu instid0(SALU_CYCLE_1)
	s_lshl_b64 s[18:19], s[14:15], 2
	s_mov_b32 s14, exec_lo
	s_add_u32 s22, s26, s18
	s_addc_u32 s23, s27, s19
	s_clause 0x1
	s_load_b32 s47, s[22:23], 0x0
	s_load_b32 s46, s[20:21], 0x0
	s_waitcnt lgkmcnt(0)
	s_ashr_i32 s0, s47, 31
	s_delay_alu instid0(SALU_CYCLE_1) | instskip(NEXT) | instid1(VALU_DEP_1)
	v_or_b32_e32 v3, s0, v14
	v_cmpx_ne_u64_e32 0, v[2:3]
	s_xor_b32 s14, exec_lo, s14
	s_cbranch_execz .LBB0_38
; %bb.37:                               ;   in Loop: Header=BB0_24 Depth=2
	s_add_u32 s22, s47, s0
	s_mov_b32 s20, s0
	s_mov_b32 s21, s0
	s_addc_u32 s23, s0, s0
	v_ashrrev_i32_e32 v20, 31, v14
	s_xor_b64 s[22:23], s[22:23], s[20:21]
	s_delay_alu instid0(SALU_CYCLE_1) | instskip(SKIP_3) | instid1(VALU_DEP_1)
	v_cvt_f32_u32_e32 v3, s22
	v_cvt_f32_u32_e32 v5, s23
	s_sub_u32 s0, 0, s22
	s_subb_u32 s17, 0, s23
	v_fmac_f32_e32 v3, 0x4f800000, v5
	s_delay_alu instid0(VALU_DEP_1) | instskip(SKIP_2) | instid1(VALU_DEP_1)
	v_rcp_f32_e32 v3, v3
	s_waitcnt_depctr 0xfff
	v_mul_f32_e32 v3, 0x5f7ffffc, v3
	v_mul_f32_e32 v5, 0x2f800000, v3
	s_delay_alu instid0(VALU_DEP_1) | instskip(NEXT) | instid1(VALU_DEP_1)
	v_trunc_f32_e32 v5, v5
	v_fmac_f32_e32 v3, 0xcf800000, v5
	v_cvt_u32_f32_e32 v5, v5
	s_delay_alu instid0(VALU_DEP_2) | instskip(NEXT) | instid1(VALU_DEP_2)
	v_cvt_u32_f32_e32 v3, v3
	v_mul_lo_u32 v8, s0, v5
	s_delay_alu instid0(VALU_DEP_2) | instskip(SKIP_1) | instid1(VALU_DEP_2)
	v_mul_hi_u32 v10, s0, v3
	v_mul_lo_u32 v12, s17, v3
	v_add_nc_u32_e32 v8, v10, v8
	v_mul_lo_u32 v10, s0, v3
	s_delay_alu instid0(VALU_DEP_2) | instskip(NEXT) | instid1(VALU_DEP_2)
	v_add_nc_u32_e32 v8, v8, v12
	v_mul_hi_u32 v12, v3, v10
	s_delay_alu instid0(VALU_DEP_2)
	v_mul_lo_u32 v15, v3, v8
	v_mul_hi_u32 v16, v3, v8
	v_mul_hi_u32 v17, v5, v10
	v_mul_lo_u32 v10, v5, v10
	v_mul_hi_u32 v18, v5, v8
	v_mul_lo_u32 v8, v5, v8
	v_add_co_u32 v12, vcc_lo, v12, v15
	v_add_co_ci_u32_e32 v15, vcc_lo, 0, v16, vcc_lo
	s_delay_alu instid0(VALU_DEP_2) | instskip(NEXT) | instid1(VALU_DEP_2)
	v_add_co_u32 v10, vcc_lo, v12, v10
	v_add_co_ci_u32_e32 v10, vcc_lo, v15, v17, vcc_lo
	v_add_co_ci_u32_e32 v12, vcc_lo, 0, v18, vcc_lo
	s_delay_alu instid0(VALU_DEP_2) | instskip(NEXT) | instid1(VALU_DEP_2)
	v_add_co_u32 v8, vcc_lo, v10, v8
	v_add_co_ci_u32_e32 v10, vcc_lo, 0, v12, vcc_lo
	s_delay_alu instid0(VALU_DEP_2) | instskip(NEXT) | instid1(VALU_DEP_2)
	v_add_co_u32 v3, vcc_lo, v3, v8
	v_add_co_ci_u32_e32 v5, vcc_lo, v5, v10, vcc_lo
	s_delay_alu instid0(VALU_DEP_2) | instskip(SKIP_1) | instid1(VALU_DEP_3)
	v_mul_hi_u32 v8, s0, v3
	v_mul_lo_u32 v12, s17, v3
	v_mul_lo_u32 v10, s0, v5
	s_delay_alu instid0(VALU_DEP_1) | instskip(SKIP_1) | instid1(VALU_DEP_2)
	v_add_nc_u32_e32 v8, v8, v10
	v_mul_lo_u32 v10, s0, v3
	v_add_nc_u32_e32 v8, v8, v12
	s_delay_alu instid0(VALU_DEP_2) | instskip(NEXT) | instid1(VALU_DEP_2)
	v_mul_hi_u32 v12, v3, v10
	v_mul_lo_u32 v15, v3, v8
	v_mul_hi_u32 v16, v3, v8
	v_mul_hi_u32 v17, v5, v10
	v_mul_lo_u32 v10, v5, v10
	v_mul_hi_u32 v18, v5, v8
	v_mul_lo_u32 v8, v5, v8
	v_add_co_u32 v12, vcc_lo, v12, v15
	v_add_co_ci_u32_e32 v15, vcc_lo, 0, v16, vcc_lo
	s_delay_alu instid0(VALU_DEP_2) | instskip(NEXT) | instid1(VALU_DEP_2)
	v_add_co_u32 v10, vcc_lo, v12, v10
	v_add_co_ci_u32_e32 v10, vcc_lo, v15, v17, vcc_lo
	v_add_co_ci_u32_e32 v12, vcc_lo, 0, v18, vcc_lo
	v_add_co_u32 v15, vcc_lo, v13, v20
	v_add_co_ci_u32_e32 v14, vcc_lo, v14, v20, vcc_lo
	s_delay_alu instid0(VALU_DEP_4) | instskip(NEXT) | instid1(VALU_DEP_4)
	v_add_co_u32 v8, vcc_lo, v10, v8
	v_add_co_ci_u32_e32 v10, vcc_lo, 0, v12, vcc_lo
	s_delay_alu instid0(VALU_DEP_4) | instskip(NEXT) | instid1(VALU_DEP_3)
	v_xor_b32_e32 v12, v15, v20
	v_add_co_u32 v3, vcc_lo, v3, v8
	s_delay_alu instid0(VALU_DEP_3) | instskip(SKIP_1) | instid1(VALU_DEP_3)
	v_add_co_ci_u32_e32 v5, vcc_lo, v5, v10, vcc_lo
	v_xor_b32_e32 v8, v14, v20
	v_mul_hi_u32 v10, v12, v3
	s_delay_alu instid0(VALU_DEP_3) | instskip(NEXT) | instid1(VALU_DEP_3)
	v_mad_u64_u32 v[14:15], null, v12, v5, 0
	v_mad_u64_u32 v[16:17], null, v8, v3, 0
	;; [unrolled: 1-line block ×3, first 2 shown]
	s_delay_alu instid0(VALU_DEP_3) | instskip(NEXT) | instid1(VALU_DEP_4)
	v_add_co_u32 v3, vcc_lo, v10, v14
	v_add_co_ci_u32_e32 v5, vcc_lo, 0, v15, vcc_lo
	s_delay_alu instid0(VALU_DEP_2) | instskip(NEXT) | instid1(VALU_DEP_2)
	v_add_co_u32 v3, vcc_lo, v3, v16
	v_add_co_ci_u32_e32 v3, vcc_lo, v5, v17, vcc_lo
	v_add_co_ci_u32_e32 v5, vcc_lo, 0, v19, vcc_lo
	s_delay_alu instid0(VALU_DEP_2) | instskip(NEXT) | instid1(VALU_DEP_2)
	v_add_co_u32 v3, vcc_lo, v3, v18
	v_add_co_ci_u32_e32 v5, vcc_lo, 0, v5, vcc_lo
	s_delay_alu instid0(VALU_DEP_2) | instskip(SKIP_1) | instid1(VALU_DEP_3)
	v_mul_lo_u32 v10, s23, v3
	v_mad_u64_u32 v[14:15], null, s22, v3, 0
	v_mul_lo_u32 v16, s22, v5
	s_delay_alu instid0(VALU_DEP_2) | instskip(NEXT) | instid1(VALU_DEP_2)
	v_sub_co_u32 v12, vcc_lo, v12, v14
	v_add3_u32 v10, v15, v16, v10
	s_delay_alu instid0(VALU_DEP_1) | instskip(NEXT) | instid1(VALU_DEP_1)
	v_sub_nc_u32_e32 v15, v8, v10
	v_subrev_co_ci_u32_e64 v14, s0, s23, v15, vcc_lo
	v_add_co_u32 v15, s0, v3, 2
	s_delay_alu instid0(VALU_DEP_1) | instskip(SKIP_3) | instid1(VALU_DEP_3)
	v_add_co_ci_u32_e64 v16, s0, 0, v5, s0
	v_sub_co_u32 v17, s0, v12, s22
	v_sub_co_ci_u32_e32 v8, vcc_lo, v8, v10, vcc_lo
	v_subrev_co_ci_u32_e64 v14, s0, 0, v14, s0
	v_cmp_le_u32_e32 vcc_lo, s22, v17
	s_delay_alu instid0(VALU_DEP_3) | instskip(SKIP_1) | instid1(VALU_DEP_4)
	v_cmp_eq_u32_e64 s0, s23, v8
	v_cndmask_b32_e64 v10, 0, -1, vcc_lo
	v_cmp_le_u32_e32 vcc_lo, s23, v14
	v_cndmask_b32_e64 v17, 0, -1, vcc_lo
	v_cmp_le_u32_e32 vcc_lo, s22, v12
	;; [unrolled: 2-line block ×3, first 2 shown]
	v_cndmask_b32_e64 v18, 0, -1, vcc_lo
	v_cmp_eq_u32_e32 vcc_lo, s23, v14
	s_delay_alu instid0(VALU_DEP_2) | instskip(SKIP_3) | instid1(VALU_DEP_3)
	v_cndmask_b32_e64 v8, v18, v12, s0
	v_cndmask_b32_e32 v10, v17, v10, vcc_lo
	v_add_co_u32 v14, vcc_lo, v3, 1
	v_add_co_ci_u32_e32 v17, vcc_lo, 0, v5, vcc_lo
	v_cmp_ne_u32_e32 vcc_lo, 0, v10
	s_delay_alu instid0(VALU_DEP_2) | instskip(NEXT) | instid1(VALU_DEP_4)
	v_cndmask_b32_e32 v10, v17, v16, vcc_lo
	v_cndmask_b32_e32 v12, v14, v15, vcc_lo
	v_cmp_ne_u32_e32 vcc_lo, 0, v8
	v_xor_b32_e32 v8, s20, v20
	s_delay_alu instid0(VALU_DEP_4) | instskip(NEXT) | instid1(VALU_DEP_4)
	v_cndmask_b32_e32 v5, v5, v10, vcc_lo
	v_cndmask_b32_e32 v3, v3, v12, vcc_lo
	v_xor_b32_e32 v10, s21, v20
	s_delay_alu instid0(VALU_DEP_2) | instskip(NEXT) | instid1(VALU_DEP_2)
	v_xor_b32_e32 v3, v3, v8
	v_xor_b32_e32 v5, v5, v10
	s_delay_alu instid0(VALU_DEP_2) | instskip(NEXT) | instid1(VALU_DEP_2)
	v_sub_co_u32 v15, vcc_lo, v3, v8
	v_sub_co_ci_u32_e32 v16, vcc_lo, v5, v10, vcc_lo
.LBB0_38:                               ;   in Loop: Header=BB0_24 Depth=2
	s_and_not1_saveexec_b32 s0, s14
	s_cbranch_execz .LBB0_40
; %bb.39:                               ;   in Loop: Header=BB0_24 Depth=2
	v_cvt_f32_u32_e32 v3, s47
	s_sub_i32 s14, 0, s47
	v_mov_b32_e32 v16, v2
	s_delay_alu instid0(VALU_DEP_2) | instskip(SKIP_2) | instid1(VALU_DEP_1)
	v_rcp_iflag_f32_e32 v3, v3
	s_waitcnt_depctr 0xfff
	v_mul_f32_e32 v3, 0x4f7ffffe, v3
	v_cvt_u32_f32_e32 v3, v3
	s_delay_alu instid0(VALU_DEP_1) | instskip(NEXT) | instid1(VALU_DEP_1)
	v_mul_lo_u32 v5, s14, v3
	v_mul_hi_u32 v5, v3, v5
	s_delay_alu instid0(VALU_DEP_1) | instskip(NEXT) | instid1(VALU_DEP_1)
	v_add_nc_u32_e32 v3, v3, v5
	v_mul_hi_u32 v3, v13, v3
	s_delay_alu instid0(VALU_DEP_1) | instskip(NEXT) | instid1(VALU_DEP_1)
	v_mul_lo_u32 v5, v3, s47
	v_sub_nc_u32_e32 v5, v13, v5
	s_delay_alu instid0(VALU_DEP_1) | instskip(SKIP_1) | instid1(VALU_DEP_2)
	v_subrev_nc_u32_e32 v10, s47, v5
	v_cmp_le_u32_e32 vcc_lo, s47, v5
	v_dual_cndmask_b32 v5, v5, v10 :: v_dual_add_nc_u32 v8, 1, v3
	s_delay_alu instid0(VALU_DEP_1) | instskip(NEXT) | instid1(VALU_DEP_2)
	v_cndmask_b32_e32 v3, v3, v8, vcc_lo
	v_cmp_le_u32_e32 vcc_lo, s47, v5
	s_delay_alu instid0(VALU_DEP_2) | instskip(NEXT) | instid1(VALU_DEP_1)
	v_add_nc_u32_e32 v8, 1, v3
	v_cndmask_b32_e32 v15, v3, v8, vcc_lo
.LBB0_40:                               ;   in Loop: Header=BB0_24 Depth=2
	s_or_b32 exec_lo, exec_lo, s0
	s_add_u32 s20, s30, s18
	s_addc_u32 s21, s1, s19
	s_add_i32 s14, s16, 3
                                        ; implicit-def: $vgpr17_vgpr18
	s_delay_alu instid0(SALU_CYCLE_1)
	s_lshl_b64 s[18:19], s[14:15], 2
	s_mov_b32 s14, exec_lo
	s_add_u32 s22, s26, s18
	s_addc_u32 s23, s27, s19
	s_clause 0x1
	s_load_b32 s49, s[22:23], 0x0
	s_load_b32 s48, s[20:21], 0x0
	s_waitcnt lgkmcnt(0)
	s_ashr_i32 s0, s49, 31
	s_delay_alu instid0(SALU_CYCLE_1) | instskip(NEXT) | instid1(VALU_DEP_1)
	v_or_b32_e32 v3, s0, v16
	v_cmpx_ne_u64_e32 0, v[2:3]
	s_xor_b32 s14, exec_lo, s14
	s_cbranch_execz .LBB0_42
; %bb.41:                               ;   in Loop: Header=BB0_24 Depth=2
	s_add_u32 s22, s49, s0
	s_mov_b32 s20, s0
	s_mov_b32 s21, s0
	s_addc_u32 s23, s0, s0
	v_ashrrev_i32_e32 v22, 31, v16
	s_xor_b64 s[22:23], s[22:23], s[20:21]
	s_delay_alu instid0(SALU_CYCLE_1) | instskip(SKIP_3) | instid1(VALU_DEP_1)
	v_cvt_f32_u32_e32 v3, s22
	v_cvt_f32_u32_e32 v5, s23
	s_sub_u32 s0, 0, s22
	s_subb_u32 s17, 0, s23
	v_fmac_f32_e32 v3, 0x4f800000, v5
	s_delay_alu instid0(VALU_DEP_1) | instskip(SKIP_2) | instid1(VALU_DEP_1)
	v_rcp_f32_e32 v3, v3
	s_waitcnt_depctr 0xfff
	v_mul_f32_e32 v3, 0x5f7ffffc, v3
	v_mul_f32_e32 v5, 0x2f800000, v3
	s_delay_alu instid0(VALU_DEP_1) | instskip(NEXT) | instid1(VALU_DEP_1)
	v_trunc_f32_e32 v5, v5
	v_fmac_f32_e32 v3, 0xcf800000, v5
	v_cvt_u32_f32_e32 v5, v5
	s_delay_alu instid0(VALU_DEP_2) | instskip(NEXT) | instid1(VALU_DEP_2)
	v_cvt_u32_f32_e32 v3, v3
	v_mul_lo_u32 v8, s0, v5
	s_delay_alu instid0(VALU_DEP_2) | instskip(SKIP_1) | instid1(VALU_DEP_2)
	v_mul_hi_u32 v10, s0, v3
	v_mul_lo_u32 v12, s17, v3
	v_add_nc_u32_e32 v8, v10, v8
	v_mul_lo_u32 v10, s0, v3
	s_delay_alu instid0(VALU_DEP_2) | instskip(NEXT) | instid1(VALU_DEP_2)
	v_add_nc_u32_e32 v8, v8, v12
	v_mul_hi_u32 v12, v3, v10
	s_delay_alu instid0(VALU_DEP_2)
	v_mul_lo_u32 v14, v3, v8
	v_mul_hi_u32 v17, v3, v8
	v_mul_hi_u32 v18, v5, v10
	v_mul_lo_u32 v10, v5, v10
	v_mul_hi_u32 v19, v5, v8
	v_mul_lo_u32 v8, v5, v8
	v_add_co_u32 v12, vcc_lo, v12, v14
	v_add_co_ci_u32_e32 v14, vcc_lo, 0, v17, vcc_lo
	s_delay_alu instid0(VALU_DEP_2) | instskip(NEXT) | instid1(VALU_DEP_2)
	v_add_co_u32 v10, vcc_lo, v12, v10
	v_add_co_ci_u32_e32 v10, vcc_lo, v14, v18, vcc_lo
	v_add_co_ci_u32_e32 v12, vcc_lo, 0, v19, vcc_lo
	s_delay_alu instid0(VALU_DEP_2) | instskip(NEXT) | instid1(VALU_DEP_2)
	v_add_co_u32 v8, vcc_lo, v10, v8
	v_add_co_ci_u32_e32 v10, vcc_lo, 0, v12, vcc_lo
	s_delay_alu instid0(VALU_DEP_2) | instskip(NEXT) | instid1(VALU_DEP_2)
	v_add_co_u32 v3, vcc_lo, v3, v8
	v_add_co_ci_u32_e32 v5, vcc_lo, v5, v10, vcc_lo
	s_delay_alu instid0(VALU_DEP_2) | instskip(SKIP_1) | instid1(VALU_DEP_3)
	v_mul_hi_u32 v8, s0, v3
	v_mul_lo_u32 v12, s17, v3
	v_mul_lo_u32 v10, s0, v5
	s_delay_alu instid0(VALU_DEP_1) | instskip(SKIP_1) | instid1(VALU_DEP_2)
	v_add_nc_u32_e32 v8, v8, v10
	v_mul_lo_u32 v10, s0, v3
	v_add_nc_u32_e32 v8, v8, v12
	s_delay_alu instid0(VALU_DEP_2) | instskip(NEXT) | instid1(VALU_DEP_2)
	v_mul_hi_u32 v12, v3, v10
	v_mul_lo_u32 v14, v3, v8
	v_mul_hi_u32 v17, v3, v8
	v_mul_hi_u32 v18, v5, v10
	v_mul_lo_u32 v10, v5, v10
	v_mul_hi_u32 v19, v5, v8
	v_mul_lo_u32 v8, v5, v8
	v_add_co_u32 v12, vcc_lo, v12, v14
	v_add_co_ci_u32_e32 v14, vcc_lo, 0, v17, vcc_lo
	s_delay_alu instid0(VALU_DEP_2) | instskip(NEXT) | instid1(VALU_DEP_2)
	v_add_co_u32 v10, vcc_lo, v12, v10
	v_add_co_ci_u32_e32 v10, vcc_lo, v14, v18, vcc_lo
	v_add_co_ci_u32_e32 v12, vcc_lo, 0, v19, vcc_lo
	v_add_co_u32 v14, vcc_lo, v15, v22
	v_add_co_ci_u32_e32 v16, vcc_lo, v16, v22, vcc_lo
	s_delay_alu instid0(VALU_DEP_4) | instskip(NEXT) | instid1(VALU_DEP_4)
	v_add_co_u32 v8, vcc_lo, v10, v8
	v_add_co_ci_u32_e32 v10, vcc_lo, 0, v12, vcc_lo
	s_delay_alu instid0(VALU_DEP_4) | instskip(NEXT) | instid1(VALU_DEP_3)
	v_xor_b32_e32 v12, v14, v22
	v_add_co_u32 v3, vcc_lo, v3, v8
	s_delay_alu instid0(VALU_DEP_3) | instskip(SKIP_1) | instid1(VALU_DEP_3)
	v_add_co_ci_u32_e32 v5, vcc_lo, v5, v10, vcc_lo
	v_xor_b32_e32 v8, v16, v22
	v_mul_hi_u32 v10, v12, v3
	s_delay_alu instid0(VALU_DEP_3) | instskip(NEXT) | instid1(VALU_DEP_3)
	v_mad_u64_u32 v[16:17], null, v12, v5, 0
	v_mad_u64_u32 v[18:19], null, v8, v3, 0
	v_mad_u64_u32 v[20:21], null, v8, v5, 0
	s_delay_alu instid0(VALU_DEP_3) | instskip(NEXT) | instid1(VALU_DEP_4)
	v_add_co_u32 v3, vcc_lo, v10, v16
	v_add_co_ci_u32_e32 v5, vcc_lo, 0, v17, vcc_lo
	s_delay_alu instid0(VALU_DEP_2) | instskip(NEXT) | instid1(VALU_DEP_2)
	v_add_co_u32 v3, vcc_lo, v3, v18
	v_add_co_ci_u32_e32 v3, vcc_lo, v5, v19, vcc_lo
	v_add_co_ci_u32_e32 v5, vcc_lo, 0, v21, vcc_lo
	s_delay_alu instid0(VALU_DEP_2) | instskip(NEXT) | instid1(VALU_DEP_2)
	v_add_co_u32 v3, vcc_lo, v3, v20
	v_add_co_ci_u32_e32 v5, vcc_lo, 0, v5, vcc_lo
	s_delay_alu instid0(VALU_DEP_2) | instskip(SKIP_1) | instid1(VALU_DEP_3)
	v_mul_lo_u32 v10, s23, v3
	v_mad_u64_u32 v[16:17], null, s22, v3, 0
	v_mul_lo_u32 v14, s22, v5
	s_delay_alu instid0(VALU_DEP_2) | instskip(NEXT) | instid1(VALU_DEP_2)
	v_sub_co_u32 v12, vcc_lo, v12, v16
	v_add3_u32 v10, v17, v14, v10
	s_delay_alu instid0(VALU_DEP_1) | instskip(NEXT) | instid1(VALU_DEP_1)
	v_sub_nc_u32_e32 v14, v8, v10
	v_subrev_co_ci_u32_e64 v14, s0, s23, v14, vcc_lo
	v_add_co_u32 v16, s0, v3, 2
	s_delay_alu instid0(VALU_DEP_1) | instskip(SKIP_3) | instid1(VALU_DEP_3)
	v_add_co_ci_u32_e64 v17, s0, 0, v5, s0
	v_sub_co_u32 v18, s0, v12, s22
	v_sub_co_ci_u32_e32 v8, vcc_lo, v8, v10, vcc_lo
	v_subrev_co_ci_u32_e64 v14, s0, 0, v14, s0
	v_cmp_le_u32_e32 vcc_lo, s22, v18
	s_delay_alu instid0(VALU_DEP_3) | instskip(SKIP_1) | instid1(VALU_DEP_4)
	v_cmp_eq_u32_e64 s0, s23, v8
	v_cndmask_b32_e64 v10, 0, -1, vcc_lo
	v_cmp_le_u32_e32 vcc_lo, s23, v14
	v_cndmask_b32_e64 v18, 0, -1, vcc_lo
	v_cmp_le_u32_e32 vcc_lo, s22, v12
	;; [unrolled: 2-line block ×3, first 2 shown]
	v_cndmask_b32_e64 v19, 0, -1, vcc_lo
	v_cmp_eq_u32_e32 vcc_lo, s23, v14
	s_delay_alu instid0(VALU_DEP_2) | instskip(SKIP_3) | instid1(VALU_DEP_3)
	v_cndmask_b32_e64 v8, v19, v12, s0
	v_cndmask_b32_e32 v10, v18, v10, vcc_lo
	v_add_co_u32 v14, vcc_lo, v3, 1
	v_add_co_ci_u32_e32 v18, vcc_lo, 0, v5, vcc_lo
	v_cmp_ne_u32_e32 vcc_lo, 0, v10
	s_delay_alu instid0(VALU_DEP_2) | instskip(NEXT) | instid1(VALU_DEP_4)
	v_cndmask_b32_e32 v10, v18, v17, vcc_lo
	v_cndmask_b32_e32 v12, v14, v16, vcc_lo
	v_cmp_ne_u32_e32 vcc_lo, 0, v8
	v_xor_b32_e32 v8, s20, v22
	s_delay_alu instid0(VALU_DEP_4) | instskip(NEXT) | instid1(VALU_DEP_4)
	v_cndmask_b32_e32 v5, v5, v10, vcc_lo
	v_cndmask_b32_e32 v3, v3, v12, vcc_lo
	v_xor_b32_e32 v10, s21, v22
	s_delay_alu instid0(VALU_DEP_2) | instskip(NEXT) | instid1(VALU_DEP_2)
	v_xor_b32_e32 v3, v3, v8
	v_xor_b32_e32 v5, v5, v10
	s_delay_alu instid0(VALU_DEP_2) | instskip(NEXT) | instid1(VALU_DEP_2)
	v_sub_co_u32 v17, vcc_lo, v3, v8
	v_sub_co_ci_u32_e32 v18, vcc_lo, v5, v10, vcc_lo
.LBB0_42:                               ;   in Loop: Header=BB0_24 Depth=2
	s_and_not1_saveexec_b32 s0, s14
	s_cbranch_execz .LBB0_44
; %bb.43:                               ;   in Loop: Header=BB0_24 Depth=2
	v_cvt_f32_u32_e32 v3, s49
	s_sub_i32 s14, 0, s49
	v_mov_b32_e32 v18, v2
	s_delay_alu instid0(VALU_DEP_2) | instskip(SKIP_2) | instid1(VALU_DEP_1)
	v_rcp_iflag_f32_e32 v3, v3
	s_waitcnt_depctr 0xfff
	v_mul_f32_e32 v3, 0x4f7ffffe, v3
	v_cvt_u32_f32_e32 v3, v3
	s_delay_alu instid0(VALU_DEP_1) | instskip(NEXT) | instid1(VALU_DEP_1)
	v_mul_lo_u32 v5, s14, v3
	v_mul_hi_u32 v5, v3, v5
	s_delay_alu instid0(VALU_DEP_1) | instskip(NEXT) | instid1(VALU_DEP_1)
	v_add_nc_u32_e32 v3, v3, v5
	v_mul_hi_u32 v3, v15, v3
	s_delay_alu instid0(VALU_DEP_1) | instskip(NEXT) | instid1(VALU_DEP_1)
	v_mul_lo_u32 v5, v3, s49
	v_sub_nc_u32_e32 v5, v15, v5
	s_delay_alu instid0(VALU_DEP_1) | instskip(SKIP_1) | instid1(VALU_DEP_2)
	v_subrev_nc_u32_e32 v10, s49, v5
	v_cmp_le_u32_e32 vcc_lo, s49, v5
	v_dual_cndmask_b32 v5, v5, v10 :: v_dual_add_nc_u32 v8, 1, v3
	s_delay_alu instid0(VALU_DEP_1) | instskip(NEXT) | instid1(VALU_DEP_2)
	v_cndmask_b32_e32 v3, v3, v8, vcc_lo
	v_cmp_le_u32_e32 vcc_lo, s49, v5
	s_delay_alu instid0(VALU_DEP_2) | instskip(NEXT) | instid1(VALU_DEP_1)
	v_add_nc_u32_e32 v8, 1, v3
	v_cndmask_b32_e32 v17, v3, v8, vcc_lo
.LBB0_44:                               ;   in Loop: Header=BB0_24 Depth=2
	s_or_b32 exec_lo, exec_lo, s0
	s_add_u32 s20, s30, s18
	s_addc_u32 s21, s1, s19
	s_add_i32 s14, s16, 2
                                        ; implicit-def: $vgpr19_vgpr20
	s_delay_alu instid0(SALU_CYCLE_1)
	s_lshl_b64 s[18:19], s[14:15], 2
	s_mov_b32 s14, exec_lo
	s_add_u32 s22, s26, s18
	s_addc_u32 s23, s27, s19
	s_clause 0x1
	s_load_b32 s51, s[22:23], 0x0
	s_load_b32 s50, s[20:21], 0x0
	s_waitcnt lgkmcnt(0)
	s_ashr_i32 s0, s51, 31
	s_delay_alu instid0(SALU_CYCLE_1) | instskip(NEXT) | instid1(VALU_DEP_1)
	v_or_b32_e32 v3, s0, v18
	v_cmpx_ne_u64_e32 0, v[2:3]
	s_xor_b32 s14, exec_lo, s14
	s_cbranch_execz .LBB0_46
; %bb.45:                               ;   in Loop: Header=BB0_24 Depth=2
	s_add_u32 s22, s51, s0
	s_mov_b32 s20, s0
	s_mov_b32 s21, s0
	s_addc_u32 s23, s0, s0
	v_ashrrev_i32_e32 v24, 31, v18
	s_xor_b64 s[22:23], s[22:23], s[20:21]
	s_delay_alu instid0(SALU_CYCLE_1) | instskip(SKIP_3) | instid1(VALU_DEP_1)
	v_cvt_f32_u32_e32 v3, s22
	v_cvt_f32_u32_e32 v5, s23
	s_sub_u32 s0, 0, s22
	s_subb_u32 s17, 0, s23
	v_fmac_f32_e32 v3, 0x4f800000, v5
	s_delay_alu instid0(VALU_DEP_1) | instskip(SKIP_2) | instid1(VALU_DEP_1)
	v_rcp_f32_e32 v3, v3
	s_waitcnt_depctr 0xfff
	v_mul_f32_e32 v3, 0x5f7ffffc, v3
	v_mul_f32_e32 v5, 0x2f800000, v3
	s_delay_alu instid0(VALU_DEP_1) | instskip(NEXT) | instid1(VALU_DEP_1)
	v_trunc_f32_e32 v5, v5
	v_fmac_f32_e32 v3, 0xcf800000, v5
	v_cvt_u32_f32_e32 v5, v5
	s_delay_alu instid0(VALU_DEP_2) | instskip(NEXT) | instid1(VALU_DEP_2)
	v_cvt_u32_f32_e32 v3, v3
	v_mul_lo_u32 v8, s0, v5
	s_delay_alu instid0(VALU_DEP_2) | instskip(SKIP_1) | instid1(VALU_DEP_2)
	v_mul_hi_u32 v10, s0, v3
	v_mul_lo_u32 v12, s17, v3
	v_add_nc_u32_e32 v8, v10, v8
	v_mul_lo_u32 v10, s0, v3
	s_delay_alu instid0(VALU_DEP_2) | instskip(NEXT) | instid1(VALU_DEP_2)
	v_add_nc_u32_e32 v8, v8, v12
	v_mul_hi_u32 v12, v3, v10
	s_delay_alu instid0(VALU_DEP_2)
	v_mul_lo_u32 v14, v3, v8
	v_mul_hi_u32 v16, v3, v8
	v_mul_hi_u32 v19, v5, v10
	v_mul_lo_u32 v10, v5, v10
	v_mul_hi_u32 v20, v5, v8
	v_mul_lo_u32 v8, v5, v8
	v_add_co_u32 v12, vcc_lo, v12, v14
	v_add_co_ci_u32_e32 v14, vcc_lo, 0, v16, vcc_lo
	s_delay_alu instid0(VALU_DEP_2) | instskip(NEXT) | instid1(VALU_DEP_2)
	v_add_co_u32 v10, vcc_lo, v12, v10
	v_add_co_ci_u32_e32 v10, vcc_lo, v14, v19, vcc_lo
	v_add_co_ci_u32_e32 v12, vcc_lo, 0, v20, vcc_lo
	s_delay_alu instid0(VALU_DEP_2) | instskip(NEXT) | instid1(VALU_DEP_2)
	v_add_co_u32 v8, vcc_lo, v10, v8
	v_add_co_ci_u32_e32 v10, vcc_lo, 0, v12, vcc_lo
	s_delay_alu instid0(VALU_DEP_2) | instskip(NEXT) | instid1(VALU_DEP_2)
	v_add_co_u32 v3, vcc_lo, v3, v8
	v_add_co_ci_u32_e32 v5, vcc_lo, v5, v10, vcc_lo
	s_delay_alu instid0(VALU_DEP_2) | instskip(SKIP_1) | instid1(VALU_DEP_3)
	v_mul_hi_u32 v8, s0, v3
	v_mul_lo_u32 v12, s17, v3
	v_mul_lo_u32 v10, s0, v5
	s_delay_alu instid0(VALU_DEP_1) | instskip(SKIP_1) | instid1(VALU_DEP_2)
	v_add_nc_u32_e32 v8, v8, v10
	v_mul_lo_u32 v10, s0, v3
	v_add_nc_u32_e32 v8, v8, v12
	s_delay_alu instid0(VALU_DEP_2) | instskip(NEXT) | instid1(VALU_DEP_2)
	v_mul_hi_u32 v12, v3, v10
	v_mul_lo_u32 v14, v3, v8
	v_mul_hi_u32 v16, v3, v8
	v_mul_hi_u32 v19, v5, v10
	v_mul_lo_u32 v10, v5, v10
	v_mul_hi_u32 v20, v5, v8
	v_mul_lo_u32 v8, v5, v8
	v_add_co_u32 v12, vcc_lo, v12, v14
	v_add_co_ci_u32_e32 v14, vcc_lo, 0, v16, vcc_lo
	s_delay_alu instid0(VALU_DEP_2) | instskip(NEXT) | instid1(VALU_DEP_2)
	v_add_co_u32 v10, vcc_lo, v12, v10
	v_add_co_ci_u32_e32 v10, vcc_lo, v14, v19, vcc_lo
	v_add_co_ci_u32_e32 v12, vcc_lo, 0, v20, vcc_lo
	v_add_co_u32 v14, vcc_lo, v17, v24
	v_add_co_ci_u32_e32 v16, vcc_lo, v18, v24, vcc_lo
	s_delay_alu instid0(VALU_DEP_4) | instskip(NEXT) | instid1(VALU_DEP_4)
	v_add_co_u32 v8, vcc_lo, v10, v8
	v_add_co_ci_u32_e32 v10, vcc_lo, 0, v12, vcc_lo
	s_delay_alu instid0(VALU_DEP_4) | instskip(NEXT) | instid1(VALU_DEP_3)
	v_xor_b32_e32 v12, v14, v24
	v_add_co_u32 v3, vcc_lo, v3, v8
	s_delay_alu instid0(VALU_DEP_3) | instskip(SKIP_1) | instid1(VALU_DEP_3)
	v_add_co_ci_u32_e32 v5, vcc_lo, v5, v10, vcc_lo
	v_xor_b32_e32 v8, v16, v24
	v_mul_hi_u32 v10, v12, v3
	s_delay_alu instid0(VALU_DEP_3) | instskip(NEXT) | instid1(VALU_DEP_3)
	v_mad_u64_u32 v[18:19], null, v12, v5, 0
	v_mad_u64_u32 v[20:21], null, v8, v3, 0
	;; [unrolled: 1-line block ×3, first 2 shown]
	s_delay_alu instid0(VALU_DEP_3) | instskip(NEXT) | instid1(VALU_DEP_4)
	v_add_co_u32 v3, vcc_lo, v10, v18
	v_add_co_ci_u32_e32 v5, vcc_lo, 0, v19, vcc_lo
	s_delay_alu instid0(VALU_DEP_2) | instskip(NEXT) | instid1(VALU_DEP_2)
	v_add_co_u32 v3, vcc_lo, v3, v20
	v_add_co_ci_u32_e32 v3, vcc_lo, v5, v21, vcc_lo
	v_add_co_ci_u32_e32 v5, vcc_lo, 0, v23, vcc_lo
	s_delay_alu instid0(VALU_DEP_2) | instskip(NEXT) | instid1(VALU_DEP_2)
	v_add_co_u32 v3, vcc_lo, v3, v22
	v_add_co_ci_u32_e32 v5, vcc_lo, 0, v5, vcc_lo
	s_delay_alu instid0(VALU_DEP_2) | instskip(SKIP_1) | instid1(VALU_DEP_3)
	v_mul_lo_u32 v10, s23, v3
	v_mad_u64_u32 v[18:19], null, s22, v3, 0
	v_mul_lo_u32 v14, s22, v5
	s_delay_alu instid0(VALU_DEP_2) | instskip(NEXT) | instid1(VALU_DEP_2)
	v_sub_co_u32 v12, vcc_lo, v12, v18
	v_add3_u32 v10, v19, v14, v10
	s_delay_alu instid0(VALU_DEP_1) | instskip(NEXT) | instid1(VALU_DEP_1)
	v_sub_nc_u32_e32 v14, v8, v10
	v_subrev_co_ci_u32_e64 v14, s0, s23, v14, vcc_lo
	v_add_co_u32 v16, s0, v3, 2
	s_delay_alu instid0(VALU_DEP_1) | instskip(SKIP_3) | instid1(VALU_DEP_3)
	v_add_co_ci_u32_e64 v18, s0, 0, v5, s0
	v_sub_co_u32 v19, s0, v12, s22
	v_sub_co_ci_u32_e32 v8, vcc_lo, v8, v10, vcc_lo
	v_subrev_co_ci_u32_e64 v14, s0, 0, v14, s0
	v_cmp_le_u32_e32 vcc_lo, s22, v19
	s_delay_alu instid0(VALU_DEP_3) | instskip(SKIP_1) | instid1(VALU_DEP_4)
	v_cmp_eq_u32_e64 s0, s23, v8
	v_cndmask_b32_e64 v10, 0, -1, vcc_lo
	v_cmp_le_u32_e32 vcc_lo, s23, v14
	v_cndmask_b32_e64 v19, 0, -1, vcc_lo
	v_cmp_le_u32_e32 vcc_lo, s22, v12
	;; [unrolled: 2-line block ×3, first 2 shown]
	v_cndmask_b32_e64 v20, 0, -1, vcc_lo
	v_cmp_eq_u32_e32 vcc_lo, s23, v14
	s_delay_alu instid0(VALU_DEP_2) | instskip(SKIP_3) | instid1(VALU_DEP_3)
	v_cndmask_b32_e64 v8, v20, v12, s0
	v_cndmask_b32_e32 v10, v19, v10, vcc_lo
	v_add_co_u32 v14, vcc_lo, v3, 1
	v_add_co_ci_u32_e32 v19, vcc_lo, 0, v5, vcc_lo
	v_cmp_ne_u32_e32 vcc_lo, 0, v10
	s_delay_alu instid0(VALU_DEP_2) | instskip(NEXT) | instid1(VALU_DEP_4)
	v_cndmask_b32_e32 v10, v19, v18, vcc_lo
	v_cndmask_b32_e32 v12, v14, v16, vcc_lo
	v_cmp_ne_u32_e32 vcc_lo, 0, v8
	v_xor_b32_e32 v8, s20, v24
	s_delay_alu instid0(VALU_DEP_4) | instskip(NEXT) | instid1(VALU_DEP_4)
	v_cndmask_b32_e32 v5, v5, v10, vcc_lo
	v_cndmask_b32_e32 v3, v3, v12, vcc_lo
	v_xor_b32_e32 v10, s21, v24
	s_delay_alu instid0(VALU_DEP_2) | instskip(NEXT) | instid1(VALU_DEP_2)
	v_xor_b32_e32 v3, v3, v8
	v_xor_b32_e32 v5, v5, v10
	s_delay_alu instid0(VALU_DEP_2) | instskip(NEXT) | instid1(VALU_DEP_2)
	v_sub_co_u32 v19, vcc_lo, v3, v8
	v_sub_co_ci_u32_e32 v20, vcc_lo, v5, v10, vcc_lo
.LBB0_46:                               ;   in Loop: Header=BB0_24 Depth=2
	s_and_not1_saveexec_b32 s0, s14
	s_cbranch_execz .LBB0_48
; %bb.47:                               ;   in Loop: Header=BB0_24 Depth=2
	v_cvt_f32_u32_e32 v3, s51
	s_sub_i32 s14, 0, s51
	v_mov_b32_e32 v20, v2
	s_delay_alu instid0(VALU_DEP_2) | instskip(SKIP_2) | instid1(VALU_DEP_1)
	v_rcp_iflag_f32_e32 v3, v3
	s_waitcnt_depctr 0xfff
	v_mul_f32_e32 v3, 0x4f7ffffe, v3
	v_cvt_u32_f32_e32 v3, v3
	s_delay_alu instid0(VALU_DEP_1) | instskip(NEXT) | instid1(VALU_DEP_1)
	v_mul_lo_u32 v5, s14, v3
	v_mul_hi_u32 v5, v3, v5
	s_delay_alu instid0(VALU_DEP_1) | instskip(NEXT) | instid1(VALU_DEP_1)
	v_add_nc_u32_e32 v3, v3, v5
	v_mul_hi_u32 v3, v17, v3
	s_delay_alu instid0(VALU_DEP_1) | instskip(NEXT) | instid1(VALU_DEP_1)
	v_mul_lo_u32 v5, v3, s51
	v_sub_nc_u32_e32 v5, v17, v5
	s_delay_alu instid0(VALU_DEP_1) | instskip(SKIP_1) | instid1(VALU_DEP_2)
	v_subrev_nc_u32_e32 v10, s51, v5
	v_cmp_le_u32_e32 vcc_lo, s51, v5
	v_dual_cndmask_b32 v5, v5, v10 :: v_dual_add_nc_u32 v8, 1, v3
	s_delay_alu instid0(VALU_DEP_1) | instskip(NEXT) | instid1(VALU_DEP_2)
	v_cndmask_b32_e32 v3, v3, v8, vcc_lo
	v_cmp_le_u32_e32 vcc_lo, s51, v5
	s_delay_alu instid0(VALU_DEP_2) | instskip(NEXT) | instid1(VALU_DEP_1)
	v_add_nc_u32_e32 v8, 1, v3
	v_cndmask_b32_e32 v19, v3, v8, vcc_lo
.LBB0_48:                               ;   in Loop: Header=BB0_24 Depth=2
	s_or_b32 exec_lo, exec_lo, s0
	s_add_u32 s20, s30, s18
	s_addc_u32 s21, s1, s19
	s_add_i32 s14, s16, 1
	s_mov_b32 s17, exec_lo
	s_lshl_b64 s[18:19], s[14:15], 2
                                        ; implicit-def: $vgpr21_vgpr22
	s_delay_alu instid0(SALU_CYCLE_1)
	s_add_u32 s22, s26, s18
	s_addc_u32 s23, s27, s19
	s_clause 0x1
	s_load_b32 s52, s[22:23], 0x0
	s_load_b32 s14, s[20:21], 0x0
	s_waitcnt lgkmcnt(0)
	s_ashr_i32 s0, s52, 31
	s_delay_alu instid0(SALU_CYCLE_1) | instskip(NEXT) | instid1(VALU_DEP_1)
	v_or_b32_e32 v3, s0, v20
	v_cmpx_ne_u64_e32 0, v[2:3]
	s_xor_b32 s17, exec_lo, s17
	s_cbranch_execz .LBB0_50
; %bb.49:                               ;   in Loop: Header=BB0_24 Depth=2
	s_add_u32 s22, s52, s0
	s_mov_b32 s20, s0
	s_mov_b32 s21, s0
	s_addc_u32 s23, s0, s0
	s_delay_alu instid0(SALU_CYCLE_1) | instskip(NEXT) | instid1(SALU_CYCLE_1)
	s_xor_b64 s[22:23], s[22:23], s[20:21]
	v_cvt_f32_u32_e32 v3, s22
	v_cvt_f32_u32_e32 v5, s23
	s_sub_u32 s0, 0, s22
	s_subb_u32 s53, 0, s23
	s_delay_alu instid0(VALU_DEP_1) | instskip(NEXT) | instid1(VALU_DEP_1)
	v_fmac_f32_e32 v3, 0x4f800000, v5
	v_rcp_f32_e32 v3, v3
	s_waitcnt_depctr 0xfff
	v_mul_f32_e32 v3, 0x5f7ffffc, v3
	s_delay_alu instid0(VALU_DEP_1) | instskip(NEXT) | instid1(VALU_DEP_1)
	v_mul_f32_e32 v5, 0x2f800000, v3
	v_trunc_f32_e32 v5, v5
	s_delay_alu instid0(VALU_DEP_1) | instskip(SKIP_1) | instid1(VALU_DEP_2)
	v_fmac_f32_e32 v3, 0xcf800000, v5
	v_cvt_u32_f32_e32 v5, v5
	v_cvt_u32_f32_e32 v3, v3
	s_delay_alu instid0(VALU_DEP_2) | instskip(NEXT) | instid1(VALU_DEP_2)
	v_mul_lo_u32 v8, s0, v5
	v_mul_hi_u32 v10, s0, v3
	v_mul_lo_u32 v12, s53, v3
	s_delay_alu instid0(VALU_DEP_2) | instskip(SKIP_1) | instid1(VALU_DEP_2)
	v_add_nc_u32_e32 v8, v10, v8
	v_mul_lo_u32 v10, s0, v3
	v_add_nc_u32_e32 v8, v8, v12
	s_delay_alu instid0(VALU_DEP_2) | instskip(NEXT) | instid1(VALU_DEP_2)
	v_mul_hi_u32 v12, v3, v10
	v_mul_lo_u32 v14, v3, v8
	v_mul_hi_u32 v16, v3, v8
	v_mul_hi_u32 v18, v5, v10
	v_mul_lo_u32 v10, v5, v10
	v_mul_hi_u32 v21, v5, v8
	v_mul_lo_u32 v8, v5, v8
	v_add_co_u32 v12, vcc_lo, v12, v14
	v_add_co_ci_u32_e32 v14, vcc_lo, 0, v16, vcc_lo
	s_delay_alu instid0(VALU_DEP_2) | instskip(NEXT) | instid1(VALU_DEP_2)
	v_add_co_u32 v10, vcc_lo, v12, v10
	v_add_co_ci_u32_e32 v10, vcc_lo, v14, v18, vcc_lo
	v_add_co_ci_u32_e32 v12, vcc_lo, 0, v21, vcc_lo
	v_ashrrev_i32_e32 v18, 31, v20
	s_delay_alu instid0(VALU_DEP_3) | instskip(NEXT) | instid1(VALU_DEP_3)
	v_add_co_u32 v8, vcc_lo, v10, v8
	v_add_co_ci_u32_e32 v10, vcc_lo, 0, v12, vcc_lo
	s_delay_alu instid0(VALU_DEP_2) | instskip(NEXT) | instid1(VALU_DEP_2)
	v_add_co_u32 v3, vcc_lo, v3, v8
	v_add_co_ci_u32_e32 v5, vcc_lo, v5, v10, vcc_lo
	s_delay_alu instid0(VALU_DEP_2) | instskip(SKIP_1) | instid1(VALU_DEP_3)
	v_mul_hi_u32 v8, s0, v3
	v_mul_lo_u32 v12, s53, v3
	v_mul_lo_u32 v10, s0, v5
	s_delay_alu instid0(VALU_DEP_1) | instskip(SKIP_1) | instid1(VALU_DEP_2)
	v_add_nc_u32_e32 v8, v8, v10
	v_mul_lo_u32 v10, s0, v3
	v_add_nc_u32_e32 v8, v8, v12
	s_delay_alu instid0(VALU_DEP_2) | instskip(NEXT) | instid1(VALU_DEP_2)
	v_mul_hi_u32 v12, v3, v10
	v_mul_lo_u32 v14, v3, v8
	v_mul_hi_u32 v16, v3, v8
	v_mul_hi_u32 v21, v5, v10
	v_mul_lo_u32 v10, v5, v10
	v_mul_hi_u32 v22, v5, v8
	v_mul_lo_u32 v8, v5, v8
	v_add_co_u32 v12, vcc_lo, v12, v14
	v_add_co_ci_u32_e32 v14, vcc_lo, 0, v16, vcc_lo
	s_delay_alu instid0(VALU_DEP_2) | instskip(NEXT) | instid1(VALU_DEP_2)
	v_add_co_u32 v10, vcc_lo, v12, v10
	v_add_co_ci_u32_e32 v10, vcc_lo, v14, v21, vcc_lo
	v_add_co_ci_u32_e32 v12, vcc_lo, 0, v22, vcc_lo
	v_add_co_u32 v14, vcc_lo, v19, v18
	v_add_co_ci_u32_e32 v16, vcc_lo, v20, v18, vcc_lo
	s_delay_alu instid0(VALU_DEP_4) | instskip(NEXT) | instid1(VALU_DEP_4)
	v_add_co_u32 v8, vcc_lo, v10, v8
	v_add_co_ci_u32_e32 v10, vcc_lo, 0, v12, vcc_lo
	s_delay_alu instid0(VALU_DEP_4) | instskip(NEXT) | instid1(VALU_DEP_3)
	v_xor_b32_e32 v12, v14, v18
	v_add_co_u32 v3, vcc_lo, v3, v8
	s_delay_alu instid0(VALU_DEP_3) | instskip(SKIP_1) | instid1(VALU_DEP_3)
	v_add_co_ci_u32_e32 v5, vcc_lo, v5, v10, vcc_lo
	v_xor_b32_e32 v8, v16, v18
	v_mul_hi_u32 v10, v12, v3
	s_delay_alu instid0(VALU_DEP_3) | instskip(NEXT) | instid1(VALU_DEP_3)
	v_mad_u64_u32 v[20:21], null, v12, v5, 0
	v_mad_u64_u32 v[22:23], null, v8, v3, 0
	;; [unrolled: 1-line block ×3, first 2 shown]
	s_delay_alu instid0(VALU_DEP_3) | instskip(NEXT) | instid1(VALU_DEP_4)
	v_add_co_u32 v3, vcc_lo, v10, v20
	v_add_co_ci_u32_e32 v5, vcc_lo, 0, v21, vcc_lo
	s_delay_alu instid0(VALU_DEP_2) | instskip(NEXT) | instid1(VALU_DEP_2)
	v_add_co_u32 v3, vcc_lo, v3, v22
	v_add_co_ci_u32_e32 v3, vcc_lo, v5, v23, vcc_lo
	v_add_co_ci_u32_e32 v5, vcc_lo, 0, v29, vcc_lo
	s_delay_alu instid0(VALU_DEP_2) | instskip(NEXT) | instid1(VALU_DEP_2)
	v_add_co_u32 v3, vcc_lo, v3, v28
	v_add_co_ci_u32_e32 v5, vcc_lo, 0, v5, vcc_lo
	s_delay_alu instid0(VALU_DEP_2) | instskip(SKIP_1) | instid1(VALU_DEP_3)
	v_mul_lo_u32 v10, s23, v3
	v_mad_u64_u32 v[20:21], null, s22, v3, 0
	v_mul_lo_u32 v14, s22, v5
	s_delay_alu instid0(VALU_DEP_2) | instskip(NEXT) | instid1(VALU_DEP_2)
	v_sub_co_u32 v12, vcc_lo, v12, v20
	v_add3_u32 v10, v21, v14, v10
	s_delay_alu instid0(VALU_DEP_1) | instskip(NEXT) | instid1(VALU_DEP_1)
	v_sub_nc_u32_e32 v14, v8, v10
	v_subrev_co_ci_u32_e64 v14, s0, s23, v14, vcc_lo
	v_add_co_u32 v16, s0, v3, 2
	s_delay_alu instid0(VALU_DEP_1) | instskip(SKIP_3) | instid1(VALU_DEP_3)
	v_add_co_ci_u32_e64 v20, s0, 0, v5, s0
	v_sub_co_u32 v21, s0, v12, s22
	v_sub_co_ci_u32_e32 v8, vcc_lo, v8, v10, vcc_lo
	v_subrev_co_ci_u32_e64 v14, s0, 0, v14, s0
	v_cmp_le_u32_e32 vcc_lo, s22, v21
	s_delay_alu instid0(VALU_DEP_3) | instskip(SKIP_1) | instid1(VALU_DEP_4)
	v_cmp_eq_u32_e64 s0, s23, v8
	v_cndmask_b32_e64 v10, 0, -1, vcc_lo
	v_cmp_le_u32_e32 vcc_lo, s23, v14
	v_cndmask_b32_e64 v21, 0, -1, vcc_lo
	v_cmp_le_u32_e32 vcc_lo, s22, v12
	;; [unrolled: 2-line block ×3, first 2 shown]
	v_cndmask_b32_e64 v22, 0, -1, vcc_lo
	v_cmp_eq_u32_e32 vcc_lo, s23, v14
	s_delay_alu instid0(VALU_DEP_2) | instskip(SKIP_3) | instid1(VALU_DEP_3)
	v_cndmask_b32_e64 v8, v22, v12, s0
	v_cndmask_b32_e32 v10, v21, v10, vcc_lo
	v_add_co_u32 v14, vcc_lo, v3, 1
	v_add_co_ci_u32_e32 v21, vcc_lo, 0, v5, vcc_lo
	v_cmp_ne_u32_e32 vcc_lo, 0, v10
	s_delay_alu instid0(VALU_DEP_2) | instskip(NEXT) | instid1(VALU_DEP_4)
	v_cndmask_b32_e32 v10, v21, v20, vcc_lo
	v_cndmask_b32_e32 v12, v14, v16, vcc_lo
	v_cmp_ne_u32_e32 vcc_lo, 0, v8
	v_xor_b32_e32 v8, s20, v18
	s_delay_alu instid0(VALU_DEP_4) | instskip(NEXT) | instid1(VALU_DEP_4)
	v_cndmask_b32_e32 v5, v5, v10, vcc_lo
	v_cndmask_b32_e32 v3, v3, v12, vcc_lo
	v_xor_b32_e32 v10, s21, v18
	s_delay_alu instid0(VALU_DEP_2) | instskip(NEXT) | instid1(VALU_DEP_2)
	v_xor_b32_e32 v3, v3, v8
	v_xor_b32_e32 v5, v5, v10
	s_delay_alu instid0(VALU_DEP_2) | instskip(NEXT) | instid1(VALU_DEP_2)
	v_sub_co_u32 v21, vcc_lo, v3, v8
	v_sub_co_ci_u32_e32 v22, vcc_lo, v5, v10, vcc_lo
.LBB0_50:                               ;   in Loop: Header=BB0_24 Depth=2
	s_and_not1_saveexec_b32 s0, s17
	s_cbranch_execz .LBB0_52
; %bb.51:                               ;   in Loop: Header=BB0_24 Depth=2
	v_cvt_f32_u32_e32 v3, s52
	s_sub_i32 s17, 0, s52
	v_mov_b32_e32 v22, v2
	s_delay_alu instid0(VALU_DEP_2) | instskip(SKIP_2) | instid1(VALU_DEP_1)
	v_rcp_iflag_f32_e32 v3, v3
	s_waitcnt_depctr 0xfff
	v_mul_f32_e32 v3, 0x4f7ffffe, v3
	v_cvt_u32_f32_e32 v3, v3
	s_delay_alu instid0(VALU_DEP_1) | instskip(NEXT) | instid1(VALU_DEP_1)
	v_mul_lo_u32 v5, s17, v3
	v_mul_hi_u32 v5, v3, v5
	s_delay_alu instid0(VALU_DEP_1) | instskip(NEXT) | instid1(VALU_DEP_1)
	v_add_nc_u32_e32 v3, v3, v5
	v_mul_hi_u32 v3, v19, v3
	s_delay_alu instid0(VALU_DEP_1) | instskip(NEXT) | instid1(VALU_DEP_1)
	v_mul_lo_u32 v5, v3, s52
	v_sub_nc_u32_e32 v5, v19, v5
	s_delay_alu instid0(VALU_DEP_1) | instskip(SKIP_1) | instid1(VALU_DEP_2)
	v_subrev_nc_u32_e32 v10, s52, v5
	v_cmp_le_u32_e32 vcc_lo, s52, v5
	v_dual_cndmask_b32 v5, v5, v10 :: v_dual_add_nc_u32 v8, 1, v3
	s_delay_alu instid0(VALU_DEP_1) | instskip(NEXT) | instid1(VALU_DEP_2)
	v_cndmask_b32_e32 v3, v3, v8, vcc_lo
	v_cmp_le_u32_e32 vcc_lo, s52, v5
	s_delay_alu instid0(VALU_DEP_2) | instskip(NEXT) | instid1(VALU_DEP_1)
	v_add_nc_u32_e32 v8, 1, v3
	v_cndmask_b32_e32 v21, v3, v8, vcc_lo
.LBB0_52:                               ;   in Loop: Header=BB0_24 Depth=2
	s_or_b32 exec_lo, exec_lo, s0
	s_mov_b32 s17, s15
	s_add_u32 s20, s30, s18
	s_addc_u32 s21, s1, s19
	s_lshl_b64 s[18:19], s[16:17], 2
                                        ; implicit-def: $vgpr23_vgpr24
	s_delay_alu instid0(SALU_CYCLE_1)
	s_add_u32 s22, s26, s18
	s_addc_u32 s23, s27, s19
	s_clause 0x1
	s_load_b32 s53, s[22:23], 0x0
	s_load_b32 s17, s[20:21], 0x0
	s_mov_b32 s20, exec_lo
	s_waitcnt lgkmcnt(0)
	s_ashr_i32 s0, s53, 31
	s_delay_alu instid0(SALU_CYCLE_1) | instskip(NEXT) | instid1(VALU_DEP_1)
	v_or_b32_e32 v3, s0, v22
	v_cmpx_ne_u64_e32 0, v[2:3]
	s_xor_b32 s54, exec_lo, s20
	s_cbranch_execz .LBB0_54
; %bb.53:                               ;   in Loop: Header=BB0_24 Depth=2
	s_add_u32 s22, s53, s0
	s_mov_b32 s20, s0
	s_mov_b32 s21, s0
	s_addc_u32 s23, s0, s0
	s_delay_alu instid0(SALU_CYCLE_1) | instskip(NEXT) | instid1(SALU_CYCLE_1)
	s_xor_b64 s[22:23], s[22:23], s[20:21]
	v_cvt_f32_u32_e32 v3, s22
	v_cvt_f32_u32_e32 v5, s23
	s_sub_u32 s0, 0, s22
	s_subb_u32 s55, 0, s23
	s_delay_alu instid0(VALU_DEP_1) | instskip(NEXT) | instid1(VALU_DEP_1)
	v_fmac_f32_e32 v3, 0x4f800000, v5
	v_rcp_f32_e32 v3, v3
	s_waitcnt_depctr 0xfff
	v_mul_f32_e32 v3, 0x5f7ffffc, v3
	s_delay_alu instid0(VALU_DEP_1) | instskip(NEXT) | instid1(VALU_DEP_1)
	v_mul_f32_e32 v5, 0x2f800000, v3
	v_trunc_f32_e32 v5, v5
	s_delay_alu instid0(VALU_DEP_1) | instskip(SKIP_1) | instid1(VALU_DEP_2)
	v_fmac_f32_e32 v3, 0xcf800000, v5
	v_cvt_u32_f32_e32 v5, v5
	v_cvt_u32_f32_e32 v3, v3
	s_delay_alu instid0(VALU_DEP_2) | instskip(NEXT) | instid1(VALU_DEP_2)
	v_mul_lo_u32 v8, s0, v5
	v_mul_hi_u32 v10, s0, v3
	v_mul_lo_u32 v12, s55, v3
	s_delay_alu instid0(VALU_DEP_2) | instskip(SKIP_1) | instid1(VALU_DEP_2)
	v_add_nc_u32_e32 v8, v10, v8
	v_mul_lo_u32 v10, s0, v3
	v_add_nc_u32_e32 v8, v8, v12
	s_delay_alu instid0(VALU_DEP_2) | instskip(NEXT) | instid1(VALU_DEP_2)
	v_mul_hi_u32 v12, v3, v10
	v_mul_lo_u32 v14, v3, v8
	v_mul_hi_u32 v16, v3, v8
	v_mul_hi_u32 v18, v5, v10
	v_mul_lo_u32 v10, v5, v10
	v_mul_hi_u32 v20, v5, v8
	v_mul_lo_u32 v8, v5, v8
	v_add_co_u32 v12, vcc_lo, v12, v14
	v_add_co_ci_u32_e32 v14, vcc_lo, 0, v16, vcc_lo
	s_delay_alu instid0(VALU_DEP_2) | instskip(NEXT) | instid1(VALU_DEP_2)
	v_add_co_u32 v10, vcc_lo, v12, v10
	v_add_co_ci_u32_e32 v10, vcc_lo, v14, v18, vcc_lo
	v_add_co_ci_u32_e32 v12, vcc_lo, 0, v20, vcc_lo
	v_ashrrev_i32_e32 v18, 31, v22
	s_delay_alu instid0(VALU_DEP_3) | instskip(NEXT) | instid1(VALU_DEP_3)
	v_add_co_u32 v8, vcc_lo, v10, v8
	v_add_co_ci_u32_e32 v10, vcc_lo, 0, v12, vcc_lo
	s_delay_alu instid0(VALU_DEP_2) | instskip(NEXT) | instid1(VALU_DEP_2)
	v_add_co_u32 v3, vcc_lo, v3, v8
	v_add_co_ci_u32_e32 v5, vcc_lo, v5, v10, vcc_lo
	s_delay_alu instid0(VALU_DEP_2) | instskip(SKIP_1) | instid1(VALU_DEP_3)
	v_mul_hi_u32 v8, s0, v3
	v_mul_lo_u32 v12, s55, v3
	v_mul_lo_u32 v10, s0, v5
	s_delay_alu instid0(VALU_DEP_1) | instskip(SKIP_1) | instid1(VALU_DEP_2)
	v_add_nc_u32_e32 v8, v8, v10
	v_mul_lo_u32 v10, s0, v3
	v_add_nc_u32_e32 v8, v8, v12
	s_delay_alu instid0(VALU_DEP_2) | instskip(NEXT) | instid1(VALU_DEP_2)
	v_mul_hi_u32 v12, v3, v10
	v_mul_lo_u32 v14, v3, v8
	v_mul_hi_u32 v16, v3, v8
	v_mul_hi_u32 v20, v5, v10
	v_mul_lo_u32 v10, v5, v10
	v_mul_hi_u32 v23, v5, v8
	v_mul_lo_u32 v8, v5, v8
	v_add_co_u32 v12, vcc_lo, v12, v14
	v_add_co_ci_u32_e32 v14, vcc_lo, 0, v16, vcc_lo
	s_delay_alu instid0(VALU_DEP_2) | instskip(NEXT) | instid1(VALU_DEP_2)
	v_add_co_u32 v10, vcc_lo, v12, v10
	v_add_co_ci_u32_e32 v10, vcc_lo, v14, v20, vcc_lo
	v_add_co_ci_u32_e32 v12, vcc_lo, 0, v23, vcc_lo
	v_add_co_u32 v14, vcc_lo, v21, v18
	v_add_co_ci_u32_e32 v16, vcc_lo, v22, v18, vcc_lo
	s_delay_alu instid0(VALU_DEP_4) | instskip(NEXT) | instid1(VALU_DEP_4)
	v_add_co_u32 v8, vcc_lo, v10, v8
	v_add_co_ci_u32_e32 v10, vcc_lo, 0, v12, vcc_lo
	s_delay_alu instid0(VALU_DEP_4) | instskip(NEXT) | instid1(VALU_DEP_3)
	v_xor_b32_e32 v12, v14, v18
	v_add_co_u32 v3, vcc_lo, v3, v8
	s_delay_alu instid0(VALU_DEP_3) | instskip(SKIP_1) | instid1(VALU_DEP_3)
	v_add_co_ci_u32_e32 v5, vcc_lo, v5, v10, vcc_lo
	v_xor_b32_e32 v8, v16, v18
	v_mul_hi_u32 v10, v12, v3
	s_delay_alu instid0(VALU_DEP_3) | instskip(NEXT) | instid1(VALU_DEP_3)
	v_mad_u64_u32 v[22:23], null, v12, v5, 0
	v_mad_u64_u32 v[28:29], null, v8, v3, 0
	;; [unrolled: 1-line block ×3, first 2 shown]
	s_delay_alu instid0(VALU_DEP_3) | instskip(NEXT) | instid1(VALU_DEP_4)
	v_add_co_u32 v3, vcc_lo, v10, v22
	v_add_co_ci_u32_e32 v5, vcc_lo, 0, v23, vcc_lo
	s_delay_alu instid0(VALU_DEP_2) | instskip(NEXT) | instid1(VALU_DEP_2)
	v_add_co_u32 v3, vcc_lo, v3, v28
	v_add_co_ci_u32_e32 v3, vcc_lo, v5, v29, vcc_lo
	v_add_co_ci_u32_e32 v5, vcc_lo, 0, v31, vcc_lo
	s_delay_alu instid0(VALU_DEP_2) | instskip(NEXT) | instid1(VALU_DEP_2)
	v_add_co_u32 v3, vcc_lo, v3, v30
	v_add_co_ci_u32_e32 v5, vcc_lo, 0, v5, vcc_lo
	s_delay_alu instid0(VALU_DEP_2) | instskip(SKIP_1) | instid1(VALU_DEP_3)
	v_mul_lo_u32 v10, s23, v3
	v_mad_u64_u32 v[22:23], null, s22, v3, 0
	v_mul_lo_u32 v14, s22, v5
	s_delay_alu instid0(VALU_DEP_2) | instskip(NEXT) | instid1(VALU_DEP_2)
	v_sub_co_u32 v12, vcc_lo, v12, v22
	v_add3_u32 v10, v23, v14, v10
	s_delay_alu instid0(VALU_DEP_1) | instskip(NEXT) | instid1(VALU_DEP_1)
	v_sub_nc_u32_e32 v14, v8, v10
	v_subrev_co_ci_u32_e64 v14, s0, s23, v14, vcc_lo
	v_add_co_u32 v16, s0, v3, 2
	s_delay_alu instid0(VALU_DEP_1) | instskip(SKIP_3) | instid1(VALU_DEP_3)
	v_add_co_ci_u32_e64 v20, s0, 0, v5, s0
	v_sub_co_u32 v22, s0, v12, s22
	v_sub_co_ci_u32_e32 v8, vcc_lo, v8, v10, vcc_lo
	v_subrev_co_ci_u32_e64 v14, s0, 0, v14, s0
	v_cmp_le_u32_e32 vcc_lo, s22, v22
	s_delay_alu instid0(VALU_DEP_3) | instskip(SKIP_1) | instid1(VALU_DEP_4)
	v_cmp_eq_u32_e64 s0, s23, v8
	v_cndmask_b32_e64 v10, 0, -1, vcc_lo
	v_cmp_le_u32_e32 vcc_lo, s23, v14
	v_cndmask_b32_e64 v22, 0, -1, vcc_lo
	v_cmp_le_u32_e32 vcc_lo, s22, v12
	;; [unrolled: 2-line block ×3, first 2 shown]
	v_cndmask_b32_e64 v23, 0, -1, vcc_lo
	v_cmp_eq_u32_e32 vcc_lo, s23, v14
	s_delay_alu instid0(VALU_DEP_2) | instskip(SKIP_3) | instid1(VALU_DEP_3)
	v_cndmask_b32_e64 v8, v23, v12, s0
	v_cndmask_b32_e32 v10, v22, v10, vcc_lo
	v_add_co_u32 v14, vcc_lo, v3, 1
	v_add_co_ci_u32_e32 v22, vcc_lo, 0, v5, vcc_lo
	v_cmp_ne_u32_e32 vcc_lo, 0, v10
	s_delay_alu instid0(VALU_DEP_2) | instskip(NEXT) | instid1(VALU_DEP_4)
	v_cndmask_b32_e32 v10, v22, v20, vcc_lo
	v_cndmask_b32_e32 v12, v14, v16, vcc_lo
	v_cmp_ne_u32_e32 vcc_lo, 0, v8
	v_xor_b32_e32 v8, s20, v18
	s_delay_alu instid0(VALU_DEP_4) | instskip(NEXT) | instid1(VALU_DEP_4)
	v_cndmask_b32_e32 v5, v5, v10, vcc_lo
	v_cndmask_b32_e32 v3, v3, v12, vcc_lo
	v_xor_b32_e32 v10, s21, v18
	s_delay_alu instid0(VALU_DEP_2) | instskip(NEXT) | instid1(VALU_DEP_2)
	v_xor_b32_e32 v3, v3, v8
	v_xor_b32_e32 v5, v5, v10
	s_delay_alu instid0(VALU_DEP_2) | instskip(NEXT) | instid1(VALU_DEP_2)
	v_sub_co_u32 v23, vcc_lo, v3, v8
	v_sub_co_ci_u32_e32 v24, vcc_lo, v5, v10, vcc_lo
.LBB0_54:                               ;   in Loop: Header=BB0_24 Depth=2
	s_and_not1_saveexec_b32 s0, s54
	s_cbranch_execz .LBB0_56
; %bb.55:                               ;   in Loop: Header=BB0_24 Depth=2
	v_cvt_f32_u32_e32 v3, s53
	s_sub_i32 s20, 0, s53
	v_mov_b32_e32 v24, v2
	s_delay_alu instid0(VALU_DEP_2) | instskip(SKIP_2) | instid1(VALU_DEP_1)
	v_rcp_iflag_f32_e32 v3, v3
	s_waitcnt_depctr 0xfff
	v_mul_f32_e32 v3, 0x4f7ffffe, v3
	v_cvt_u32_f32_e32 v3, v3
	s_delay_alu instid0(VALU_DEP_1) | instskip(NEXT) | instid1(VALU_DEP_1)
	v_mul_lo_u32 v5, s20, v3
	v_mul_hi_u32 v5, v3, v5
	s_delay_alu instid0(VALU_DEP_1) | instskip(NEXT) | instid1(VALU_DEP_1)
	v_add_nc_u32_e32 v3, v3, v5
	v_mul_hi_u32 v3, v21, v3
	s_delay_alu instid0(VALU_DEP_1) | instskip(NEXT) | instid1(VALU_DEP_1)
	v_mul_lo_u32 v5, v3, s53
	v_sub_nc_u32_e32 v5, v21, v5
	s_delay_alu instid0(VALU_DEP_1) | instskip(SKIP_1) | instid1(VALU_DEP_2)
	v_subrev_nc_u32_e32 v10, s53, v5
	v_cmp_le_u32_e32 vcc_lo, s53, v5
	v_dual_cndmask_b32 v5, v5, v10 :: v_dual_add_nc_u32 v8, 1, v3
	s_delay_alu instid0(VALU_DEP_1) | instskip(NEXT) | instid1(VALU_DEP_2)
	v_cndmask_b32_e32 v3, v3, v8, vcc_lo
	v_cmp_le_u32_e32 vcc_lo, s53, v5
	s_delay_alu instid0(VALU_DEP_2) | instskip(NEXT) | instid1(VALU_DEP_1)
	v_add_nc_u32_e32 v8, 1, v3
	v_cndmask_b32_e32 v23, v3, v8, vcc_lo
.LBB0_56:                               ;   in Loop: Header=BB0_24 Depth=2
	s_or_b32 exec_lo, exec_lo, s0
	v_mul_lo_u32 v3, v9, s41
	v_mul_lo_u32 v5, v11, s43
	;; [unrolled: 1-line block ×4, first 2 shown]
	s_add_u32 s18, s30, s18
	s_addc_u32 s19, s1, s19
	v_mul_lo_u32 v12, v17, s49
	s_load_b32 s0, s[18:19], 0x0
	v_sub_nc_u32_e32 v3, v7, v3
	v_sub_nc_u32_e32 v5, v9, v5
	v_mul_lo_u32 v7, v19, s51
	v_sub_nc_u32_e32 v8, v11, v8
	v_sub_nc_u32_e32 v10, v13, v10
	v_mul_lo_u32 v3, s42, v3
	v_mul_lo_u32 v5, s44, v5
	;; [unrolled: 1-line block ×4, first 2 shown]
	v_sub_nc_u32_e32 v12, v15, v12
	v_sub_nc_u32_e32 v7, v17, v7
	v_mul_lo_u32 v8, s46, v8
	v_mul_lo_u32 v10, s48, v10
	s_add_i32 s16, s16, -8
	v_add3_u32 v3, v3, v4, v5
	v_mul_lo_u32 v4, s50, v12
	v_sub_nc_u32_e32 v5, v19, v9
	v_sub_nc_u32_e32 v9, v21, v11
	v_mul_lo_u32 v7, s14, v7
	s_cmp_eq_u32 s16, -8
	v_add3_u32 v3, v8, v3, v10
	v_mul_lo_u32 v5, s17, v5
	s_waitcnt lgkmcnt(0)
	v_mul_lo_u32 v8, s0, v9
	s_delay_alu instid0(VALU_DEP_3) | instskip(NEXT) | instid1(VALU_DEP_1)
	v_add3_u32 v3, v4, v3, v7
	v_add3_u32 v4, v5, v3, v8
	s_cbranch_scc1 .LBB0_58
; %bb.57:                               ;   in Loop: Header=BB0_24 Depth=2
	v_dual_mov_b32 v7, v23 :: v_dual_mov_b32 v8, v24
	s_branch .LBB0_24
.LBB0_58:                               ;   in Loop: Header=BB0_3 Depth=1
	s_load_b32 s0, s[12:13], 0x0
	s_waitcnt lgkmcnt(0)
	v_cmp_gt_i32_e32 vcc_lo, s0, v27
	s_and_b32 exec_lo, exec_lo, vcc_lo
	s_cbranch_execz .LBB0_2
; %bb.59:                               ;   in Loop: Header=BB0_3 Depth=1
	v_ashrrev_i32_e32 v7, 31, v6
	s_mov_b32 s14, exec_lo
	s_delay_alu instid0(VALU_DEP_1)
	v_cmpx_lt_i64_e64 s[4:5], v[6:7]
	s_cbranch_execz .LBB0_61
; %bb.60:                               ;   in Loop: Header=BB0_3 Depth=1
	v_ashrrev_i32_e32 v3, 31, v4
	v_add_co_u32 v5, vcc_lo, s2, v4
	s_delay_alu instid0(VALU_DEP_2)
	v_add_co_ci_u32_e32 v6, vcc_lo, s3, v3, vcc_lo
	global_store_b8 v[5:6], v2, off
.LBB0_61:                               ;   in Loop: Header=BB0_3 Depth=1
	s_or_b32 exec_lo, exec_lo, s14
	v_add_nc_u32_e32 v3, 1, v27
	s_delay_alu instid0(VALU_DEP_1)
	v_cmp_gt_i32_e32 vcc_lo, s0, v3
	s_and_b32 exec_lo, exec_lo, vcc_lo
	s_cbranch_execz .LBB0_2
; %bb.62:                               ;   in Loop: Header=BB0_3 Depth=1
	v_sub_nc_u32_e32 v5, v3, v26
	s_mov_b32 s14, exec_lo
	s_delay_alu instid0(VALU_DEP_1) | instskip(NEXT) | instid1(VALU_DEP_1)
	v_ashrrev_i32_e32 v6, 31, v5
	v_cmpx_lt_i64_e64 s[4:5], v[5:6]
	s_cbranch_execz .LBB0_64
; %bb.63:                               ;   in Loop: Header=BB0_3 Depth=1
	v_add_nc_u32_e32 v3, s40, v4
	s_delay_alu instid0(VALU_DEP_1) | instskip(SKIP_1) | instid1(VALU_DEP_2)
	v_ashrrev_i32_e32 v6, 31, v3
	v_add_co_u32 v5, vcc_lo, s2, v3
	v_add_co_ci_u32_e32 v6, vcc_lo, s3, v6, vcc_lo
	global_store_b8 v[5:6], v2, off
.LBB0_64:                               ;   in Loop: Header=BB0_3 Depth=1
	s_or_b32 exec_lo, exec_lo, s14
	v_add_nc_u32_e32 v3, 2, v27
	s_delay_alu instid0(VALU_DEP_1)
	v_cmp_gt_i32_e32 vcc_lo, s0, v3
	s_and_b32 exec_lo, exec_lo, vcc_lo
	s_cbranch_execz .LBB0_2
; %bb.65:                               ;   in Loop: Header=BB0_3 Depth=1
	v_sub_nc_u32_e32 v5, v3, v26
	s_mov_b32 s14, exec_lo
	s_delay_alu instid0(VALU_DEP_1) | instskip(NEXT) | instid1(VALU_DEP_1)
	v_ashrrev_i32_e32 v6, 31, v5
	v_cmpx_lt_i64_e64 s[4:5], v[5:6]
	s_cbranch_execz .LBB0_67
; %bb.66:                               ;   in Loop: Header=BB0_3 Depth=1
	v_lshl_add_u32 v3, s40, 1, v4
	s_delay_alu instid0(VALU_DEP_1) | instskip(SKIP_1) | instid1(VALU_DEP_2)
	v_ashrrev_i32_e32 v6, 31, v3
	v_add_co_u32 v5, vcc_lo, s2, v3
	v_add_co_ci_u32_e32 v6, vcc_lo, s3, v6, vcc_lo
	global_store_b8 v[5:6], v2, off
.LBB0_67:                               ;   in Loop: Header=BB0_3 Depth=1
	s_or_b32 exec_lo, exec_lo, s14
	v_add_nc_u32_e32 v3, 3, v27
	s_delay_alu instid0(VALU_DEP_1)
	v_cmp_gt_i32_e32 vcc_lo, s0, v3
	s_and_b32 exec_lo, exec_lo, vcc_lo
	s_cbranch_execz .LBB0_2
; %bb.68:                               ;   in Loop: Header=BB0_3 Depth=1
	v_sub_nc_u32_e32 v5, v3, v26
	s_delay_alu instid0(VALU_DEP_1) | instskip(NEXT) | instid1(VALU_DEP_1)
	v_ashrrev_i32_e32 v6, 31, v5
	v_cmp_lt_i64_e32 vcc_lo, s[4:5], v[5:6]
	s_and_b32 exec_lo, exec_lo, vcc_lo
	s_cbranch_execz .LBB0_2
; %bb.69:                               ;   in Loop: Header=BB0_3 Depth=1
	v_mad_u64_u32 v[5:6], null, s40, 3, v[4:5]
	s_delay_alu instid0(VALU_DEP_1) | instskip(SKIP_1) | instid1(VALU_DEP_2)
	v_ashrrev_i32_e32 v4, 31, v5
	v_add_co_u32 v3, vcc_lo, s2, v5
	v_add_co_ci_u32_e32 v4, vcc_lo, s3, v4, vcc_lo
	global_store_b8 v[3:4], v2, off
	s_branch .LBB0_2
.LBB0_70:
	s_nop 0
	s_sendmsg sendmsg(MSG_DEALLOC_VGPRS)
	s_endpgm
	.section	.rodata,"a",@progbits
	.p2align	6, 0x0
	.amdhsa_kernel _ZN2at6native16triu_tril_kernelIhiLb0ELi4ELb1EEEvNS_4cuda6detail10TensorInfoIT_T0_EENS4_IKS5_S6_EEllS6_
		.amdhsa_group_segment_fixed_size 0
		.amdhsa_private_segment_fixed_size 0
		.amdhsa_kernarg_size 712
		.amdhsa_user_sgpr_count 15
		.amdhsa_user_sgpr_dispatch_ptr 0
		.amdhsa_user_sgpr_queue_ptr 0
		.amdhsa_user_sgpr_kernarg_segment_ptr 1
		.amdhsa_user_sgpr_dispatch_id 0
		.amdhsa_user_sgpr_private_segment_size 0
		.amdhsa_wavefront_size32 1
		.amdhsa_uses_dynamic_stack 0
		.amdhsa_enable_private_segment 0
		.amdhsa_system_sgpr_workgroup_id_x 1
		.amdhsa_system_sgpr_workgroup_id_y 0
		.amdhsa_system_sgpr_workgroup_id_z 0
		.amdhsa_system_sgpr_workgroup_info 0
		.amdhsa_system_vgpr_workitem_id 0
		.amdhsa_next_free_vgpr 32
		.amdhsa_next_free_sgpr 56
		.amdhsa_reserve_vcc 1
		.amdhsa_float_round_mode_32 0
		.amdhsa_float_round_mode_16_64 0
		.amdhsa_float_denorm_mode_32 3
		.amdhsa_float_denorm_mode_16_64 3
		.amdhsa_dx10_clamp 1
		.amdhsa_ieee_mode 1
		.amdhsa_fp16_overflow 0
		.amdhsa_workgroup_processor_mode 1
		.amdhsa_memory_ordered 1
		.amdhsa_forward_progress 0
		.amdhsa_shared_vgpr_count 0
		.amdhsa_exception_fp_ieee_invalid_op 0
		.amdhsa_exception_fp_denorm_src 0
		.amdhsa_exception_fp_ieee_div_zero 0
		.amdhsa_exception_fp_ieee_overflow 0
		.amdhsa_exception_fp_ieee_underflow 0
		.amdhsa_exception_fp_ieee_inexact 0
		.amdhsa_exception_int_div_zero 0
	.end_amdhsa_kernel
	.section	.text._ZN2at6native16triu_tril_kernelIhiLb0ELi4ELb1EEEvNS_4cuda6detail10TensorInfoIT_T0_EENS4_IKS5_S6_EEllS6_,"axG",@progbits,_ZN2at6native16triu_tril_kernelIhiLb0ELi4ELb1EEEvNS_4cuda6detail10TensorInfoIT_T0_EENS4_IKS5_S6_EEllS6_,comdat
.Lfunc_end0:
	.size	_ZN2at6native16triu_tril_kernelIhiLb0ELi4ELb1EEEvNS_4cuda6detail10TensorInfoIT_T0_EENS4_IKS5_S6_EEllS6_, .Lfunc_end0-_ZN2at6native16triu_tril_kernelIhiLb0ELi4ELb1EEEvNS_4cuda6detail10TensorInfoIT_T0_EENS4_IKS5_S6_EEllS6_
                                        ; -- End function
	.section	.AMDGPU.csdata,"",@progbits
; Kernel info:
; codeLenInByte = 12568
; NumSgprs: 58
; NumVgprs: 32
; ScratchSize: 0
; MemoryBound: 0
; FloatMode: 240
; IeeeMode: 1
; LDSByteSize: 0 bytes/workgroup (compile time only)
; SGPRBlocks: 7
; VGPRBlocks: 3
; NumSGPRsForWavesPerEU: 58
; NumVGPRsForWavesPerEU: 32
; Occupancy: 16
; WaveLimiterHint : 0
; COMPUTE_PGM_RSRC2:SCRATCH_EN: 0
; COMPUTE_PGM_RSRC2:USER_SGPR: 15
; COMPUTE_PGM_RSRC2:TRAP_HANDLER: 0
; COMPUTE_PGM_RSRC2:TGID_X_EN: 1
; COMPUTE_PGM_RSRC2:TGID_Y_EN: 0
; COMPUTE_PGM_RSRC2:TGID_Z_EN: 0
; COMPUTE_PGM_RSRC2:TIDIG_COMP_CNT: 0
	.section	.text._ZN2at6native16triu_tril_kernelIhiLb0ELi4ELb0EEEvNS_4cuda6detail10TensorInfoIT_T0_EENS4_IKS5_S6_EEllS6_,"axG",@progbits,_ZN2at6native16triu_tril_kernelIhiLb0ELi4ELb0EEEvNS_4cuda6detail10TensorInfoIT_T0_EENS4_IKS5_S6_EEllS6_,comdat
	.protected	_ZN2at6native16triu_tril_kernelIhiLb0ELi4ELb0EEEvNS_4cuda6detail10TensorInfoIT_T0_EENS4_IKS5_S6_EEllS6_ ; -- Begin function _ZN2at6native16triu_tril_kernelIhiLb0ELi4ELb0EEEvNS_4cuda6detail10TensorInfoIT_T0_EENS4_IKS5_S6_EEllS6_
	.globl	_ZN2at6native16triu_tril_kernelIhiLb0ELi4ELb0EEEvNS_4cuda6detail10TensorInfoIT_T0_EENS4_IKS5_S6_EEllS6_
	.p2align	8
	.type	_ZN2at6native16triu_tril_kernelIhiLb0ELi4ELb0EEEvNS_4cuda6detail10TensorInfoIT_T0_EENS4_IKS5_S6_EEllS6_,@function
_ZN2at6native16triu_tril_kernelIhiLb0ELi4ELb0EEEvNS_4cuda6detail10TensorInfoIT_T0_EENS4_IKS5_S6_EEllS6_: ; @_ZN2at6native16triu_tril_kernelIhiLb0ELi4ELb0EEEvNS_4cuda6detail10TensorInfoIT_T0_EENS4_IKS5_S6_EEllS6_
; %bb.0:
	s_clause 0x1
	s_load_b32 s2, s[0:1], 0x1d4
	s_load_b128 s[4:7], s[0:1], 0x1b0
	v_mov_b32_e32 v2, 0
	s_add_u32 s8, s0, 0x1c8
	s_addc_u32 s9, s1, 0
	s_delay_alu instid0(VALU_DEP_1) | instskip(SKIP_3) | instid1(VALU_DEP_1)
	v_mov_b32_e32 v1, v2
	s_waitcnt lgkmcnt(0)
	s_and_b32 s10, s2, 0xffff
	s_mov_b32 s2, exec_lo
	v_mad_u64_u32 v[3:4], null, s10, s15, v[0:1]
	s_delay_alu instid0(VALU_DEP_1) | instskip(NEXT) | instid1(VALU_DEP_1)
	v_lshlrev_b64 v[0:1], 2, v[3:4]
	v_cmpx_gt_i64_e64 s[6:7], v[0:1]
	s_cbranch_execz .LBB1_55
; %bb.1:
	s_clause 0x1
	s_load_b32 s16, s[0:1], 0x1a8
	s_load_b32 s26, s[0:1], 0x1c0
	s_add_u32 s27, s0, 0xd8
	s_addc_u32 s28, s1, 0
	s_load_b32 s11, s[8:9], 0x0
	s_load_b64 s[2:3], s[0:1], 0xd8
	s_mov_b32 s41, 0
	s_waitcnt lgkmcnt(0)
	s_ashr_i32 s17, s16, 31
	s_ashr_i32 s29, s26, 31
	s_lshl_b64 s[8:9], s[16:17], 2
	v_cvt_f32_u32_e32 v3, s26
	s_add_u32 s14, s8, -8
	s_addc_u32 s15, s9, -1
	s_add_u32 s12, s27, s14
	s_addc_u32 s13, s28, s15
	v_rcp_iflag_f32_e32 v3, v3
	s_load_b64 s[8:9], s[12:13], 0x8
	s_mul_i32 s18, s11, s10
	s_load_b64 s[10:11], s[12:13], 0x6c
	s_waitcnt_depctr 0xfff
	v_mul_f32_e32 v3, 0x4f7ffffe, v3
	s_delay_alu instid0(VALU_DEP_1)
	v_cvt_u32_f32_e32 v3, v3
	s_waitcnt lgkmcnt(0)
	s_ashr_i32 s30, s8, 31
	s_add_u32 s31, s0, 0x6c
	s_addc_u32 s33, s1, 0
	s_add_u32 s12, s31, s14
	s_addc_u32 s13, s33, s15
	s_and_b32 s35, s16, 3
	s_add_i32 s34, s16, -3
	s_lshl_b32 s36, s18, 2
	s_cmp_lg_u32 s35, 2
	s_load_b64 s[12:13], s[12:13], 0x0
	s_cselect_b32 s37, -1, 0
	s_cmp_gt_u32 s34, 2
	s_cselect_b32 s38, -1, 0
	s_sub_i32 s14, 0, s26
	s_ashr_i32 s39, s11, 31
	v_mul_lo_u32 v4, s14, v3
	s_load_b64 s[14:15], s[0:1], 0x0
	v_cmp_gt_i64_e64 s1, s[16:17], 2
	s_mov_b32 s17, 0
	s_delay_alu instid0(VALU_DEP_2) | instskip(SKIP_2) | instid1(VALU_DEP_1)
	v_mul_hi_u32 v4, v3, v4
	s_waitcnt lgkmcnt(0)
	s_ashr_i32 s40, s13, 31
	v_add_nc_u32_e32 v18, v3, v4
	s_branch .LBB1_3
.LBB1_2:                                ;   in Loop: Header=BB1_3 Depth=1
	s_or_b32 exec_lo, exec_lo, s0
	v_add_co_u32 v0, vcc_lo, v0, s36
	v_add_co_ci_u32_e32 v1, vcc_lo, 0, v1, vcc_lo
	s_delay_alu instid0(VALU_DEP_1) | instskip(SKIP_1) | instid1(SALU_CYCLE_1)
	v_cmp_le_i64_e32 vcc_lo, s[6:7], v[0:1]
	s_or_b32 s41, vcc_lo, s41
	s_and_not1_b32 exec_lo, exec_lo, s41
	s_cbranch_execz .LBB1_55
.LBB1_3:                                ; =>This Loop Header: Depth=1
                                        ;     Child Loop BB1_14 Depth 2
                                        ;     Child Loop BB1_22 Depth 2
	v_or_b32_e32 v3, s29, v1
                                        ; implicit-def: $vgpr4_vgpr5
	s_mov_b32 s0, exec_lo
	s_delay_alu instid0(VALU_DEP_1)
	v_cmpx_ne_u64_e32 0, v[2:3]
	s_xor_b32 s16, exec_lo, s0
	s_cbranch_execz .LBB1_5
; %bb.4:                                ;   in Loop: Header=BB1_3 Depth=1
	s_add_u32 s20, s26, s29
	s_mov_b32 s18, s29
	s_mov_b32 s19, s29
	s_addc_u32 s21, s29, s29
	s_delay_alu instid0(SALU_CYCLE_1) | instskip(NEXT) | instid1(SALU_CYCLE_1)
	s_xor_b64 s[20:21], s[20:21], s[18:19]
	v_cvt_f32_u32_e32 v3, s20
	v_cvt_f32_u32_e32 v4, s21
	s_sub_u32 s0, 0, s20
	s_subb_u32 s22, 0, s21
	s_delay_alu instid0(VALU_DEP_1) | instskip(NEXT) | instid1(VALU_DEP_1)
	v_fmac_f32_e32 v3, 0x4f800000, v4
	v_rcp_f32_e32 v3, v3
	s_waitcnt_depctr 0xfff
	v_mul_f32_e32 v3, 0x5f7ffffc, v3
	s_delay_alu instid0(VALU_DEP_1) | instskip(NEXT) | instid1(VALU_DEP_1)
	v_mul_f32_e32 v4, 0x2f800000, v3
	v_trunc_f32_e32 v4, v4
	s_delay_alu instid0(VALU_DEP_1) | instskip(SKIP_1) | instid1(VALU_DEP_2)
	v_fmac_f32_e32 v3, 0xcf800000, v4
	v_cvt_u32_f32_e32 v4, v4
	v_cvt_u32_f32_e32 v3, v3
	s_delay_alu instid0(VALU_DEP_2) | instskip(NEXT) | instid1(VALU_DEP_2)
	v_mul_lo_u32 v5, s0, v4
	v_mul_hi_u32 v6, s0, v3
	v_mul_lo_u32 v7, s22, v3
	s_delay_alu instid0(VALU_DEP_2) | instskip(SKIP_1) | instid1(VALU_DEP_2)
	v_add_nc_u32_e32 v5, v6, v5
	v_mul_lo_u32 v6, s0, v3
	v_add_nc_u32_e32 v5, v5, v7
	s_delay_alu instid0(VALU_DEP_2) | instskip(NEXT) | instid1(VALU_DEP_2)
	v_mul_hi_u32 v7, v3, v6
	v_mul_lo_u32 v8, v3, v5
	v_mul_hi_u32 v9, v3, v5
	v_mul_hi_u32 v10, v4, v6
	v_mul_lo_u32 v6, v4, v6
	v_mul_hi_u32 v11, v4, v5
	v_mul_lo_u32 v5, v4, v5
	v_add_co_u32 v7, vcc_lo, v7, v8
	v_add_co_ci_u32_e32 v8, vcc_lo, 0, v9, vcc_lo
	s_delay_alu instid0(VALU_DEP_2) | instskip(NEXT) | instid1(VALU_DEP_2)
	v_add_co_u32 v6, vcc_lo, v7, v6
	v_add_co_ci_u32_e32 v6, vcc_lo, v8, v10, vcc_lo
	v_add_co_ci_u32_e32 v7, vcc_lo, 0, v11, vcc_lo
	v_ashrrev_i32_e32 v10, 31, v1
	s_delay_alu instid0(VALU_DEP_3) | instskip(NEXT) | instid1(VALU_DEP_3)
	v_add_co_u32 v5, vcc_lo, v6, v5
	v_add_co_ci_u32_e32 v6, vcc_lo, 0, v7, vcc_lo
	s_delay_alu instid0(VALU_DEP_2) | instskip(NEXT) | instid1(VALU_DEP_2)
	v_add_co_u32 v3, vcc_lo, v3, v5
	v_add_co_ci_u32_e32 v4, vcc_lo, v4, v6, vcc_lo
	s_delay_alu instid0(VALU_DEP_2) | instskip(SKIP_1) | instid1(VALU_DEP_3)
	v_mul_hi_u32 v5, s0, v3
	v_mul_lo_u32 v7, s22, v3
	v_mul_lo_u32 v6, s0, v4
	s_delay_alu instid0(VALU_DEP_1) | instskip(SKIP_1) | instid1(VALU_DEP_2)
	v_add_nc_u32_e32 v5, v5, v6
	v_mul_lo_u32 v6, s0, v3
	v_add_nc_u32_e32 v5, v5, v7
	s_delay_alu instid0(VALU_DEP_2) | instskip(NEXT) | instid1(VALU_DEP_2)
	v_mul_hi_u32 v7, v3, v6
	v_mul_lo_u32 v8, v3, v5
	v_mul_hi_u32 v9, v3, v5
	v_mul_hi_u32 v11, v4, v6
	v_mul_lo_u32 v6, v4, v6
	v_mul_hi_u32 v12, v4, v5
	v_mul_lo_u32 v5, v4, v5
	v_add_co_u32 v7, vcc_lo, v7, v8
	v_add_co_ci_u32_e32 v8, vcc_lo, 0, v9, vcc_lo
	s_delay_alu instid0(VALU_DEP_2) | instskip(NEXT) | instid1(VALU_DEP_2)
	v_add_co_u32 v6, vcc_lo, v7, v6
	v_add_co_ci_u32_e32 v6, vcc_lo, v8, v11, vcc_lo
	v_add_co_ci_u32_e32 v7, vcc_lo, 0, v12, vcc_lo
	v_add_co_u32 v8, vcc_lo, v0, v10
	v_add_co_ci_u32_e32 v9, vcc_lo, v1, v10, vcc_lo
	s_delay_alu instid0(VALU_DEP_4) | instskip(NEXT) | instid1(VALU_DEP_4)
	v_add_co_u32 v5, vcc_lo, v6, v5
	v_add_co_ci_u32_e32 v6, vcc_lo, 0, v7, vcc_lo
	s_delay_alu instid0(VALU_DEP_4) | instskip(NEXT) | instid1(VALU_DEP_3)
	v_xor_b32_e32 v11, v8, v10
	v_add_co_u32 v7, vcc_lo, v3, v5
	s_delay_alu instid0(VALU_DEP_3) | instskip(SKIP_1) | instid1(VALU_DEP_3)
	v_add_co_ci_u32_e32 v12, vcc_lo, v4, v6, vcc_lo
	v_xor_b32_e32 v9, v9, v10
	v_mul_hi_u32 v13, v11, v7
	s_delay_alu instid0(VALU_DEP_3) | instskip(NEXT) | instid1(VALU_DEP_3)
	v_mad_u64_u32 v[3:4], null, v11, v12, 0
	v_mad_u64_u32 v[5:6], null, v9, v7, 0
	;; [unrolled: 1-line block ×3, first 2 shown]
	s_delay_alu instid0(VALU_DEP_3) | instskip(NEXT) | instid1(VALU_DEP_4)
	v_add_co_u32 v3, vcc_lo, v13, v3
	v_add_co_ci_u32_e32 v4, vcc_lo, 0, v4, vcc_lo
	s_delay_alu instid0(VALU_DEP_2) | instskip(NEXT) | instid1(VALU_DEP_2)
	v_add_co_u32 v3, vcc_lo, v3, v5
	v_add_co_ci_u32_e32 v3, vcc_lo, v4, v6, vcc_lo
	v_add_co_ci_u32_e32 v4, vcc_lo, 0, v8, vcc_lo
	s_delay_alu instid0(VALU_DEP_2) | instskip(NEXT) | instid1(VALU_DEP_2)
	v_add_co_u32 v5, vcc_lo, v3, v7
	v_add_co_ci_u32_e32 v6, vcc_lo, 0, v4, vcc_lo
	s_delay_alu instid0(VALU_DEP_2) | instskip(SKIP_1) | instid1(VALU_DEP_3)
	v_mul_lo_u32 v7, s21, v5
	v_mad_u64_u32 v[3:4], null, s20, v5, 0
	v_mul_lo_u32 v8, s20, v6
	s_delay_alu instid0(VALU_DEP_2) | instskip(NEXT) | instid1(VALU_DEP_2)
	v_sub_co_u32 v3, vcc_lo, v11, v3
	v_add3_u32 v4, v4, v8, v7
	s_delay_alu instid0(VALU_DEP_1) | instskip(NEXT) | instid1(VALU_DEP_1)
	v_sub_nc_u32_e32 v7, v9, v4
	v_subrev_co_ci_u32_e64 v7, s0, s21, v7, vcc_lo
	v_add_co_u32 v8, s0, v5, 2
	s_delay_alu instid0(VALU_DEP_1) | instskip(SKIP_3) | instid1(VALU_DEP_3)
	v_add_co_ci_u32_e64 v11, s0, 0, v6, s0
	v_sub_co_u32 v12, s0, v3, s20
	v_sub_co_ci_u32_e32 v4, vcc_lo, v9, v4, vcc_lo
	v_subrev_co_ci_u32_e64 v7, s0, 0, v7, s0
	v_cmp_le_u32_e32 vcc_lo, s20, v12
	s_delay_alu instid0(VALU_DEP_3) | instskip(SKIP_1) | instid1(VALU_DEP_4)
	v_cmp_eq_u32_e64 s0, s21, v4
	v_cndmask_b32_e64 v9, 0, -1, vcc_lo
	v_cmp_le_u32_e32 vcc_lo, s21, v7
	v_cndmask_b32_e64 v12, 0, -1, vcc_lo
	v_cmp_le_u32_e32 vcc_lo, s20, v3
	v_cndmask_b32_e64 v3, 0, -1, vcc_lo
	v_cmp_le_u32_e32 vcc_lo, s21, v4
	v_cndmask_b32_e64 v13, 0, -1, vcc_lo
	v_cmp_eq_u32_e32 vcc_lo, s21, v7
	s_delay_alu instid0(VALU_DEP_2) | instskip(SKIP_3) | instid1(VALU_DEP_3)
	v_cndmask_b32_e64 v3, v13, v3, s0
	v_cndmask_b32_e32 v7, v12, v9, vcc_lo
	v_add_co_u32 v9, vcc_lo, v5, 1
	v_add_co_ci_u32_e32 v12, vcc_lo, 0, v6, vcc_lo
	v_cmp_ne_u32_e32 vcc_lo, 0, v7
	s_delay_alu instid0(VALU_DEP_2) | instskip(SKIP_2) | instid1(VALU_DEP_3)
	v_dual_cndmask_b32 v4, v12, v11 :: v_dual_cndmask_b32 v7, v9, v8
	v_cmp_ne_u32_e32 vcc_lo, 0, v3
	v_xor_b32_e32 v3, s18, v10
	v_dual_cndmask_b32 v5, v5, v7 :: v_dual_cndmask_b32 v4, v6, v4
	v_xor_b32_e32 v6, s19, v10
	s_delay_alu instid0(VALU_DEP_2) | instskip(NEXT) | instid1(VALU_DEP_2)
	v_xor_b32_e32 v5, v5, v3
	v_xor_b32_e32 v7, v4, v6
	s_delay_alu instid0(VALU_DEP_2) | instskip(NEXT) | instid1(VALU_DEP_2)
	v_sub_co_u32 v4, vcc_lo, v5, v3
	v_sub_co_ci_u32_e32 v5, vcc_lo, v7, v6, vcc_lo
.LBB1_5:                                ;   in Loop: Header=BB1_3 Depth=1
	s_and_not1_saveexec_b32 s0, s16
; %bb.6:                                ;   in Loop: Header=BB1_3 Depth=1
	v_mul_hi_u32 v3, v0, v18
	s_delay_alu instid0(VALU_DEP_1) | instskip(NEXT) | instid1(VALU_DEP_1)
	v_mul_lo_u32 v4, v3, s26
	v_sub_nc_u32_e32 v4, v0, v4
	s_delay_alu instid0(VALU_DEP_1) | instskip(SKIP_1) | instid1(VALU_DEP_2)
	v_subrev_nc_u32_e32 v6, s26, v4
	v_cmp_le_u32_e32 vcc_lo, s26, v4
	v_dual_cndmask_b32 v4, v4, v6 :: v_dual_add_nc_u32 v5, 1, v3
	s_delay_alu instid0(VALU_DEP_1) | instskip(NEXT) | instid1(VALU_DEP_2)
	v_cndmask_b32_e32 v3, v3, v5, vcc_lo
	v_cmp_le_u32_e32 vcc_lo, s26, v4
	s_delay_alu instid0(VALU_DEP_2) | instskip(NEXT) | instid1(VALU_DEP_1)
	v_add_nc_u32_e32 v5, 1, v3
	v_dual_cndmask_b32 v4, v3, v5 :: v_dual_mov_b32 v5, v2
; %bb.7:                                ;   in Loop: Header=BB1_3 Depth=1
	s_or_b32 exec_lo, exec_lo, s0
	s_delay_alu instid0(VALU_DEP_1) | instskip(SKIP_1) | instid1(VALU_DEP_1)
	v_or_b32_e32 v3, s30, v5
                                        ; implicit-def: $vgpr8_vgpr9
	s_mov_b32 s0, exec_lo
	v_cmpx_ne_u64_e32 0, v[2:3]
	s_xor_b32 s16, exec_lo, s0
	s_cbranch_execz .LBB1_9
; %bb.8:                                ;   in Loop: Header=BB1_3 Depth=1
	s_add_u32 s20, s8, s30
	s_mov_b32 s18, s30
	s_mov_b32 s19, s30
	s_addc_u32 s21, s30, s30
	s_delay_alu instid0(SALU_CYCLE_1) | instskip(NEXT) | instid1(SALU_CYCLE_1)
	s_xor_b64 s[20:21], s[20:21], s[18:19]
	v_cvt_f32_u32_e32 v3, s20
	v_cvt_f32_u32_e32 v6, s21
	s_sub_u32 s0, 0, s20
	s_subb_u32 s22, 0, s21
	s_delay_alu instid0(VALU_DEP_1) | instskip(NEXT) | instid1(VALU_DEP_1)
	v_fmac_f32_e32 v3, 0x4f800000, v6
	v_rcp_f32_e32 v3, v3
	s_waitcnt_depctr 0xfff
	v_mul_f32_e32 v3, 0x5f7ffffc, v3
	s_delay_alu instid0(VALU_DEP_1) | instskip(NEXT) | instid1(VALU_DEP_1)
	v_mul_f32_e32 v6, 0x2f800000, v3
	v_trunc_f32_e32 v6, v6
	s_delay_alu instid0(VALU_DEP_1) | instskip(SKIP_1) | instid1(VALU_DEP_2)
	v_fmac_f32_e32 v3, 0xcf800000, v6
	v_cvt_u32_f32_e32 v6, v6
	v_cvt_u32_f32_e32 v3, v3
	s_delay_alu instid0(VALU_DEP_2) | instskip(NEXT) | instid1(VALU_DEP_2)
	v_mul_lo_u32 v7, s0, v6
	v_mul_hi_u32 v8, s0, v3
	v_mul_lo_u32 v9, s22, v3
	s_delay_alu instid0(VALU_DEP_2) | instskip(SKIP_1) | instid1(VALU_DEP_2)
	v_add_nc_u32_e32 v7, v8, v7
	v_mul_lo_u32 v8, s0, v3
	v_add_nc_u32_e32 v7, v7, v9
	s_delay_alu instid0(VALU_DEP_2) | instskip(NEXT) | instid1(VALU_DEP_2)
	v_mul_hi_u32 v9, v3, v8
	v_mul_lo_u32 v10, v3, v7
	v_mul_hi_u32 v11, v3, v7
	v_mul_hi_u32 v12, v6, v8
	v_mul_lo_u32 v8, v6, v8
	v_mul_hi_u32 v13, v6, v7
	v_mul_lo_u32 v7, v6, v7
	v_add_co_u32 v9, vcc_lo, v9, v10
	v_add_co_ci_u32_e32 v10, vcc_lo, 0, v11, vcc_lo
	s_delay_alu instid0(VALU_DEP_2) | instskip(NEXT) | instid1(VALU_DEP_2)
	v_add_co_u32 v8, vcc_lo, v9, v8
	v_add_co_ci_u32_e32 v8, vcc_lo, v10, v12, vcc_lo
	v_add_co_ci_u32_e32 v9, vcc_lo, 0, v13, vcc_lo
	v_ashrrev_i32_e32 v12, 31, v5
	s_delay_alu instid0(VALU_DEP_3) | instskip(NEXT) | instid1(VALU_DEP_3)
	v_add_co_u32 v7, vcc_lo, v8, v7
	v_add_co_ci_u32_e32 v8, vcc_lo, 0, v9, vcc_lo
	s_delay_alu instid0(VALU_DEP_2) | instskip(NEXT) | instid1(VALU_DEP_2)
	v_add_co_u32 v3, vcc_lo, v3, v7
	v_add_co_ci_u32_e32 v6, vcc_lo, v6, v8, vcc_lo
	s_delay_alu instid0(VALU_DEP_2) | instskip(SKIP_1) | instid1(VALU_DEP_3)
	v_mul_hi_u32 v7, s0, v3
	v_mul_lo_u32 v9, s22, v3
	v_mul_lo_u32 v8, s0, v6
	s_delay_alu instid0(VALU_DEP_1) | instskip(SKIP_1) | instid1(VALU_DEP_2)
	v_add_nc_u32_e32 v7, v7, v8
	v_mul_lo_u32 v8, s0, v3
	v_add_nc_u32_e32 v7, v7, v9
	s_delay_alu instid0(VALU_DEP_2) | instskip(NEXT) | instid1(VALU_DEP_2)
	v_mul_hi_u32 v9, v3, v8
	v_mul_lo_u32 v10, v3, v7
	v_mul_hi_u32 v11, v3, v7
	v_mul_hi_u32 v13, v6, v8
	v_mul_lo_u32 v8, v6, v8
	v_mul_hi_u32 v14, v6, v7
	v_mul_lo_u32 v7, v6, v7
	v_add_co_u32 v9, vcc_lo, v9, v10
	v_add_co_ci_u32_e32 v10, vcc_lo, 0, v11, vcc_lo
	s_delay_alu instid0(VALU_DEP_2) | instskip(NEXT) | instid1(VALU_DEP_2)
	v_add_co_u32 v8, vcc_lo, v9, v8
	v_add_co_ci_u32_e32 v8, vcc_lo, v10, v13, vcc_lo
	v_add_co_ci_u32_e32 v9, vcc_lo, 0, v14, vcc_lo
	v_add_co_u32 v10, vcc_lo, v4, v12
	v_add_co_ci_u32_e32 v5, vcc_lo, v5, v12, vcc_lo
	s_delay_alu instid0(VALU_DEP_4) | instskip(NEXT) | instid1(VALU_DEP_4)
	v_add_co_u32 v7, vcc_lo, v8, v7
	v_add_co_ci_u32_e32 v8, vcc_lo, 0, v9, vcc_lo
	s_delay_alu instid0(VALU_DEP_4) | instskip(NEXT) | instid1(VALU_DEP_3)
	v_xor_b32_e32 v11, v10, v12
	v_add_co_u32 v3, vcc_lo, v3, v7
	s_delay_alu instid0(VALU_DEP_3) | instskip(SKIP_1) | instid1(VALU_DEP_3)
	v_add_co_ci_u32_e32 v13, vcc_lo, v6, v8, vcc_lo
	v_xor_b32_e32 v14, v5, v12
	v_mul_hi_u32 v15, v11, v3
	s_delay_alu instid0(VALU_DEP_3) | instskip(NEXT) | instid1(VALU_DEP_3)
	v_mad_u64_u32 v[5:6], null, v11, v13, 0
	v_mad_u64_u32 v[7:8], null, v14, v3, 0
	;; [unrolled: 1-line block ×3, first 2 shown]
	s_delay_alu instid0(VALU_DEP_3) | instskip(NEXT) | instid1(VALU_DEP_4)
	v_add_co_u32 v3, vcc_lo, v15, v5
	v_add_co_ci_u32_e32 v5, vcc_lo, 0, v6, vcc_lo
	s_delay_alu instid0(VALU_DEP_2) | instskip(NEXT) | instid1(VALU_DEP_2)
	v_add_co_u32 v3, vcc_lo, v3, v7
	v_add_co_ci_u32_e32 v3, vcc_lo, v5, v8, vcc_lo
	v_add_co_ci_u32_e32 v5, vcc_lo, 0, v10, vcc_lo
	s_delay_alu instid0(VALU_DEP_2) | instskip(NEXT) | instid1(VALU_DEP_2)
	v_add_co_u32 v3, vcc_lo, v3, v9
	v_add_co_ci_u32_e32 v7, vcc_lo, 0, v5, vcc_lo
	s_delay_alu instid0(VALU_DEP_2) | instskip(SKIP_1) | instid1(VALU_DEP_3)
	v_mul_lo_u32 v8, s21, v3
	v_mad_u64_u32 v[5:6], null, s20, v3, 0
	v_mul_lo_u32 v9, s20, v7
	s_delay_alu instid0(VALU_DEP_2) | instskip(NEXT) | instid1(VALU_DEP_2)
	v_sub_co_u32 v5, vcc_lo, v11, v5
	v_add3_u32 v6, v6, v9, v8
	s_delay_alu instid0(VALU_DEP_1) | instskip(NEXT) | instid1(VALU_DEP_1)
	v_sub_nc_u32_e32 v8, v14, v6
	v_subrev_co_ci_u32_e64 v8, s0, s21, v8, vcc_lo
	v_add_co_u32 v9, s0, v3, 2
	s_delay_alu instid0(VALU_DEP_1) | instskip(SKIP_3) | instid1(VALU_DEP_3)
	v_add_co_ci_u32_e64 v10, s0, 0, v7, s0
	v_sub_co_u32 v11, s0, v5, s20
	v_sub_co_ci_u32_e32 v6, vcc_lo, v14, v6, vcc_lo
	v_subrev_co_ci_u32_e64 v8, s0, 0, v8, s0
	v_cmp_le_u32_e32 vcc_lo, s20, v11
	s_delay_alu instid0(VALU_DEP_3) | instskip(SKIP_1) | instid1(VALU_DEP_4)
	v_cmp_eq_u32_e64 s0, s21, v6
	v_cndmask_b32_e64 v11, 0, -1, vcc_lo
	v_cmp_le_u32_e32 vcc_lo, s21, v8
	v_cndmask_b32_e64 v13, 0, -1, vcc_lo
	v_cmp_le_u32_e32 vcc_lo, s20, v5
	;; [unrolled: 2-line block ×3, first 2 shown]
	v_cndmask_b32_e64 v14, 0, -1, vcc_lo
	v_cmp_eq_u32_e32 vcc_lo, s21, v8
	s_delay_alu instid0(VALU_DEP_2) | instskip(SKIP_3) | instid1(VALU_DEP_3)
	v_cndmask_b32_e64 v5, v14, v5, s0
	v_cndmask_b32_e32 v8, v13, v11, vcc_lo
	v_add_co_u32 v11, vcc_lo, v3, 1
	v_add_co_ci_u32_e32 v13, vcc_lo, 0, v7, vcc_lo
	v_cmp_ne_u32_e32 vcc_lo, 0, v8
	s_delay_alu instid0(VALU_DEP_3) | instskip(NEXT) | instid1(VALU_DEP_3)
	v_cndmask_b32_e32 v8, v11, v9, vcc_lo
	v_cndmask_b32_e32 v6, v13, v10, vcc_lo
	v_cmp_ne_u32_e32 vcc_lo, 0, v5
	v_xor_b32_e32 v5, s18, v12
	s_delay_alu instid0(VALU_DEP_4) | instskip(NEXT) | instid1(VALU_DEP_4)
	v_cndmask_b32_e32 v3, v3, v8, vcc_lo
	v_cndmask_b32_e32 v6, v7, v6, vcc_lo
	v_xor_b32_e32 v7, s19, v12
	s_delay_alu instid0(VALU_DEP_3) | instskip(NEXT) | instid1(VALU_DEP_2)
	v_xor_b32_e32 v3, v3, v5
	v_xor_b32_e32 v6, v6, v7
	s_delay_alu instid0(VALU_DEP_2) | instskip(NEXT) | instid1(VALU_DEP_2)
	v_sub_co_u32 v8, vcc_lo, v3, v5
	v_sub_co_ci_u32_e32 v9, vcc_lo, v6, v7, vcc_lo
.LBB1_9:                                ;   in Loop: Header=BB1_3 Depth=1
	s_and_not1_saveexec_b32 s0, s16
	s_cbranch_execz .LBB1_11
; %bb.10:                               ;   in Loop: Header=BB1_3 Depth=1
	v_cvt_f32_u32_e32 v3, s8
	s_sub_i32 s16, 0, s8
	v_mov_b32_e32 v9, v2
	s_delay_alu instid0(VALU_DEP_2) | instskip(SKIP_2) | instid1(VALU_DEP_1)
	v_rcp_iflag_f32_e32 v3, v3
	s_waitcnt_depctr 0xfff
	v_mul_f32_e32 v3, 0x4f7ffffe, v3
	v_cvt_u32_f32_e32 v3, v3
	s_delay_alu instid0(VALU_DEP_1) | instskip(NEXT) | instid1(VALU_DEP_1)
	v_mul_lo_u32 v5, s16, v3
	v_mul_hi_u32 v5, v3, v5
	s_delay_alu instid0(VALU_DEP_1) | instskip(NEXT) | instid1(VALU_DEP_1)
	v_add_nc_u32_e32 v3, v3, v5
	v_mul_hi_u32 v3, v4, v3
	s_delay_alu instid0(VALU_DEP_1) | instskip(SKIP_1) | instid1(VALU_DEP_2)
	v_mul_lo_u32 v5, v3, s8
	v_add_nc_u32_e32 v6, 1, v3
	v_sub_nc_u32_e32 v5, v4, v5
	s_delay_alu instid0(VALU_DEP_1) | instskip(SKIP_1) | instid1(VALU_DEP_4)
	v_cmp_le_u32_e32 vcc_lo, s8, v5
	v_subrev_nc_u32_e32 v7, s8, v5
	v_cndmask_b32_e32 v3, v3, v6, vcc_lo
	s_delay_alu instid0(VALU_DEP_1) | instskip(NEXT) | instid1(VALU_DEP_3)
	v_add_nc_u32_e32 v6, 1, v3
	v_cndmask_b32_e32 v5, v5, v7, vcc_lo
	s_delay_alu instid0(VALU_DEP_1) | instskip(NEXT) | instid1(VALU_DEP_3)
	v_cmp_le_u32_e32 vcc_lo, s8, v5
	v_cndmask_b32_e32 v8, v3, v6, vcc_lo
.LBB1_11:                               ;   in Loop: Header=BB1_3 Depth=1
	s_or_b32 exec_lo, exec_lo, s0
	v_mad_u64_u32 v[5:6], null, v4, s26, 0
	s_delay_alu instid0(VALU_DEP_2) | instskip(SKIP_1) | instid1(VALU_DEP_2)
	v_mad_u64_u32 v[6:7], null, v8, s8, 0
	s_and_not1_b32 vcc_lo, exec_lo, s1
	v_sub_co_u32 v19, null, v0, v5
	s_delay_alu instid0(VALU_DEP_2) | instskip(NEXT) | instid1(VALU_DEP_2)
	v_sub_co_u32 v20, null, v4, v6
	v_mul_lo_u32 v3, s11, v19
	v_mul_lo_u32 v10, s13, v19
	s_delay_alu instid0(VALU_DEP_2) | instskip(NEXT) | instid1(VALU_DEP_2)
	v_mad_u64_u32 v[6:7], null, s10, v20, v[3:4]
	v_mad_u64_u32 v[4:5], null, s12, v20, v[10:11]
	s_cbranch_vccnz .LBB1_40
; %bb.12:                               ;   in Loop: Header=BB1_3 Depth=1
	s_and_not1_b32 vcc_lo, exec_lo, s37
	s_mov_b32 s42, 1
	s_cbranch_vccnz .LBB1_20
; %bb.13:                               ;   in Loop: Header=BB1_3 Depth=1
	v_dual_mov_b32 v11, v9 :: v_dual_mov_b32 v10, v8
	s_mov_b32 s16, s34
.LBB1_14:                               ;   Parent Loop BB1_3 Depth=1
                                        ; =>  This Inner Loop Header: Depth=2
	s_delay_alu instid0(SALU_CYCLE_1)
	s_lshl_b64 s[20:21], s[16:17], 2
                                        ; implicit-def: $vgpr8_vgpr9
	s_mov_b32 s22, exec_lo
	s_add_u32 s18, s27, s20
	s_addc_u32 s19, s28, s21
	s_load_b32 s43, s[18:19], 0x8
	s_waitcnt lgkmcnt(0)
	s_ashr_i32 s0, s43, 31
	s_delay_alu instid0(SALU_CYCLE_1) | instskip(NEXT) | instid1(VALU_DEP_1)
	v_or_b32_e32 v3, s0, v11
	v_cmpx_ne_u64_e32 0, v[2:3]
	s_xor_b32 s44, exec_lo, s22
	s_cbranch_execz .LBB1_16
; %bb.15:                               ;   in Loop: Header=BB1_14 Depth=2
	s_add_u32 s24, s43, s0
	s_mov_b32 s22, s0
	s_mov_b32 s23, s0
	s_addc_u32 s25, s0, s0
	s_delay_alu instid0(SALU_CYCLE_1) | instskip(NEXT) | instid1(SALU_CYCLE_1)
	s_xor_b64 s[24:25], s[24:25], s[22:23]
	v_cvt_f32_u32_e32 v3, s24
	v_cvt_f32_u32_e32 v5, s25
	s_sub_u32 s0, 0, s24
	s_subb_u32 s45, 0, s25
	s_delay_alu instid0(VALU_DEP_1) | instskip(NEXT) | instid1(VALU_DEP_1)
	v_fmac_f32_e32 v3, 0x4f800000, v5
	v_rcp_f32_e32 v3, v3
	s_waitcnt_depctr 0xfff
	v_mul_f32_e32 v3, 0x5f7ffffc, v3
	s_delay_alu instid0(VALU_DEP_1) | instskip(NEXT) | instid1(VALU_DEP_1)
	v_mul_f32_e32 v5, 0x2f800000, v3
	v_trunc_f32_e32 v5, v5
	s_delay_alu instid0(VALU_DEP_1) | instskip(SKIP_1) | instid1(VALU_DEP_2)
	v_fmac_f32_e32 v3, 0xcf800000, v5
	v_cvt_u32_f32_e32 v5, v5
	v_cvt_u32_f32_e32 v3, v3
	s_delay_alu instid0(VALU_DEP_2) | instskip(NEXT) | instid1(VALU_DEP_2)
	v_mul_lo_u32 v7, s0, v5
	v_mul_hi_u32 v8, s0, v3
	v_mul_lo_u32 v9, s45, v3
	s_delay_alu instid0(VALU_DEP_2) | instskip(SKIP_1) | instid1(VALU_DEP_2)
	v_add_nc_u32_e32 v7, v8, v7
	v_mul_lo_u32 v8, s0, v3
	v_add_nc_u32_e32 v7, v7, v9
	s_delay_alu instid0(VALU_DEP_2) | instskip(NEXT) | instid1(VALU_DEP_2)
	v_mul_hi_u32 v9, v3, v8
	v_mul_lo_u32 v12, v3, v7
	v_mul_hi_u32 v13, v3, v7
	v_mul_hi_u32 v14, v5, v8
	v_mul_lo_u32 v8, v5, v8
	v_mul_hi_u32 v15, v5, v7
	v_mul_lo_u32 v7, v5, v7
	v_add_co_u32 v9, vcc_lo, v9, v12
	v_add_co_ci_u32_e32 v12, vcc_lo, 0, v13, vcc_lo
	s_delay_alu instid0(VALU_DEP_2) | instskip(NEXT) | instid1(VALU_DEP_2)
	v_add_co_u32 v8, vcc_lo, v9, v8
	v_add_co_ci_u32_e32 v8, vcc_lo, v12, v14, vcc_lo
	v_add_co_ci_u32_e32 v9, vcc_lo, 0, v15, vcc_lo
	v_ashrrev_i32_e32 v15, 31, v11
	s_delay_alu instid0(VALU_DEP_3) | instskip(NEXT) | instid1(VALU_DEP_3)
	v_add_co_u32 v7, vcc_lo, v8, v7
	v_add_co_ci_u32_e32 v8, vcc_lo, 0, v9, vcc_lo
	s_delay_alu instid0(VALU_DEP_2) | instskip(NEXT) | instid1(VALU_DEP_2)
	v_add_co_u32 v3, vcc_lo, v3, v7
	v_add_co_ci_u32_e32 v5, vcc_lo, v5, v8, vcc_lo
	s_delay_alu instid0(VALU_DEP_2) | instskip(SKIP_1) | instid1(VALU_DEP_3)
	v_mul_hi_u32 v7, s0, v3
	v_mul_lo_u32 v9, s45, v3
	v_mul_lo_u32 v8, s0, v5
	s_delay_alu instid0(VALU_DEP_1) | instskip(SKIP_1) | instid1(VALU_DEP_2)
	v_add_nc_u32_e32 v7, v7, v8
	v_mul_lo_u32 v8, s0, v3
	v_add_nc_u32_e32 v7, v7, v9
	s_delay_alu instid0(VALU_DEP_2) | instskip(NEXT) | instid1(VALU_DEP_2)
	v_mul_hi_u32 v9, v3, v8
	v_mul_lo_u32 v12, v3, v7
	v_mul_hi_u32 v13, v3, v7
	v_mul_hi_u32 v14, v5, v8
	v_mul_lo_u32 v8, v5, v8
	v_mul_hi_u32 v16, v5, v7
	v_mul_lo_u32 v7, v5, v7
	v_add_co_u32 v9, vcc_lo, v9, v12
	v_add_co_ci_u32_e32 v12, vcc_lo, 0, v13, vcc_lo
	s_delay_alu instid0(VALU_DEP_2) | instskip(NEXT) | instid1(VALU_DEP_2)
	v_add_co_u32 v8, vcc_lo, v9, v8
	v_add_co_ci_u32_e32 v8, vcc_lo, v12, v14, vcc_lo
	v_add_co_ci_u32_e32 v9, vcc_lo, 0, v16, vcc_lo
	v_add_co_u32 v12, vcc_lo, v10, v15
	v_add_co_ci_u32_e32 v11, vcc_lo, v11, v15, vcc_lo
	s_delay_alu instid0(VALU_DEP_4) | instskip(NEXT) | instid1(VALU_DEP_4)
	v_add_co_u32 v7, vcc_lo, v8, v7
	v_add_co_ci_u32_e32 v8, vcc_lo, 0, v9, vcc_lo
	s_delay_alu instid0(VALU_DEP_4) | instskip(NEXT) | instid1(VALU_DEP_3)
	v_xor_b32_e32 v9, v12, v15
	v_add_co_u32 v3, vcc_lo, v3, v7
	s_delay_alu instid0(VALU_DEP_3) | instskip(SKIP_1) | instid1(VALU_DEP_3)
	v_add_co_ci_u32_e32 v5, vcc_lo, v5, v8, vcc_lo
	v_xor_b32_e32 v16, v11, v15
	v_mul_hi_u32 v17, v9, v3
	s_delay_alu instid0(VALU_DEP_3) | instskip(NEXT) | instid1(VALU_DEP_3)
	v_mad_u64_u32 v[7:8], null, v9, v5, 0
	v_mad_u64_u32 v[11:12], null, v16, v3, 0
	v_mad_u64_u32 v[13:14], null, v16, v5, 0
	s_delay_alu instid0(VALU_DEP_3) | instskip(NEXT) | instid1(VALU_DEP_4)
	v_add_co_u32 v3, vcc_lo, v17, v7
	v_add_co_ci_u32_e32 v5, vcc_lo, 0, v8, vcc_lo
	s_delay_alu instid0(VALU_DEP_2) | instskip(NEXT) | instid1(VALU_DEP_2)
	v_add_co_u32 v3, vcc_lo, v3, v11
	v_add_co_ci_u32_e32 v3, vcc_lo, v5, v12, vcc_lo
	v_add_co_ci_u32_e32 v5, vcc_lo, 0, v14, vcc_lo
	s_delay_alu instid0(VALU_DEP_2) | instskip(NEXT) | instid1(VALU_DEP_2)
	v_add_co_u32 v3, vcc_lo, v3, v13
	v_add_co_ci_u32_e32 v5, vcc_lo, 0, v5, vcc_lo
	s_delay_alu instid0(VALU_DEP_2) | instskip(SKIP_1) | instid1(VALU_DEP_3)
	v_mul_lo_u32 v11, s25, v3
	v_mad_u64_u32 v[7:8], null, s24, v3, 0
	v_mul_lo_u32 v12, s24, v5
	s_delay_alu instid0(VALU_DEP_2) | instskip(NEXT) | instid1(VALU_DEP_2)
	v_sub_co_u32 v7, vcc_lo, v9, v7
	v_add3_u32 v8, v8, v12, v11
	s_delay_alu instid0(VALU_DEP_1) | instskip(NEXT) | instid1(VALU_DEP_1)
	v_sub_nc_u32_e32 v11, v16, v8
	v_subrev_co_ci_u32_e64 v9, s0, s25, v11, vcc_lo
	v_add_co_u32 v11, s0, v3, 2
	s_delay_alu instid0(VALU_DEP_1) | instskip(SKIP_3) | instid1(VALU_DEP_3)
	v_add_co_ci_u32_e64 v12, s0, 0, v5, s0
	v_sub_co_u32 v13, s0, v7, s24
	v_sub_co_ci_u32_e32 v8, vcc_lo, v16, v8, vcc_lo
	v_subrev_co_ci_u32_e64 v9, s0, 0, v9, s0
	v_cmp_le_u32_e32 vcc_lo, s24, v13
	s_delay_alu instid0(VALU_DEP_3) | instskip(SKIP_1) | instid1(VALU_DEP_4)
	v_cmp_eq_u32_e64 s0, s25, v8
	v_cndmask_b32_e64 v13, 0, -1, vcc_lo
	v_cmp_le_u32_e32 vcc_lo, s25, v9
	v_cndmask_b32_e64 v14, 0, -1, vcc_lo
	v_cmp_le_u32_e32 vcc_lo, s24, v7
	;; [unrolled: 2-line block ×3, first 2 shown]
	v_cndmask_b32_e64 v16, 0, -1, vcc_lo
	v_cmp_eq_u32_e32 vcc_lo, s25, v9
	s_delay_alu instid0(VALU_DEP_2) | instskip(SKIP_3) | instid1(VALU_DEP_3)
	v_cndmask_b32_e64 v7, v16, v7, s0
	v_cndmask_b32_e32 v9, v14, v13, vcc_lo
	v_add_co_u32 v13, vcc_lo, v3, 1
	v_add_co_ci_u32_e32 v14, vcc_lo, 0, v5, vcc_lo
	v_cmp_ne_u32_e32 vcc_lo, 0, v9
	s_delay_alu instid0(VALU_DEP_2) | instskip(SKIP_2) | instid1(VALU_DEP_3)
	v_dual_cndmask_b32 v8, v14, v12 :: v_dual_cndmask_b32 v9, v13, v11
	v_cmp_ne_u32_e32 vcc_lo, 0, v7
	v_xor_b32_e32 v7, s22, v15
	v_cndmask_b32_e32 v3, v3, v9, vcc_lo
	s_delay_alu instid0(VALU_DEP_4) | instskip(SKIP_1) | instid1(VALU_DEP_3)
	v_cndmask_b32_e32 v5, v5, v8, vcc_lo
	v_xor_b32_e32 v9, s23, v15
	v_xor_b32_e32 v3, v3, v7
	s_delay_alu instid0(VALU_DEP_2) | instskip(NEXT) | instid1(VALU_DEP_2)
	v_xor_b32_e32 v5, v5, v9
	v_sub_co_u32 v8, vcc_lo, v3, v7
	s_delay_alu instid0(VALU_DEP_2)
	v_sub_co_ci_u32_e32 v9, vcc_lo, v5, v9, vcc_lo
.LBB1_16:                               ;   in Loop: Header=BB1_14 Depth=2
	s_and_not1_saveexec_b32 s0, s44
	s_cbranch_execz .LBB1_18
; %bb.17:                               ;   in Loop: Header=BB1_14 Depth=2
	v_cvt_f32_u32_e32 v3, s43
	s_sub_i32 s22, 0, s43
	v_mov_b32_e32 v9, v2
	s_delay_alu instid0(VALU_DEP_2) | instskip(SKIP_2) | instid1(VALU_DEP_1)
	v_rcp_iflag_f32_e32 v3, v3
	s_waitcnt_depctr 0xfff
	v_mul_f32_e32 v3, 0x4f7ffffe, v3
	v_cvt_u32_f32_e32 v3, v3
	s_delay_alu instid0(VALU_DEP_1) | instskip(NEXT) | instid1(VALU_DEP_1)
	v_mul_lo_u32 v5, s22, v3
	v_mul_hi_u32 v5, v3, v5
	s_delay_alu instid0(VALU_DEP_1) | instskip(NEXT) | instid1(VALU_DEP_1)
	v_add_nc_u32_e32 v3, v3, v5
	v_mul_hi_u32 v3, v10, v3
	s_delay_alu instid0(VALU_DEP_1) | instskip(SKIP_1) | instid1(VALU_DEP_2)
	v_mul_lo_u32 v5, v3, s43
	v_add_nc_u32_e32 v7, 1, v3
	v_sub_nc_u32_e32 v5, v10, v5
	s_delay_alu instid0(VALU_DEP_1) | instskip(SKIP_1) | instid1(VALU_DEP_4)
	v_cmp_le_u32_e32 vcc_lo, s43, v5
	v_subrev_nc_u32_e32 v8, s43, v5
	v_cndmask_b32_e32 v3, v3, v7, vcc_lo
	s_delay_alu instid0(VALU_DEP_1) | instskip(NEXT) | instid1(VALU_DEP_3)
	v_add_nc_u32_e32 v7, 1, v3
	v_cndmask_b32_e32 v5, v5, v8, vcc_lo
	s_delay_alu instid0(VALU_DEP_1) | instskip(NEXT) | instid1(VALU_DEP_3)
	v_cmp_le_u32_e32 vcc_lo, s43, v5
	v_cndmask_b32_e32 v8, v3, v7, vcc_lo
.LBB1_18:                               ;   in Loop: Header=BB1_14 Depth=2
	s_or_b32 exec_lo, exec_lo, s0
	s_add_u32 s20, s31, s20
	s_addc_u32 s21, s33, s21
	s_clause 0x1
	s_load_b32 s0, s[18:19], 0x6c
	s_load_b32 s18, s[20:21], 0x0
	v_mul_lo_u32 v3, v8, s43
	s_add_i32 s16, s16, -1
	s_delay_alu instid0(VALU_DEP_1) | instskip(SKIP_1) | instid1(VALU_DEP_1)
	v_sub_nc_u32_e32 v3, v10, v3
	s_waitcnt lgkmcnt(0)
	v_mad_u64_u32 v[10:11], null, s0, v3, v[6:7]
	v_mad_u64_u32 v[5:6], null, s18, v3, v[4:5]
	s_xor_b32 s0, s35, s42
	s_add_i32 s42, s42, 1
	s_cmp_lg_u32 s0, 2
	s_delay_alu instid0(VALU_DEP_2) | instskip(NEXT) | instid1(VALU_DEP_2)
	v_mov_b32_e32 v6, v10
	v_mov_b32_e32 v4, v5
	s_cbranch_scc0 .LBB1_21
; %bb.19:                               ;   in Loop: Header=BB1_14 Depth=2
	v_dual_mov_b32 v11, v9 :: v_dual_mov_b32 v10, v8
	s_branch .LBB1_14
.LBB1_20:                               ;   in Loop: Header=BB1_3 Depth=1
	s_mov_b32 s16, s34
.LBB1_21:                               ;   in Loop: Header=BB1_3 Depth=1
	s_and_b32 vcc_lo, exec_lo, s38
	s_cbranch_vccz .LBB1_40
.LBB1_22:                               ;   Parent Loop BB1_3 Depth=1
                                        ; =>  This Inner Loop Header: Depth=2
	s_lshl_b64 s[18:19], s[16:17], 2
                                        ; implicit-def: $vgpr10_vgpr11
	s_mov_b32 s22, exec_lo
	s_add_u32 s20, s27, s18
	s_addc_u32 s21, s28, s19
	s_load_b32 s42, s[20:21], 0x8
	s_waitcnt lgkmcnt(0)
	s_ashr_i32 s0, s42, 31
	s_delay_alu instid0(SALU_CYCLE_1) | instskip(NEXT) | instid1(VALU_DEP_1)
	v_or_b32_e32 v3, s0, v9
	v_cmpx_ne_u64_e32 0, v[2:3]
	s_xor_b32 s43, exec_lo, s22
	s_cbranch_execz .LBB1_24
; %bb.23:                               ;   in Loop: Header=BB1_22 Depth=2
	s_add_u32 s24, s42, s0
	s_mov_b32 s22, s0
	s_mov_b32 s23, s0
	s_addc_u32 s25, s0, s0
	s_delay_alu instid0(SALU_CYCLE_1) | instskip(NEXT) | instid1(SALU_CYCLE_1)
	s_xor_b64 s[24:25], s[24:25], s[22:23]
	v_cvt_f32_u32_e32 v3, s24
	v_cvt_f32_u32_e32 v5, s25
	s_sub_u32 s0, 0, s24
	s_subb_u32 s44, 0, s25
	s_delay_alu instid0(VALU_DEP_1) | instskip(NEXT) | instid1(VALU_DEP_1)
	v_fmac_f32_e32 v3, 0x4f800000, v5
	v_rcp_f32_e32 v3, v3
	s_waitcnt_depctr 0xfff
	v_mul_f32_e32 v3, 0x5f7ffffc, v3
	s_delay_alu instid0(VALU_DEP_1) | instskip(NEXT) | instid1(VALU_DEP_1)
	v_mul_f32_e32 v5, 0x2f800000, v3
	v_trunc_f32_e32 v5, v5
	s_delay_alu instid0(VALU_DEP_1) | instskip(SKIP_1) | instid1(VALU_DEP_2)
	v_fmac_f32_e32 v3, 0xcf800000, v5
	v_cvt_u32_f32_e32 v5, v5
	v_cvt_u32_f32_e32 v3, v3
	s_delay_alu instid0(VALU_DEP_2) | instskip(NEXT) | instid1(VALU_DEP_2)
	v_mul_lo_u32 v7, s0, v5
	v_mul_hi_u32 v10, s0, v3
	v_mul_lo_u32 v11, s44, v3
	s_delay_alu instid0(VALU_DEP_2) | instskip(SKIP_1) | instid1(VALU_DEP_2)
	v_add_nc_u32_e32 v7, v10, v7
	v_mul_lo_u32 v10, s0, v3
	v_add_nc_u32_e32 v7, v7, v11
	s_delay_alu instid0(VALU_DEP_2) | instskip(NEXT) | instid1(VALU_DEP_2)
	v_mul_hi_u32 v11, v3, v10
	v_mul_lo_u32 v12, v3, v7
	v_mul_hi_u32 v13, v3, v7
	v_mul_hi_u32 v14, v5, v10
	v_mul_lo_u32 v10, v5, v10
	v_mul_hi_u32 v15, v5, v7
	v_mul_lo_u32 v7, v5, v7
	v_add_co_u32 v11, vcc_lo, v11, v12
	v_add_co_ci_u32_e32 v12, vcc_lo, 0, v13, vcc_lo
	s_delay_alu instid0(VALU_DEP_2) | instskip(NEXT) | instid1(VALU_DEP_2)
	v_add_co_u32 v10, vcc_lo, v11, v10
	v_add_co_ci_u32_e32 v10, vcc_lo, v12, v14, vcc_lo
	v_add_co_ci_u32_e32 v11, vcc_lo, 0, v15, vcc_lo
	v_ashrrev_i32_e32 v15, 31, v9
	s_delay_alu instid0(VALU_DEP_3) | instskip(NEXT) | instid1(VALU_DEP_3)
	v_add_co_u32 v7, vcc_lo, v10, v7
	v_add_co_ci_u32_e32 v10, vcc_lo, 0, v11, vcc_lo
	s_delay_alu instid0(VALU_DEP_2) | instskip(NEXT) | instid1(VALU_DEP_2)
	v_add_co_u32 v3, vcc_lo, v3, v7
	v_add_co_ci_u32_e32 v5, vcc_lo, v5, v10, vcc_lo
	s_delay_alu instid0(VALU_DEP_2) | instskip(SKIP_1) | instid1(VALU_DEP_3)
	v_mul_hi_u32 v7, s0, v3
	v_mul_lo_u32 v11, s44, v3
	v_mul_lo_u32 v10, s0, v5
	s_delay_alu instid0(VALU_DEP_1) | instskip(SKIP_1) | instid1(VALU_DEP_2)
	v_add_nc_u32_e32 v7, v7, v10
	v_mul_lo_u32 v10, s0, v3
	v_add_nc_u32_e32 v7, v7, v11
	s_delay_alu instid0(VALU_DEP_2) | instskip(NEXT) | instid1(VALU_DEP_2)
	v_mul_hi_u32 v11, v3, v10
	v_mul_lo_u32 v12, v3, v7
	v_mul_hi_u32 v13, v3, v7
	v_mul_hi_u32 v14, v5, v10
	v_mul_lo_u32 v10, v5, v10
	v_mul_hi_u32 v16, v5, v7
	v_mul_lo_u32 v7, v5, v7
	v_add_co_u32 v11, vcc_lo, v11, v12
	v_add_co_ci_u32_e32 v12, vcc_lo, 0, v13, vcc_lo
	s_delay_alu instid0(VALU_DEP_2) | instskip(NEXT) | instid1(VALU_DEP_2)
	v_add_co_u32 v10, vcc_lo, v11, v10
	v_add_co_ci_u32_e32 v10, vcc_lo, v12, v14, vcc_lo
	v_add_co_ci_u32_e32 v11, vcc_lo, 0, v16, vcc_lo
	v_add_co_u32 v12, vcc_lo, v8, v15
	v_add_co_ci_u32_e32 v9, vcc_lo, v9, v15, vcc_lo
	s_delay_alu instid0(VALU_DEP_4) | instskip(NEXT) | instid1(VALU_DEP_4)
	v_add_co_u32 v7, vcc_lo, v10, v7
	v_add_co_ci_u32_e32 v10, vcc_lo, 0, v11, vcc_lo
	s_delay_alu instid0(VALU_DEP_4) | instskip(NEXT) | instid1(VALU_DEP_3)
	v_xor_b32_e32 v16, v12, v15
	v_add_co_u32 v3, vcc_lo, v3, v7
	s_delay_alu instid0(VALU_DEP_3) | instskip(SKIP_1) | instid1(VALU_DEP_3)
	v_add_co_ci_u32_e32 v5, vcc_lo, v5, v10, vcc_lo
	v_xor_b32_e32 v7, v9, v15
	v_mul_hi_u32 v17, v16, v3
	s_delay_alu instid0(VALU_DEP_3) | instskip(NEXT) | instid1(VALU_DEP_3)
	v_mad_u64_u32 v[9:10], null, v16, v5, 0
	v_mad_u64_u32 v[11:12], null, v7, v3, 0
	v_mad_u64_u32 v[13:14], null, v7, v5, 0
	s_delay_alu instid0(VALU_DEP_3) | instskip(NEXT) | instid1(VALU_DEP_4)
	v_add_co_u32 v3, vcc_lo, v17, v9
	v_add_co_ci_u32_e32 v5, vcc_lo, 0, v10, vcc_lo
	s_delay_alu instid0(VALU_DEP_2) | instskip(NEXT) | instid1(VALU_DEP_2)
	v_add_co_u32 v3, vcc_lo, v3, v11
	v_add_co_ci_u32_e32 v3, vcc_lo, v5, v12, vcc_lo
	v_add_co_ci_u32_e32 v5, vcc_lo, 0, v14, vcc_lo
	s_delay_alu instid0(VALU_DEP_2) | instskip(NEXT) | instid1(VALU_DEP_2)
	v_add_co_u32 v3, vcc_lo, v3, v13
	v_add_co_ci_u32_e32 v5, vcc_lo, 0, v5, vcc_lo
	s_delay_alu instid0(VALU_DEP_2) | instskip(SKIP_1) | instid1(VALU_DEP_3)
	v_mul_lo_u32 v11, s25, v3
	v_mad_u64_u32 v[9:10], null, s24, v3, 0
	v_mul_lo_u32 v12, s24, v5
	s_delay_alu instid0(VALU_DEP_2) | instskip(NEXT) | instid1(VALU_DEP_2)
	v_sub_co_u32 v9, vcc_lo, v16, v9
	v_add3_u32 v10, v10, v12, v11
	s_delay_alu instid0(VALU_DEP_1) | instskip(NEXT) | instid1(VALU_DEP_1)
	v_sub_nc_u32_e32 v11, v7, v10
	v_subrev_co_ci_u32_e64 v11, s0, s25, v11, vcc_lo
	v_add_co_u32 v12, s0, v3, 2
	s_delay_alu instid0(VALU_DEP_1) | instskip(SKIP_3) | instid1(VALU_DEP_3)
	v_add_co_ci_u32_e64 v13, s0, 0, v5, s0
	v_sub_co_u32 v14, s0, v9, s24
	v_sub_co_ci_u32_e32 v7, vcc_lo, v7, v10, vcc_lo
	v_subrev_co_ci_u32_e64 v11, s0, 0, v11, s0
	v_cmp_le_u32_e32 vcc_lo, s24, v14
	s_delay_alu instid0(VALU_DEP_3) | instskip(SKIP_1) | instid1(VALU_DEP_4)
	v_cmp_eq_u32_e64 s0, s25, v7
	v_cndmask_b32_e64 v10, 0, -1, vcc_lo
	v_cmp_le_u32_e32 vcc_lo, s25, v11
	v_cndmask_b32_e64 v14, 0, -1, vcc_lo
	v_cmp_le_u32_e32 vcc_lo, s24, v9
	v_cndmask_b32_e64 v9, 0, -1, vcc_lo
	v_cmp_le_u32_e32 vcc_lo, s25, v7
	v_cndmask_b32_e64 v16, 0, -1, vcc_lo
	v_cmp_eq_u32_e32 vcc_lo, s25, v11
	s_delay_alu instid0(VALU_DEP_2) | instskip(SKIP_3) | instid1(VALU_DEP_3)
	v_cndmask_b32_e64 v7, v16, v9, s0
	v_cndmask_b32_e32 v10, v14, v10, vcc_lo
	v_add_co_u32 v11, vcc_lo, v3, 1
	v_add_co_ci_u32_e32 v14, vcc_lo, 0, v5, vcc_lo
	v_cmp_ne_u32_e32 vcc_lo, 0, v10
	s_delay_alu instid0(VALU_DEP_2) | instskip(SKIP_2) | instid1(VALU_DEP_3)
	v_dual_cndmask_b32 v10, v11, v12 :: v_dual_cndmask_b32 v9, v14, v13
	v_cmp_ne_u32_e32 vcc_lo, 0, v7
	v_xor_b32_e32 v7, s22, v15
	v_cndmask_b32_e32 v3, v3, v10, vcc_lo
	s_delay_alu instid0(VALU_DEP_4) | instskip(SKIP_1) | instid1(VALU_DEP_3)
	v_cndmask_b32_e32 v5, v5, v9, vcc_lo
	v_xor_b32_e32 v9, s23, v15
	v_xor_b32_e32 v3, v3, v7
	s_delay_alu instid0(VALU_DEP_2) | instskip(NEXT) | instid1(VALU_DEP_2)
	v_xor_b32_e32 v5, v5, v9
	v_sub_co_u32 v10, vcc_lo, v3, v7
	s_delay_alu instid0(VALU_DEP_2)
	v_sub_co_ci_u32_e32 v11, vcc_lo, v5, v9, vcc_lo
.LBB1_24:                               ;   in Loop: Header=BB1_22 Depth=2
	s_and_not1_saveexec_b32 s0, s43
	s_cbranch_execz .LBB1_26
; %bb.25:                               ;   in Loop: Header=BB1_22 Depth=2
	v_cvt_f32_u32_e32 v3, s42
	s_sub_i32 s22, 0, s42
	v_mov_b32_e32 v11, v2
	s_delay_alu instid0(VALU_DEP_2) | instskip(SKIP_2) | instid1(VALU_DEP_1)
	v_rcp_iflag_f32_e32 v3, v3
	s_waitcnt_depctr 0xfff
	v_mul_f32_e32 v3, 0x4f7ffffe, v3
	v_cvt_u32_f32_e32 v3, v3
	s_delay_alu instid0(VALU_DEP_1) | instskip(NEXT) | instid1(VALU_DEP_1)
	v_mul_lo_u32 v5, s22, v3
	v_mul_hi_u32 v5, v3, v5
	s_delay_alu instid0(VALU_DEP_1) | instskip(NEXT) | instid1(VALU_DEP_1)
	v_add_nc_u32_e32 v3, v3, v5
	v_mul_hi_u32 v3, v8, v3
	s_delay_alu instid0(VALU_DEP_1) | instskip(SKIP_1) | instid1(VALU_DEP_2)
	v_mul_lo_u32 v5, v3, s42
	v_add_nc_u32_e32 v7, 1, v3
	v_sub_nc_u32_e32 v5, v8, v5
	s_delay_alu instid0(VALU_DEP_1) | instskip(SKIP_1) | instid1(VALU_DEP_4)
	v_cmp_le_u32_e32 vcc_lo, s42, v5
	v_subrev_nc_u32_e32 v9, s42, v5
	v_cndmask_b32_e32 v3, v3, v7, vcc_lo
	s_delay_alu instid0(VALU_DEP_1) | instskip(NEXT) | instid1(VALU_DEP_3)
	v_add_nc_u32_e32 v7, 1, v3
	v_cndmask_b32_e32 v5, v5, v9, vcc_lo
	s_delay_alu instid0(VALU_DEP_1) | instskip(NEXT) | instid1(VALU_DEP_3)
	v_cmp_le_u32_e32 vcc_lo, s42, v5
	v_cndmask_b32_e32 v10, v3, v7, vcc_lo
.LBB1_26:                               ;   in Loop: Header=BB1_22 Depth=2
	s_or_b32 exec_lo, exec_lo, s0
	s_add_u32 s24, s31, s18
	s_addc_u32 s25, s33, s19
	s_add_i32 s18, s16, -1
	s_mov_b32 s19, s17
                                        ; implicit-def: $vgpr12_vgpr13
	s_delay_alu instid0(SALU_CYCLE_1) | instskip(NEXT) | instid1(SALU_CYCLE_1)
	s_lshl_b64 s[22:23], s[18:19], 2
	s_add_u32 s18, s27, s22
	s_addc_u32 s19, s28, s23
	s_clause 0x2
	s_load_b32 s45, s[18:19], 0x8
	s_load_b32 s43, s[20:21], 0x6c
	;; [unrolled: 1-line block ×3, first 2 shown]
	s_mov_b32 s20, exec_lo
	s_waitcnt lgkmcnt(0)
	s_ashr_i32 s0, s45, 31
	s_delay_alu instid0(SALU_CYCLE_1) | instskip(NEXT) | instid1(VALU_DEP_1)
	v_or_b32_e32 v3, s0, v11
	v_cmpx_ne_u64_e32 0, v[2:3]
	s_xor_b32 s46, exec_lo, s20
	s_cbranch_execz .LBB1_28
; %bb.27:                               ;   in Loop: Header=BB1_22 Depth=2
	s_add_u32 s24, s45, s0
	s_mov_b32 s20, s0
	s_mov_b32 s21, s0
	s_addc_u32 s25, s0, s0
	v_ashrrev_i32_e32 v17, 31, v11
	s_xor_b64 s[24:25], s[24:25], s[20:21]
	s_delay_alu instid0(SALU_CYCLE_1) | instskip(SKIP_3) | instid1(VALU_DEP_1)
	v_cvt_f32_u32_e32 v3, s24
	v_cvt_f32_u32_e32 v5, s25
	s_sub_u32 s0, 0, s24
	s_subb_u32 s47, 0, s25
	v_fmac_f32_e32 v3, 0x4f800000, v5
	s_delay_alu instid0(VALU_DEP_1) | instskip(SKIP_2) | instid1(VALU_DEP_1)
	v_rcp_f32_e32 v3, v3
	s_waitcnt_depctr 0xfff
	v_mul_f32_e32 v3, 0x5f7ffffc, v3
	v_mul_f32_e32 v5, 0x2f800000, v3
	s_delay_alu instid0(VALU_DEP_1) | instskip(NEXT) | instid1(VALU_DEP_1)
	v_trunc_f32_e32 v5, v5
	v_fmac_f32_e32 v3, 0xcf800000, v5
	v_cvt_u32_f32_e32 v5, v5
	s_delay_alu instid0(VALU_DEP_2) | instskip(NEXT) | instid1(VALU_DEP_2)
	v_cvt_u32_f32_e32 v3, v3
	v_mul_lo_u32 v7, s0, v5
	s_delay_alu instid0(VALU_DEP_2) | instskip(SKIP_1) | instid1(VALU_DEP_2)
	v_mul_hi_u32 v9, s0, v3
	v_mul_lo_u32 v12, s47, v3
	v_add_nc_u32_e32 v7, v9, v7
	v_mul_lo_u32 v9, s0, v3
	s_delay_alu instid0(VALU_DEP_2) | instskip(NEXT) | instid1(VALU_DEP_2)
	v_add_nc_u32_e32 v7, v7, v12
	v_mul_hi_u32 v12, v3, v9
	s_delay_alu instid0(VALU_DEP_2)
	v_mul_lo_u32 v13, v3, v7
	v_mul_hi_u32 v14, v3, v7
	v_mul_hi_u32 v15, v5, v9
	v_mul_lo_u32 v9, v5, v9
	v_mul_hi_u32 v16, v5, v7
	v_mul_lo_u32 v7, v5, v7
	v_add_co_u32 v12, vcc_lo, v12, v13
	v_add_co_ci_u32_e32 v13, vcc_lo, 0, v14, vcc_lo
	s_delay_alu instid0(VALU_DEP_2) | instskip(NEXT) | instid1(VALU_DEP_2)
	v_add_co_u32 v9, vcc_lo, v12, v9
	v_add_co_ci_u32_e32 v9, vcc_lo, v13, v15, vcc_lo
	v_add_co_ci_u32_e32 v12, vcc_lo, 0, v16, vcc_lo
	s_delay_alu instid0(VALU_DEP_2) | instskip(NEXT) | instid1(VALU_DEP_2)
	v_add_co_u32 v7, vcc_lo, v9, v7
	v_add_co_ci_u32_e32 v9, vcc_lo, 0, v12, vcc_lo
	s_delay_alu instid0(VALU_DEP_2) | instskip(NEXT) | instid1(VALU_DEP_2)
	v_add_co_u32 v3, vcc_lo, v3, v7
	v_add_co_ci_u32_e32 v5, vcc_lo, v5, v9, vcc_lo
	s_delay_alu instid0(VALU_DEP_2) | instskip(SKIP_1) | instid1(VALU_DEP_3)
	v_mul_hi_u32 v7, s0, v3
	v_mul_lo_u32 v12, s47, v3
	v_mul_lo_u32 v9, s0, v5
	s_delay_alu instid0(VALU_DEP_1) | instskip(SKIP_1) | instid1(VALU_DEP_2)
	v_add_nc_u32_e32 v7, v7, v9
	v_mul_lo_u32 v9, s0, v3
	v_add_nc_u32_e32 v7, v7, v12
	s_delay_alu instid0(VALU_DEP_2) | instskip(NEXT) | instid1(VALU_DEP_2)
	v_mul_hi_u32 v12, v3, v9
	v_mul_lo_u32 v13, v3, v7
	v_mul_hi_u32 v14, v3, v7
	v_mul_hi_u32 v15, v5, v9
	v_mul_lo_u32 v9, v5, v9
	v_mul_hi_u32 v16, v5, v7
	v_mul_lo_u32 v7, v5, v7
	v_add_co_u32 v12, vcc_lo, v12, v13
	v_add_co_ci_u32_e32 v13, vcc_lo, 0, v14, vcc_lo
	s_delay_alu instid0(VALU_DEP_2) | instskip(NEXT) | instid1(VALU_DEP_2)
	v_add_co_u32 v9, vcc_lo, v12, v9
	v_add_co_ci_u32_e32 v9, vcc_lo, v13, v15, vcc_lo
	v_add_co_ci_u32_e32 v12, vcc_lo, 0, v16, vcc_lo
	v_add_co_u32 v13, vcc_lo, v10, v17
	v_add_co_ci_u32_e32 v11, vcc_lo, v11, v17, vcc_lo
	s_delay_alu instid0(VALU_DEP_4) | instskip(NEXT) | instid1(VALU_DEP_4)
	v_add_co_u32 v7, vcc_lo, v9, v7
	v_add_co_ci_u32_e32 v9, vcc_lo, 0, v12, vcc_lo
	s_delay_alu instid0(VALU_DEP_4) | instskip(NEXT) | instid1(VALU_DEP_3)
	v_xor_b32_e32 v21, v13, v17
	v_add_co_u32 v3, vcc_lo, v3, v7
	s_delay_alu instid0(VALU_DEP_3) | instskip(SKIP_1) | instid1(VALU_DEP_3)
	v_add_co_ci_u32_e32 v5, vcc_lo, v5, v9, vcc_lo
	v_xor_b32_e32 v7, v11, v17
	v_mul_hi_u32 v9, v21, v3
	s_delay_alu instid0(VALU_DEP_3) | instskip(NEXT) | instid1(VALU_DEP_3)
	v_mad_u64_u32 v[11:12], null, v21, v5, 0
	v_mad_u64_u32 v[13:14], null, v7, v3, 0
	;; [unrolled: 1-line block ×3, first 2 shown]
	s_delay_alu instid0(VALU_DEP_3) | instskip(NEXT) | instid1(VALU_DEP_4)
	v_add_co_u32 v3, vcc_lo, v9, v11
	v_add_co_ci_u32_e32 v5, vcc_lo, 0, v12, vcc_lo
	s_delay_alu instid0(VALU_DEP_2) | instskip(NEXT) | instid1(VALU_DEP_2)
	v_add_co_u32 v3, vcc_lo, v3, v13
	v_add_co_ci_u32_e32 v3, vcc_lo, v5, v14, vcc_lo
	v_add_co_ci_u32_e32 v5, vcc_lo, 0, v16, vcc_lo
	s_delay_alu instid0(VALU_DEP_2) | instskip(NEXT) | instid1(VALU_DEP_2)
	v_add_co_u32 v3, vcc_lo, v3, v15
	v_add_co_ci_u32_e32 v5, vcc_lo, 0, v5, vcc_lo
	s_delay_alu instid0(VALU_DEP_2) | instskip(SKIP_1) | instid1(VALU_DEP_3)
	v_mul_lo_u32 v9, s25, v3
	v_mad_u64_u32 v[11:12], null, s24, v3, 0
	v_mul_lo_u32 v13, s24, v5
	s_delay_alu instid0(VALU_DEP_2) | instskip(NEXT) | instid1(VALU_DEP_2)
	v_sub_co_u32 v11, vcc_lo, v21, v11
	v_add3_u32 v9, v12, v13, v9
	s_delay_alu instid0(VALU_DEP_1) | instskip(NEXT) | instid1(VALU_DEP_1)
	v_sub_nc_u32_e32 v12, v7, v9
	v_subrev_co_ci_u32_e64 v12, s0, s25, v12, vcc_lo
	v_add_co_u32 v13, s0, v3, 2
	s_delay_alu instid0(VALU_DEP_1) | instskip(SKIP_3) | instid1(VALU_DEP_3)
	v_add_co_ci_u32_e64 v14, s0, 0, v5, s0
	v_sub_co_u32 v15, s0, v11, s24
	v_sub_co_ci_u32_e32 v7, vcc_lo, v7, v9, vcc_lo
	v_subrev_co_ci_u32_e64 v12, s0, 0, v12, s0
	v_cmp_le_u32_e32 vcc_lo, s24, v15
	s_delay_alu instid0(VALU_DEP_3) | instskip(SKIP_1) | instid1(VALU_DEP_4)
	v_cmp_eq_u32_e64 s0, s25, v7
	v_cndmask_b32_e64 v9, 0, -1, vcc_lo
	v_cmp_le_u32_e32 vcc_lo, s25, v12
	v_cndmask_b32_e64 v15, 0, -1, vcc_lo
	v_cmp_le_u32_e32 vcc_lo, s24, v11
	;; [unrolled: 2-line block ×3, first 2 shown]
	v_cndmask_b32_e64 v16, 0, -1, vcc_lo
	v_cmp_eq_u32_e32 vcc_lo, s25, v12
	s_delay_alu instid0(VALU_DEP_2) | instskip(SKIP_3) | instid1(VALU_DEP_3)
	v_cndmask_b32_e64 v7, v16, v11, s0
	v_cndmask_b32_e32 v9, v15, v9, vcc_lo
	v_add_co_u32 v12, vcc_lo, v3, 1
	v_add_co_ci_u32_e32 v15, vcc_lo, 0, v5, vcc_lo
	v_cmp_ne_u32_e32 vcc_lo, 0, v9
	s_delay_alu instid0(VALU_DEP_2) | instskip(NEXT) | instid1(VALU_DEP_4)
	v_cndmask_b32_e32 v9, v15, v14, vcc_lo
	v_cndmask_b32_e32 v11, v12, v13, vcc_lo
	v_cmp_ne_u32_e32 vcc_lo, 0, v7
	v_xor_b32_e32 v7, s20, v17
	s_delay_alu instid0(VALU_DEP_3) | instskip(SKIP_2) | instid1(VALU_DEP_3)
	v_cndmask_b32_e32 v3, v3, v11, vcc_lo
	v_cndmask_b32_e32 v5, v5, v9, vcc_lo
	v_xor_b32_e32 v9, s21, v17
	v_xor_b32_e32 v3, v3, v7
	s_delay_alu instid0(VALU_DEP_2) | instskip(NEXT) | instid1(VALU_DEP_2)
	v_xor_b32_e32 v5, v5, v9
	v_sub_co_u32 v12, vcc_lo, v3, v7
	s_delay_alu instid0(VALU_DEP_2)
	v_sub_co_ci_u32_e32 v13, vcc_lo, v5, v9, vcc_lo
.LBB1_28:                               ;   in Loop: Header=BB1_22 Depth=2
	s_and_not1_saveexec_b32 s0, s46
	s_cbranch_execz .LBB1_30
; %bb.29:                               ;   in Loop: Header=BB1_22 Depth=2
	v_cvt_f32_u32_e32 v3, s45
	s_sub_i32 s20, 0, s45
	v_mov_b32_e32 v13, v2
	s_delay_alu instid0(VALU_DEP_2) | instskip(SKIP_2) | instid1(VALU_DEP_1)
	v_rcp_iflag_f32_e32 v3, v3
	s_waitcnt_depctr 0xfff
	v_mul_f32_e32 v3, 0x4f7ffffe, v3
	v_cvt_u32_f32_e32 v3, v3
	s_delay_alu instid0(VALU_DEP_1) | instskip(NEXT) | instid1(VALU_DEP_1)
	v_mul_lo_u32 v5, s20, v3
	v_mul_hi_u32 v5, v3, v5
	s_delay_alu instid0(VALU_DEP_1) | instskip(NEXT) | instid1(VALU_DEP_1)
	v_add_nc_u32_e32 v3, v3, v5
	v_mul_hi_u32 v3, v10, v3
	s_delay_alu instid0(VALU_DEP_1) | instskip(SKIP_1) | instid1(VALU_DEP_2)
	v_mul_lo_u32 v5, v3, s45
	v_add_nc_u32_e32 v7, 1, v3
	v_sub_nc_u32_e32 v5, v10, v5
	s_delay_alu instid0(VALU_DEP_1) | instskip(SKIP_1) | instid1(VALU_DEP_4)
	v_cmp_le_u32_e32 vcc_lo, s45, v5
	v_subrev_nc_u32_e32 v9, s45, v5
	v_cndmask_b32_e32 v3, v3, v7, vcc_lo
	s_delay_alu instid0(VALU_DEP_1) | instskip(NEXT) | instid1(VALU_DEP_3)
	v_add_nc_u32_e32 v7, 1, v3
	v_cndmask_b32_e32 v5, v5, v9, vcc_lo
	s_delay_alu instid0(VALU_DEP_1) | instskip(NEXT) | instid1(VALU_DEP_3)
	v_cmp_le_u32_e32 vcc_lo, s45, v5
	v_cndmask_b32_e32 v12, v3, v7, vcc_lo
.LBB1_30:                               ;   in Loop: Header=BB1_22 Depth=2
	s_or_b32 exec_lo, exec_lo, s0
	s_add_u32 s24, s31, s22
	s_addc_u32 s25, s33, s23
	s_add_i32 s20, s16, -2
	s_mov_b32 s21, s17
                                        ; implicit-def: $vgpr14_vgpr15
	s_delay_alu instid0(SALU_CYCLE_1) | instskip(NEXT) | instid1(SALU_CYCLE_1)
	s_lshl_b64 s[20:21], s[20:21], 2
	s_add_u32 s22, s27, s20
	s_addc_u32 s23, s28, s21
	s_clause 0x2
	s_load_b32 s48, s[22:23], 0x8
	s_load_b32 s46, s[18:19], 0x6c
	;; [unrolled: 1-line block ×3, first 2 shown]
	s_mov_b32 s18, exec_lo
	s_waitcnt lgkmcnt(0)
	s_ashr_i32 s0, s48, 31
	s_delay_alu instid0(SALU_CYCLE_1) | instskip(NEXT) | instid1(VALU_DEP_1)
	v_or_b32_e32 v3, s0, v13
	v_cmpx_ne_u64_e32 0, v[2:3]
	s_xor_b32 s49, exec_lo, s18
	s_cbranch_execz .LBB1_32
; %bb.31:                               ;   in Loop: Header=BB1_22 Depth=2
	s_add_u32 s24, s48, s0
	s_mov_b32 s18, s0
	s_mov_b32 s19, s0
	s_addc_u32 s25, s0, s0
	s_delay_alu instid0(SALU_CYCLE_1) | instskip(NEXT) | instid1(SALU_CYCLE_1)
	s_xor_b64 s[24:25], s[24:25], s[18:19]
	v_cvt_f32_u32_e32 v3, s24
	v_cvt_f32_u32_e32 v5, s25
	s_sub_u32 s0, 0, s24
	s_subb_u32 s50, 0, s25
	s_delay_alu instid0(VALU_DEP_1) | instskip(NEXT) | instid1(VALU_DEP_1)
	v_fmac_f32_e32 v3, 0x4f800000, v5
	v_rcp_f32_e32 v3, v3
	s_waitcnt_depctr 0xfff
	v_mul_f32_e32 v3, 0x5f7ffffc, v3
	s_delay_alu instid0(VALU_DEP_1) | instskip(NEXT) | instid1(VALU_DEP_1)
	v_mul_f32_e32 v5, 0x2f800000, v3
	v_trunc_f32_e32 v5, v5
	s_delay_alu instid0(VALU_DEP_1) | instskip(SKIP_1) | instid1(VALU_DEP_2)
	v_fmac_f32_e32 v3, 0xcf800000, v5
	v_cvt_u32_f32_e32 v5, v5
	v_cvt_u32_f32_e32 v3, v3
	s_delay_alu instid0(VALU_DEP_2) | instskip(NEXT) | instid1(VALU_DEP_2)
	v_mul_lo_u32 v7, s0, v5
	v_mul_hi_u32 v9, s0, v3
	v_mul_lo_u32 v11, s50, v3
	s_delay_alu instid0(VALU_DEP_2) | instskip(SKIP_1) | instid1(VALU_DEP_2)
	v_add_nc_u32_e32 v7, v9, v7
	v_mul_lo_u32 v9, s0, v3
	v_add_nc_u32_e32 v7, v7, v11
	s_delay_alu instid0(VALU_DEP_2) | instskip(NEXT) | instid1(VALU_DEP_2)
	v_mul_hi_u32 v11, v3, v9
	v_mul_lo_u32 v14, v3, v7
	v_mul_hi_u32 v15, v3, v7
	v_mul_hi_u32 v16, v5, v9
	v_mul_lo_u32 v9, v5, v9
	v_mul_hi_u32 v17, v5, v7
	v_mul_lo_u32 v7, v5, v7
	v_add_co_u32 v11, vcc_lo, v11, v14
	v_add_co_ci_u32_e32 v14, vcc_lo, 0, v15, vcc_lo
	s_delay_alu instid0(VALU_DEP_2) | instskip(NEXT) | instid1(VALU_DEP_2)
	v_add_co_u32 v9, vcc_lo, v11, v9
	v_add_co_ci_u32_e32 v9, vcc_lo, v14, v16, vcc_lo
	v_add_co_ci_u32_e32 v11, vcc_lo, 0, v17, vcc_lo
	v_ashrrev_i32_e32 v17, 31, v13
	s_delay_alu instid0(VALU_DEP_3) | instskip(NEXT) | instid1(VALU_DEP_3)
	v_add_co_u32 v7, vcc_lo, v9, v7
	v_add_co_ci_u32_e32 v9, vcc_lo, 0, v11, vcc_lo
	s_delay_alu instid0(VALU_DEP_2) | instskip(NEXT) | instid1(VALU_DEP_2)
	v_add_co_u32 v3, vcc_lo, v3, v7
	v_add_co_ci_u32_e32 v5, vcc_lo, v5, v9, vcc_lo
	s_delay_alu instid0(VALU_DEP_2) | instskip(SKIP_1) | instid1(VALU_DEP_3)
	v_mul_hi_u32 v7, s0, v3
	v_mul_lo_u32 v11, s50, v3
	v_mul_lo_u32 v9, s0, v5
	s_delay_alu instid0(VALU_DEP_1) | instskip(SKIP_1) | instid1(VALU_DEP_2)
	v_add_nc_u32_e32 v7, v7, v9
	v_mul_lo_u32 v9, s0, v3
	v_add_nc_u32_e32 v7, v7, v11
	s_delay_alu instid0(VALU_DEP_2) | instskip(NEXT) | instid1(VALU_DEP_2)
	v_mul_hi_u32 v11, v3, v9
	v_mul_lo_u32 v14, v3, v7
	v_mul_hi_u32 v15, v3, v7
	v_mul_hi_u32 v16, v5, v9
	v_mul_lo_u32 v9, v5, v9
	v_mul_hi_u32 v21, v5, v7
	v_mul_lo_u32 v7, v5, v7
	v_add_co_u32 v11, vcc_lo, v11, v14
	v_add_co_ci_u32_e32 v14, vcc_lo, 0, v15, vcc_lo
	s_delay_alu instid0(VALU_DEP_2) | instskip(NEXT) | instid1(VALU_DEP_2)
	v_add_co_u32 v9, vcc_lo, v11, v9
	v_add_co_ci_u32_e32 v9, vcc_lo, v14, v16, vcc_lo
	v_add_co_ci_u32_e32 v11, vcc_lo, 0, v21, vcc_lo
	v_add_co_u32 v14, vcc_lo, v12, v17
	v_add_co_ci_u32_e32 v13, vcc_lo, v13, v17, vcc_lo
	s_delay_alu instid0(VALU_DEP_4) | instskip(NEXT) | instid1(VALU_DEP_4)
	v_add_co_u32 v7, vcc_lo, v9, v7
	v_add_co_ci_u32_e32 v9, vcc_lo, 0, v11, vcc_lo
	s_delay_alu instid0(VALU_DEP_4) | instskip(NEXT) | instid1(VALU_DEP_3)
	v_xor_b32_e32 v11, v14, v17
	v_add_co_u32 v3, vcc_lo, v3, v7
	s_delay_alu instid0(VALU_DEP_3) | instskip(SKIP_1) | instid1(VALU_DEP_3)
	v_add_co_ci_u32_e32 v5, vcc_lo, v5, v9, vcc_lo
	v_xor_b32_e32 v7, v13, v17
	v_mul_hi_u32 v9, v11, v3
	s_delay_alu instid0(VALU_DEP_3) | instskip(NEXT) | instid1(VALU_DEP_3)
	v_mad_u64_u32 v[13:14], null, v11, v5, 0
	v_mad_u64_u32 v[15:16], null, v7, v3, 0
	;; [unrolled: 1-line block ×3, first 2 shown]
	s_delay_alu instid0(VALU_DEP_3) | instskip(NEXT) | instid1(VALU_DEP_4)
	v_add_co_u32 v3, vcc_lo, v9, v13
	v_add_co_ci_u32_e32 v5, vcc_lo, 0, v14, vcc_lo
	s_delay_alu instid0(VALU_DEP_2) | instskip(NEXT) | instid1(VALU_DEP_2)
	v_add_co_u32 v3, vcc_lo, v3, v15
	v_add_co_ci_u32_e32 v3, vcc_lo, v5, v16, vcc_lo
	v_add_co_ci_u32_e32 v5, vcc_lo, 0, v22, vcc_lo
	s_delay_alu instid0(VALU_DEP_2) | instskip(NEXT) | instid1(VALU_DEP_2)
	v_add_co_u32 v3, vcc_lo, v3, v21
	v_add_co_ci_u32_e32 v5, vcc_lo, 0, v5, vcc_lo
	s_delay_alu instid0(VALU_DEP_2) | instskip(SKIP_1) | instid1(VALU_DEP_3)
	v_mul_lo_u32 v9, s25, v3
	v_mad_u64_u32 v[13:14], null, s24, v3, 0
	v_mul_lo_u32 v15, s24, v5
	s_delay_alu instid0(VALU_DEP_2) | instskip(NEXT) | instid1(VALU_DEP_2)
	v_sub_co_u32 v11, vcc_lo, v11, v13
	v_add3_u32 v9, v14, v15, v9
	s_delay_alu instid0(VALU_DEP_1) | instskip(NEXT) | instid1(VALU_DEP_1)
	v_sub_nc_u32_e32 v14, v7, v9
	v_subrev_co_ci_u32_e64 v13, s0, s25, v14, vcc_lo
	v_add_co_u32 v14, s0, v3, 2
	s_delay_alu instid0(VALU_DEP_1) | instskip(SKIP_3) | instid1(VALU_DEP_3)
	v_add_co_ci_u32_e64 v15, s0, 0, v5, s0
	v_sub_co_u32 v16, s0, v11, s24
	v_sub_co_ci_u32_e32 v7, vcc_lo, v7, v9, vcc_lo
	v_subrev_co_ci_u32_e64 v13, s0, 0, v13, s0
	v_cmp_le_u32_e32 vcc_lo, s24, v16
	s_delay_alu instid0(VALU_DEP_3) | instskip(SKIP_1) | instid1(VALU_DEP_4)
	v_cmp_eq_u32_e64 s0, s25, v7
	v_cndmask_b32_e64 v9, 0, -1, vcc_lo
	v_cmp_le_u32_e32 vcc_lo, s25, v13
	v_cndmask_b32_e64 v16, 0, -1, vcc_lo
	v_cmp_le_u32_e32 vcc_lo, s24, v11
	;; [unrolled: 2-line block ×3, first 2 shown]
	v_cndmask_b32_e64 v21, 0, -1, vcc_lo
	v_cmp_eq_u32_e32 vcc_lo, s25, v13
	s_delay_alu instid0(VALU_DEP_2) | instskip(SKIP_3) | instid1(VALU_DEP_3)
	v_cndmask_b32_e64 v7, v21, v11, s0
	v_cndmask_b32_e32 v9, v16, v9, vcc_lo
	v_add_co_u32 v13, vcc_lo, v3, 1
	v_add_co_ci_u32_e32 v16, vcc_lo, 0, v5, vcc_lo
	v_cmp_ne_u32_e32 vcc_lo, 0, v9
	s_delay_alu instid0(VALU_DEP_2) | instskip(NEXT) | instid1(VALU_DEP_4)
	v_cndmask_b32_e32 v9, v16, v15, vcc_lo
	v_cndmask_b32_e32 v11, v13, v14, vcc_lo
	v_cmp_ne_u32_e32 vcc_lo, 0, v7
	v_xor_b32_e32 v7, s18, v17
	s_delay_alu instid0(VALU_DEP_3) | instskip(SKIP_2) | instid1(VALU_DEP_3)
	v_cndmask_b32_e32 v3, v3, v11, vcc_lo
	v_cndmask_b32_e32 v5, v5, v9, vcc_lo
	v_xor_b32_e32 v9, s19, v17
	v_xor_b32_e32 v3, v3, v7
	s_delay_alu instid0(VALU_DEP_2) | instskip(NEXT) | instid1(VALU_DEP_2)
	v_xor_b32_e32 v5, v5, v9
	v_sub_co_u32 v14, vcc_lo, v3, v7
	s_delay_alu instid0(VALU_DEP_2)
	v_sub_co_ci_u32_e32 v15, vcc_lo, v5, v9, vcc_lo
.LBB1_32:                               ;   in Loop: Header=BB1_22 Depth=2
	s_and_not1_saveexec_b32 s0, s49
	s_cbranch_execz .LBB1_34
; %bb.33:                               ;   in Loop: Header=BB1_22 Depth=2
	v_cvt_f32_u32_e32 v3, s48
	s_sub_i32 s18, 0, s48
	v_mov_b32_e32 v15, v2
	s_delay_alu instid0(VALU_DEP_2) | instskip(SKIP_2) | instid1(VALU_DEP_1)
	v_rcp_iflag_f32_e32 v3, v3
	s_waitcnt_depctr 0xfff
	v_mul_f32_e32 v3, 0x4f7ffffe, v3
	v_cvt_u32_f32_e32 v3, v3
	s_delay_alu instid0(VALU_DEP_1) | instskip(NEXT) | instid1(VALU_DEP_1)
	v_mul_lo_u32 v5, s18, v3
	v_mul_hi_u32 v5, v3, v5
	s_delay_alu instid0(VALU_DEP_1) | instskip(NEXT) | instid1(VALU_DEP_1)
	v_add_nc_u32_e32 v3, v3, v5
	v_mul_hi_u32 v3, v12, v3
	s_delay_alu instid0(VALU_DEP_1) | instskip(SKIP_1) | instid1(VALU_DEP_2)
	v_mul_lo_u32 v5, v3, s48
	v_add_nc_u32_e32 v7, 1, v3
	v_sub_nc_u32_e32 v5, v12, v5
	s_delay_alu instid0(VALU_DEP_1) | instskip(SKIP_1) | instid1(VALU_DEP_4)
	v_cmp_le_u32_e32 vcc_lo, s48, v5
	v_subrev_nc_u32_e32 v9, s48, v5
	v_cndmask_b32_e32 v3, v3, v7, vcc_lo
	s_delay_alu instid0(VALU_DEP_1) | instskip(NEXT) | instid1(VALU_DEP_3)
	v_add_nc_u32_e32 v7, 1, v3
	v_cndmask_b32_e32 v5, v5, v9, vcc_lo
	s_delay_alu instid0(VALU_DEP_1) | instskip(NEXT) | instid1(VALU_DEP_3)
	v_cmp_le_u32_e32 vcc_lo, s48, v5
	v_cndmask_b32_e32 v14, v3, v7, vcc_lo
.LBB1_34:                               ;   in Loop: Header=BB1_22 Depth=2
	s_or_b32 exec_lo, exec_lo, s0
	s_add_u32 s24, s31, s20
	s_addc_u32 s25, s33, s21
	s_add_i32 s18, s16, -3
	s_mov_b32 s19, s17
                                        ; implicit-def: $vgpr16_vgpr17
	s_delay_alu instid0(SALU_CYCLE_1) | instskip(NEXT) | instid1(SALU_CYCLE_1)
	s_lshl_b64 s[20:21], s[18:19], 2
	s_add_u32 s18, s27, s20
	s_addc_u32 s19, s28, s21
	s_clause 0x2
	s_load_b32 s51, s[18:19], 0x8
	s_load_b32 s49, s[22:23], 0x6c
	;; [unrolled: 1-line block ×3, first 2 shown]
	s_mov_b32 s22, exec_lo
	s_waitcnt lgkmcnt(0)
	s_ashr_i32 s0, s51, 31
	s_delay_alu instid0(SALU_CYCLE_1) | instskip(NEXT) | instid1(VALU_DEP_1)
	v_or_b32_e32 v3, s0, v15
	v_cmpx_ne_u64_e32 0, v[2:3]
	s_xor_b32 s52, exec_lo, s22
	s_cbranch_execz .LBB1_36
; %bb.35:                               ;   in Loop: Header=BB1_22 Depth=2
	s_add_u32 s24, s51, s0
	s_mov_b32 s22, s0
	s_mov_b32 s23, s0
	s_addc_u32 s25, s0, s0
	s_delay_alu instid0(SALU_CYCLE_1) | instskip(NEXT) | instid1(SALU_CYCLE_1)
	s_xor_b64 s[24:25], s[24:25], s[22:23]
	v_cvt_f32_u32_e32 v3, s24
	v_cvt_f32_u32_e32 v5, s25
	s_sub_u32 s0, 0, s24
	s_subb_u32 s53, 0, s25
	s_delay_alu instid0(VALU_DEP_1) | instskip(NEXT) | instid1(VALU_DEP_1)
	v_fmac_f32_e32 v3, 0x4f800000, v5
	v_rcp_f32_e32 v3, v3
	s_waitcnt_depctr 0xfff
	v_mul_f32_e32 v3, 0x5f7ffffc, v3
	s_delay_alu instid0(VALU_DEP_1) | instskip(NEXT) | instid1(VALU_DEP_1)
	v_mul_f32_e32 v5, 0x2f800000, v3
	v_trunc_f32_e32 v5, v5
	s_delay_alu instid0(VALU_DEP_1) | instskip(SKIP_1) | instid1(VALU_DEP_2)
	v_fmac_f32_e32 v3, 0xcf800000, v5
	v_cvt_u32_f32_e32 v5, v5
	v_cvt_u32_f32_e32 v3, v3
	s_delay_alu instid0(VALU_DEP_2) | instskip(NEXT) | instid1(VALU_DEP_2)
	v_mul_lo_u32 v7, s0, v5
	v_mul_hi_u32 v9, s0, v3
	v_mul_lo_u32 v11, s53, v3
	s_delay_alu instid0(VALU_DEP_2) | instskip(SKIP_1) | instid1(VALU_DEP_2)
	v_add_nc_u32_e32 v7, v9, v7
	v_mul_lo_u32 v9, s0, v3
	v_add_nc_u32_e32 v7, v7, v11
	s_delay_alu instid0(VALU_DEP_2) | instskip(NEXT) | instid1(VALU_DEP_2)
	v_mul_hi_u32 v11, v3, v9
	v_mul_lo_u32 v13, v3, v7
	v_mul_hi_u32 v16, v3, v7
	v_mul_hi_u32 v17, v5, v9
	v_mul_lo_u32 v9, v5, v9
	v_mul_hi_u32 v21, v5, v7
	v_mul_lo_u32 v7, v5, v7
	v_add_co_u32 v11, vcc_lo, v11, v13
	v_add_co_ci_u32_e32 v13, vcc_lo, 0, v16, vcc_lo
	s_delay_alu instid0(VALU_DEP_2) | instskip(NEXT) | instid1(VALU_DEP_2)
	v_add_co_u32 v9, vcc_lo, v11, v9
	v_add_co_ci_u32_e32 v9, vcc_lo, v13, v17, vcc_lo
	v_add_co_ci_u32_e32 v11, vcc_lo, 0, v21, vcc_lo
	v_ashrrev_i32_e32 v17, 31, v15
	s_delay_alu instid0(VALU_DEP_3) | instskip(NEXT) | instid1(VALU_DEP_3)
	v_add_co_u32 v7, vcc_lo, v9, v7
	v_add_co_ci_u32_e32 v9, vcc_lo, 0, v11, vcc_lo
	s_delay_alu instid0(VALU_DEP_2) | instskip(NEXT) | instid1(VALU_DEP_2)
	v_add_co_u32 v3, vcc_lo, v3, v7
	v_add_co_ci_u32_e32 v5, vcc_lo, v5, v9, vcc_lo
	s_delay_alu instid0(VALU_DEP_2) | instskip(SKIP_1) | instid1(VALU_DEP_3)
	v_mul_hi_u32 v7, s0, v3
	v_mul_lo_u32 v11, s53, v3
	v_mul_lo_u32 v9, s0, v5
	s_delay_alu instid0(VALU_DEP_1) | instskip(SKIP_1) | instid1(VALU_DEP_2)
	v_add_nc_u32_e32 v7, v7, v9
	v_mul_lo_u32 v9, s0, v3
	v_add_nc_u32_e32 v7, v7, v11
	s_delay_alu instid0(VALU_DEP_2) | instskip(NEXT) | instid1(VALU_DEP_2)
	v_mul_hi_u32 v11, v3, v9
	v_mul_lo_u32 v13, v3, v7
	v_mul_hi_u32 v16, v3, v7
	v_mul_hi_u32 v21, v5, v9
	v_mul_lo_u32 v9, v5, v9
	v_mul_hi_u32 v22, v5, v7
	v_mul_lo_u32 v7, v5, v7
	v_add_co_u32 v11, vcc_lo, v11, v13
	v_add_co_ci_u32_e32 v13, vcc_lo, 0, v16, vcc_lo
	s_delay_alu instid0(VALU_DEP_2) | instskip(NEXT) | instid1(VALU_DEP_2)
	v_add_co_u32 v9, vcc_lo, v11, v9
	v_add_co_ci_u32_e32 v9, vcc_lo, v13, v21, vcc_lo
	v_add_co_ci_u32_e32 v11, vcc_lo, 0, v22, vcc_lo
	v_add_co_u32 v13, vcc_lo, v14, v17
	v_add_co_ci_u32_e32 v15, vcc_lo, v15, v17, vcc_lo
	s_delay_alu instid0(VALU_DEP_4) | instskip(NEXT) | instid1(VALU_DEP_4)
	v_add_co_u32 v7, vcc_lo, v9, v7
	v_add_co_ci_u32_e32 v9, vcc_lo, 0, v11, vcc_lo
	s_delay_alu instid0(VALU_DEP_4) | instskip(NEXT) | instid1(VALU_DEP_3)
	v_xor_b32_e32 v11, v13, v17
	v_add_co_u32 v3, vcc_lo, v3, v7
	s_delay_alu instid0(VALU_DEP_3) | instskip(SKIP_1) | instid1(VALU_DEP_3)
	v_add_co_ci_u32_e32 v5, vcc_lo, v5, v9, vcc_lo
	v_xor_b32_e32 v7, v15, v17
	v_mul_hi_u32 v9, v11, v3
	s_delay_alu instid0(VALU_DEP_3) | instskip(NEXT) | instid1(VALU_DEP_3)
	v_mad_u64_u32 v[15:16], null, v11, v5, 0
	v_mad_u64_u32 v[21:22], null, v7, v3, 0
	;; [unrolled: 1-line block ×3, first 2 shown]
	s_delay_alu instid0(VALU_DEP_3) | instskip(NEXT) | instid1(VALU_DEP_4)
	v_add_co_u32 v3, vcc_lo, v9, v15
	v_add_co_ci_u32_e32 v5, vcc_lo, 0, v16, vcc_lo
	s_delay_alu instid0(VALU_DEP_2) | instskip(NEXT) | instid1(VALU_DEP_2)
	v_add_co_u32 v3, vcc_lo, v3, v21
	v_add_co_ci_u32_e32 v3, vcc_lo, v5, v22, vcc_lo
	v_add_co_ci_u32_e32 v5, vcc_lo, 0, v24, vcc_lo
	s_delay_alu instid0(VALU_DEP_2) | instskip(NEXT) | instid1(VALU_DEP_2)
	v_add_co_u32 v3, vcc_lo, v3, v23
	v_add_co_ci_u32_e32 v5, vcc_lo, 0, v5, vcc_lo
	s_delay_alu instid0(VALU_DEP_2) | instskip(SKIP_1) | instid1(VALU_DEP_3)
	v_mul_lo_u32 v9, s25, v3
	v_mad_u64_u32 v[15:16], null, s24, v3, 0
	v_mul_lo_u32 v13, s24, v5
	s_delay_alu instid0(VALU_DEP_2) | instskip(NEXT) | instid1(VALU_DEP_2)
	v_sub_co_u32 v11, vcc_lo, v11, v15
	v_add3_u32 v9, v16, v13, v9
	s_delay_alu instid0(VALU_DEP_1) | instskip(NEXT) | instid1(VALU_DEP_1)
	v_sub_nc_u32_e32 v13, v7, v9
	v_subrev_co_ci_u32_e64 v13, s0, s25, v13, vcc_lo
	v_add_co_u32 v15, s0, v3, 2
	s_delay_alu instid0(VALU_DEP_1) | instskip(SKIP_3) | instid1(VALU_DEP_3)
	v_add_co_ci_u32_e64 v16, s0, 0, v5, s0
	v_sub_co_u32 v21, s0, v11, s24
	v_sub_co_ci_u32_e32 v7, vcc_lo, v7, v9, vcc_lo
	v_subrev_co_ci_u32_e64 v13, s0, 0, v13, s0
	v_cmp_le_u32_e32 vcc_lo, s24, v21
	s_delay_alu instid0(VALU_DEP_3) | instskip(SKIP_1) | instid1(VALU_DEP_4)
	v_cmp_eq_u32_e64 s0, s25, v7
	v_cndmask_b32_e64 v9, 0, -1, vcc_lo
	v_cmp_le_u32_e32 vcc_lo, s25, v13
	v_cndmask_b32_e64 v21, 0, -1, vcc_lo
	v_cmp_le_u32_e32 vcc_lo, s24, v11
	;; [unrolled: 2-line block ×3, first 2 shown]
	v_cndmask_b32_e64 v22, 0, -1, vcc_lo
	v_cmp_eq_u32_e32 vcc_lo, s25, v13
	s_delay_alu instid0(VALU_DEP_2) | instskip(SKIP_3) | instid1(VALU_DEP_3)
	v_cndmask_b32_e64 v7, v22, v11, s0
	v_cndmask_b32_e32 v9, v21, v9, vcc_lo
	v_add_co_u32 v13, vcc_lo, v3, 1
	v_add_co_ci_u32_e32 v21, vcc_lo, 0, v5, vcc_lo
	v_cmp_ne_u32_e32 vcc_lo, 0, v9
	s_delay_alu instid0(VALU_DEP_2) | instskip(NEXT) | instid1(VALU_DEP_4)
	v_cndmask_b32_e32 v9, v21, v16, vcc_lo
	v_cndmask_b32_e32 v11, v13, v15, vcc_lo
	v_cmp_ne_u32_e32 vcc_lo, 0, v7
	v_xor_b32_e32 v7, s22, v17
	s_delay_alu instid0(VALU_DEP_3) | instskip(SKIP_2) | instid1(VALU_DEP_3)
	v_cndmask_b32_e32 v3, v3, v11, vcc_lo
	v_cndmask_b32_e32 v5, v5, v9, vcc_lo
	v_xor_b32_e32 v9, s23, v17
	v_xor_b32_e32 v3, v3, v7
	s_delay_alu instid0(VALU_DEP_2) | instskip(NEXT) | instid1(VALU_DEP_2)
	v_xor_b32_e32 v5, v5, v9
	v_sub_co_u32 v16, vcc_lo, v3, v7
	s_delay_alu instid0(VALU_DEP_2)
	v_sub_co_ci_u32_e32 v17, vcc_lo, v5, v9, vcc_lo
.LBB1_36:                               ;   in Loop: Header=BB1_22 Depth=2
	s_and_not1_saveexec_b32 s0, s52
	s_cbranch_execz .LBB1_38
; %bb.37:                               ;   in Loop: Header=BB1_22 Depth=2
	v_cvt_f32_u32_e32 v3, s51
	s_sub_i32 s22, 0, s51
	v_mov_b32_e32 v17, v2
	s_delay_alu instid0(VALU_DEP_2) | instskip(SKIP_2) | instid1(VALU_DEP_1)
	v_rcp_iflag_f32_e32 v3, v3
	s_waitcnt_depctr 0xfff
	v_mul_f32_e32 v3, 0x4f7ffffe, v3
	v_cvt_u32_f32_e32 v3, v3
	s_delay_alu instid0(VALU_DEP_1) | instskip(NEXT) | instid1(VALU_DEP_1)
	v_mul_lo_u32 v5, s22, v3
	v_mul_hi_u32 v5, v3, v5
	s_delay_alu instid0(VALU_DEP_1) | instskip(NEXT) | instid1(VALU_DEP_1)
	v_add_nc_u32_e32 v3, v3, v5
	v_mul_hi_u32 v3, v14, v3
	s_delay_alu instid0(VALU_DEP_1) | instskip(SKIP_1) | instid1(VALU_DEP_2)
	v_mul_lo_u32 v5, v3, s51
	v_add_nc_u32_e32 v7, 1, v3
	v_sub_nc_u32_e32 v5, v14, v5
	s_delay_alu instid0(VALU_DEP_1) | instskip(SKIP_1) | instid1(VALU_DEP_4)
	v_cmp_le_u32_e32 vcc_lo, s51, v5
	v_subrev_nc_u32_e32 v9, s51, v5
	v_cndmask_b32_e32 v3, v3, v7, vcc_lo
	s_delay_alu instid0(VALU_DEP_1) | instskip(NEXT) | instid1(VALU_DEP_3)
	v_add_nc_u32_e32 v7, 1, v3
	v_cndmask_b32_e32 v5, v5, v9, vcc_lo
	s_delay_alu instid0(VALU_DEP_1) | instskip(NEXT) | instid1(VALU_DEP_3)
	v_cmp_le_u32_e32 vcc_lo, s51, v5
	v_cndmask_b32_e32 v16, v3, v7, vcc_lo
.LBB1_38:                               ;   in Loop: Header=BB1_22 Depth=2
	s_or_b32 exec_lo, exec_lo, s0
	s_add_u32 s20, s31, s20
	s_addc_u32 s21, s33, s21
	s_clause 0x1
	s_load_b32 s0, s[18:19], 0x6c
	s_load_b32 s18, s[20:21], 0x0
	v_mul_lo_u32 v3, v10, s42
	v_mul_lo_u32 v5, v12, s45
	;; [unrolled: 1-line block ×4, first 2 shown]
	s_add_i32 s16, s16, -4
	s_delay_alu instid0(SALU_CYCLE_1) | instskip(NEXT) | instid1(VALU_DEP_4)
	s_cmp_eq_u32 s16, -1
	v_sub_nc_u32_e32 v3, v8, v3
	s_delay_alu instid0(VALU_DEP_4) | instskip(NEXT) | instid1(VALU_DEP_4)
	v_sub_nc_u32_e32 v5, v10, v5
	v_sub_nc_u32_e32 v7, v12, v7
	s_delay_alu instid0(VALU_DEP_4) | instskip(NEXT) | instid1(VALU_DEP_4)
	v_sub_nc_u32_e32 v8, v14, v9
	v_mul_lo_u32 v9, s43, v3
	v_mul_lo_u32 v3, s44, v3
	;; [unrolled: 1-line block ×6, first 2 shown]
	s_waitcnt lgkmcnt(0)
	v_mul_lo_u32 v12, s0, v8
	v_mul_lo_u32 v8, s18, v8
	v_add3_u32 v6, v9, v6, v10
	v_add3_u32 v3, v3, v4, v5
	s_delay_alu instid0(VALU_DEP_2) | instskip(NEXT) | instid1(VALU_DEP_2)
	v_add3_u32 v6, v11, v6, v12
	v_add3_u32 v4, v7, v3, v8
	s_cbranch_scc1 .LBB1_40
; %bb.39:                               ;   in Loop: Header=BB1_22 Depth=2
	v_dual_mov_b32 v8, v16 :: v_dual_mov_b32 v9, v17
	s_branch .LBB1_22
.LBB1_40:                               ;   in Loop: Header=BB1_3 Depth=1
	v_sub_nc_u32_e32 v7, v19, v20
	v_mov_b32_e32 v3, 0
	s_mov_b32 s0, exec_lo
	s_delay_alu instid0(VALU_DEP_2) | instskip(NEXT) | instid1(VALU_DEP_1)
	v_ashrrev_i32_e32 v8, 31, v7
	v_cmpx_ge_i64_e64 s[4:5], v[7:8]
	s_cbranch_execz .LBB1_50
; %bb.41:                               ;   in Loop: Header=BB1_3 Depth=1
	v_mov_b32_e32 v3, 0
	s_mov_b32 s16, exec_lo
	v_cmpx_gt_i32_e64 s9, v19
	s_cbranch_execz .LBB1_49
; %bb.42:                               ;   in Loop: Header=BB1_3 Depth=1
	v_ashrrev_i32_e32 v3, 31, v6
	v_add_co_u32 v9, vcc_lo, s2, v6
	v_add_nc_u32_e32 v5, 1, v19
	s_mov_b32 s18, exec_lo
	s_delay_alu instid0(VALU_DEP_3)
	v_add_co_ci_u32_e32 v10, vcc_lo, s3, v3, vcc_lo
	global_load_u8 v3, v[9:10], off
	v_cmpx_gt_i32_e64 s9, v5
	s_xor_b32 s18, exec_lo, s18
	s_cbranch_execz .LBB1_48
; %bb.43:                               ;   in Loop: Header=BB1_3 Depth=1
	v_add_co_u32 v9, vcc_lo, v9, s11
	v_add_co_ci_u32_e32 v10, vcc_lo, s39, v10, vcc_lo
	s_mov_b32 s19, exec_lo
	global_load_u8 v5, v[9:10], off
	s_waitcnt vmcnt(0)
	v_lshlrev_b16 v5, 8, v5
	s_delay_alu instid0(VALU_DEP_1) | instskip(SKIP_1) | instid1(VALU_DEP_2)
	v_or_b32_e32 v3, v3, v5
	v_add_nc_u32_e32 v5, 2, v19
	v_and_b32_e32 v3, 0xffff, v3
	s_delay_alu instid0(VALU_DEP_2)
	v_cmpx_gt_i32_e64 s9, v5
	s_xor_b32 s19, exec_lo, s19
	s_cbranch_execz .LBB1_47
; %bb.44:                               ;   in Loop: Header=BB1_3 Depth=1
	v_add3_u32 v5, s11, s11, v6
	s_mov_b32 s20, exec_lo
	s_delay_alu instid0(VALU_DEP_1) | instskip(SKIP_1) | instid1(VALU_DEP_2)
	v_ashrrev_i32_e32 v6, 31, v5
	v_add_co_u32 v9, vcc_lo, s2, v5
	v_add_co_ci_u32_e32 v10, vcc_lo, s3, v6, vcc_lo
	global_load_u8 v6, v[9:10], off
	v_add_nc_u32_e32 v9, 3, v19
	s_waitcnt vmcnt(0)
	v_lshl_or_b32 v3, v6, 16, v3
	s_delay_alu instid0(VALU_DEP_2)
	v_cmpx_gt_i32_e64 s9, v9
	s_xor_b32 s20, exec_lo, s20
	s_cbranch_execz .LBB1_46
; %bb.45:                               ;   in Loop: Header=BB1_3 Depth=1
	v_add_nc_u32_e32 v5, s11, v5
	s_delay_alu instid0(VALU_DEP_1) | instskip(SKIP_1) | instid1(VALU_DEP_2)
	v_ashrrev_i32_e32 v6, 31, v5
	v_add_co_u32 v5, vcc_lo, s2, v5
	v_add_co_ci_u32_e32 v6, vcc_lo, s3, v6, vcc_lo
	global_load_u8 v5, v[5:6], off
	v_lshrrev_b32_e32 v6, 16, v3
	s_waitcnt vmcnt(0)
	v_lshlrev_b16 v5, 8, v5
	s_delay_alu instid0(VALU_DEP_1) | instskip(NEXT) | instid1(VALU_DEP_1)
	v_or_b32_e32 v5, v6, v5
	v_lshlrev_b32_e32 v5, 16, v5
	s_delay_alu instid0(VALU_DEP_1)
	v_and_or_b32 v3, 0xffff, v3, v5
.LBB1_46:                               ;   in Loop: Header=BB1_3 Depth=1
	s_or_b32 exec_lo, exec_lo, s20
.LBB1_47:                               ;   in Loop: Header=BB1_3 Depth=1
	s_delay_alu instid0(SALU_CYCLE_1)
	s_or_b32 exec_lo, exec_lo, s19
.LBB1_48:                               ;   in Loop: Header=BB1_3 Depth=1
	s_delay_alu instid0(SALU_CYCLE_1)
	s_or_b32 exec_lo, exec_lo, s18
.LBB1_49:                               ;   in Loop: Header=BB1_3 Depth=1
	s_delay_alu instid0(SALU_CYCLE_1)
	s_or_b32 exec_lo, exec_lo, s16
	v_add_nc_u32_e32 v5, 1, v7
	v_cmp_ge_i64_e32 vcc_lo, s[4:5], v[7:8]
	v_add_nc_u32_e32 v9, 3, v7
	s_waitcnt vmcnt(0)
	v_lshrrev_b32_e32 v13, 8, v3
	v_add_nc_u32_e32 v7, 2, v7
	v_ashrrev_i32_e32 v6, 31, v5
	v_lshrrev_b32_e32 v11, 16, v3
	v_cndmask_b32_e32 v12, 0, v3, vcc_lo
	v_ashrrev_i32_e32 v10, 31, v9
	v_lshrrev_b32_e32 v3, 24, v3
	v_cmp_ge_i64_e32 vcc_lo, s[4:5], v[5:6]
	v_ashrrev_i32_e32 v8, 31, v7
	v_cndmask_b32_e32 v5, 0, v13, vcc_lo
	v_cmp_ge_i64_e32 vcc_lo, s[4:5], v[9:10]
	s_delay_alu instid0(VALU_DEP_2) | instskip(SKIP_3) | instid1(VALU_DEP_1)
	v_lshlrev_b16 v5, 8, v5
	v_cndmask_b32_e32 v3, 0, v3, vcc_lo
	v_cmp_ge_i64_e32 vcc_lo, s[4:5], v[7:8]
	v_dual_cndmask_b32 v6, 0, v11 :: v_dual_and_b32 v7, 0xff, v12
	v_or_b32_e32 v5, v7, v5
	s_delay_alu instid0(VALU_DEP_2) | instskip(SKIP_1) | instid1(VALU_DEP_3)
	v_and_b32_e32 v6, 0xff, v6
	v_lshlrev_b16 v3, 8, v3
	v_and_b32_e32 v5, 0xffff, v5
	s_delay_alu instid0(VALU_DEP_2) | instskip(NEXT) | instid1(VALU_DEP_1)
	v_or_b32_e32 v3, v6, v3
	v_lshlrev_b32_e32 v3, 16, v3
	s_delay_alu instid0(VALU_DEP_1)
	v_or_b32_e32 v3, v5, v3
.LBB1_50:                               ;   in Loop: Header=BB1_3 Depth=1
	s_or_b32 exec_lo, exec_lo, s0
	s_delay_alu instid0(SALU_CYCLE_1)
	s_mov_b32 s0, exec_lo
	v_cmpx_gt_i32_e64 s9, v19
	s_cbranch_execz .LBB1_2
; %bb.51:                               ;   in Loop: Header=BB1_3 Depth=1
	v_ashrrev_i32_e32 v6, 31, v4
	v_add_co_u32 v5, vcc_lo, s14, v4
	v_add_nc_u32_e32 v7, 1, v19
	s_mov_b32 s16, exec_lo
	s_delay_alu instid0(VALU_DEP_3)
	v_add_co_ci_u32_e32 v6, vcc_lo, s15, v6, vcc_lo
	global_store_b8 v[5:6], v3, off
	v_cmpx_gt_i32_e64 s9, v7
	s_xor_b32 s16, exec_lo, s16
	s_cbranch_execz .LBB1_2
; %bb.52:                               ;   in Loop: Header=BB1_3 Depth=1
	v_add_co_u32 v5, vcc_lo, v5, s13
	v_lshrrev_b32_e32 v7, 8, v3
	v_add_nc_u32_e32 v8, 2, v19
	v_add_co_ci_u32_e32 v6, vcc_lo, s40, v6, vcc_lo
	s_mov_b32 s16, exec_lo
	global_store_b8 v[5:6], v7, off
	v_cmpx_gt_i32_e64 s9, v8
	s_xor_b32 s16, exec_lo, s16
	s_cbranch_execz .LBB1_2
; %bb.53:                               ;   in Loop: Header=BB1_3 Depth=1
	v_add3_u32 v4, s13, s13, v4
	v_add_nc_u32_e32 v7, 3, v19
	s_mov_b32 s16, exec_lo
	s_delay_alu instid0(VALU_DEP_2) | instskip(SKIP_1) | instid1(VALU_DEP_2)
	v_ashrrev_i32_e32 v6, 31, v4
	v_add_co_u32 v5, vcc_lo, s14, v4
	v_add_co_ci_u32_e32 v6, vcc_lo, s15, v6, vcc_lo
	global_store_d16_hi_b8 v[5:6], v3, off
	v_cmpx_gt_i32_e64 s9, v7
	s_xor_b32 s16, exec_lo, s16
	s_cbranch_execz .LBB1_2
; %bb.54:                               ;   in Loop: Header=BB1_3 Depth=1
	v_add_nc_u32_e32 v4, s13, v4
	v_lshrrev_b32_e32 v6, 24, v3
	s_delay_alu instid0(VALU_DEP_2) | instskip(SKIP_1) | instid1(VALU_DEP_2)
	v_ashrrev_i32_e32 v5, 31, v4
	v_add_co_u32 v3, vcc_lo, s14, v4
	v_add_co_ci_u32_e32 v4, vcc_lo, s15, v5, vcc_lo
	global_store_b8 v[3:4], v6, off
	s_branch .LBB1_2
.LBB1_55:
	s_nop 0
	s_sendmsg sendmsg(MSG_DEALLOC_VGPRS)
	s_endpgm
	.section	.rodata,"a",@progbits
	.p2align	6, 0x0
	.amdhsa_kernel _ZN2at6native16triu_tril_kernelIhiLb0ELi4ELb0EEEvNS_4cuda6detail10TensorInfoIT_T0_EENS4_IKS5_S6_EEllS6_
		.amdhsa_group_segment_fixed_size 0
		.amdhsa_private_segment_fixed_size 0
		.amdhsa_kernarg_size 712
		.amdhsa_user_sgpr_count 15
		.amdhsa_user_sgpr_dispatch_ptr 0
		.amdhsa_user_sgpr_queue_ptr 0
		.amdhsa_user_sgpr_kernarg_segment_ptr 1
		.amdhsa_user_sgpr_dispatch_id 0
		.amdhsa_user_sgpr_private_segment_size 0
		.amdhsa_wavefront_size32 1
		.amdhsa_uses_dynamic_stack 0
		.amdhsa_enable_private_segment 0
		.amdhsa_system_sgpr_workgroup_id_x 1
		.amdhsa_system_sgpr_workgroup_id_y 0
		.amdhsa_system_sgpr_workgroup_id_z 0
		.amdhsa_system_sgpr_workgroup_info 0
		.amdhsa_system_vgpr_workitem_id 0
		.amdhsa_next_free_vgpr 25
		.amdhsa_next_free_sgpr 54
		.amdhsa_reserve_vcc 1
		.amdhsa_float_round_mode_32 0
		.amdhsa_float_round_mode_16_64 0
		.amdhsa_float_denorm_mode_32 3
		.amdhsa_float_denorm_mode_16_64 3
		.amdhsa_dx10_clamp 1
		.amdhsa_ieee_mode 1
		.amdhsa_fp16_overflow 0
		.amdhsa_workgroup_processor_mode 1
		.amdhsa_memory_ordered 1
		.amdhsa_forward_progress 0
		.amdhsa_shared_vgpr_count 0
		.amdhsa_exception_fp_ieee_invalid_op 0
		.amdhsa_exception_fp_denorm_src 0
		.amdhsa_exception_fp_ieee_div_zero 0
		.amdhsa_exception_fp_ieee_overflow 0
		.amdhsa_exception_fp_ieee_underflow 0
		.amdhsa_exception_fp_ieee_inexact 0
		.amdhsa_exception_int_div_zero 0
	.end_amdhsa_kernel
	.section	.text._ZN2at6native16triu_tril_kernelIhiLb0ELi4ELb0EEEvNS_4cuda6detail10TensorInfoIT_T0_EENS4_IKS5_S6_EEllS6_,"axG",@progbits,_ZN2at6native16triu_tril_kernelIhiLb0ELi4ELb0EEEvNS_4cuda6detail10TensorInfoIT_T0_EENS4_IKS5_S6_EEllS6_,comdat
.Lfunc_end1:
	.size	_ZN2at6native16triu_tril_kernelIhiLb0ELi4ELb0EEEvNS_4cuda6detail10TensorInfoIT_T0_EENS4_IKS5_S6_EEllS6_, .Lfunc_end1-_ZN2at6native16triu_tril_kernelIhiLb0ELi4ELb0EEEvNS_4cuda6detail10TensorInfoIT_T0_EENS4_IKS5_S6_EEllS6_
                                        ; -- End function
	.section	.AMDGPU.csdata,"",@progbits
; Kernel info:
; codeLenInByte = 8740
; NumSgprs: 56
; NumVgprs: 25
; ScratchSize: 0
; MemoryBound: 0
; FloatMode: 240
; IeeeMode: 1
; LDSByteSize: 0 bytes/workgroup (compile time only)
; SGPRBlocks: 6
; VGPRBlocks: 3
; NumSGPRsForWavesPerEU: 56
; NumVGPRsForWavesPerEU: 25
; Occupancy: 16
; WaveLimiterHint : 0
; COMPUTE_PGM_RSRC2:SCRATCH_EN: 0
; COMPUTE_PGM_RSRC2:USER_SGPR: 15
; COMPUTE_PGM_RSRC2:TRAP_HANDLER: 0
; COMPUTE_PGM_RSRC2:TGID_X_EN: 1
; COMPUTE_PGM_RSRC2:TGID_Y_EN: 0
; COMPUTE_PGM_RSRC2:TGID_Z_EN: 0
; COMPUTE_PGM_RSRC2:TIDIG_COMP_CNT: 0
	.section	.text._ZN2at6native16triu_tril_kernelIhlLb0ELi4ELb1EEEvNS_4cuda6detail10TensorInfoIT_T0_EENS4_IKS5_S6_EEllS6_,"axG",@progbits,_ZN2at6native16triu_tril_kernelIhlLb0ELi4ELb1EEEvNS_4cuda6detail10TensorInfoIT_T0_EENS4_IKS5_S6_EEllS6_,comdat
	.protected	_ZN2at6native16triu_tril_kernelIhlLb0ELi4ELb1EEEvNS_4cuda6detail10TensorInfoIT_T0_EENS4_IKS5_S6_EEllS6_ ; -- Begin function _ZN2at6native16triu_tril_kernelIhlLb0ELi4ELb1EEEvNS_4cuda6detail10TensorInfoIT_T0_EENS4_IKS5_S6_EEllS6_
	.globl	_ZN2at6native16triu_tril_kernelIhlLb0ELi4ELb1EEEvNS_4cuda6detail10TensorInfoIT_T0_EENS4_IKS5_S6_EEllS6_
	.p2align	8
	.type	_ZN2at6native16triu_tril_kernelIhlLb0ELi4ELb1EEEvNS_4cuda6detail10TensorInfoIT_T0_EENS4_IKS5_S6_EEllS6_,@function
_ZN2at6native16triu_tril_kernelIhlLb0ELi4ELb1EEEvNS_4cuda6detail10TensorInfoIT_T0_EENS4_IKS5_S6_EEllS6_: ; @_ZN2at6native16triu_tril_kernelIhlLb0ELi4ELb1EEEvNS_4cuda6detail10TensorInfoIT_T0_EENS4_IKS5_S6_EEllS6_
; %bb.0:
	s_clause 0x1
	s_load_b32 s2, s[0:1], 0x364
	s_load_b128 s[4:7], s[0:1], 0x340
	v_mov_b32_e32 v2, 0
	s_add_u32 s8, s0, 0x358
	s_addc_u32 s9, s1, 0
	s_delay_alu instid0(VALU_DEP_1) | instskip(SKIP_3) | instid1(VALU_DEP_1)
	v_mov_b32_e32 v1, v2
	s_waitcnt lgkmcnt(0)
	s_and_b32 s10, s2, 0xffff
	s_mov_b32 s2, exec_lo
	v_mad_u64_u32 v[3:4], null, s10, s15, v[0:1]
	s_delay_alu instid0(VALU_DEP_1) | instskip(NEXT) | instid1(VALU_DEP_1)
	v_lshlrev_b64 v[0:1], 2, v[3:4]
	v_cmpx_gt_i64_e64 s[6:7], v[0:1]
	s_cbranch_execz .LBB2_29
; %bb.1:
	s_clause 0x1
	s_load_b32 s24, s[0:1], 0x338
	s_load_b64 s[2:3], s[0:1], 0x350
	s_load_b32 s11, s[8:9], 0x0
	s_load_b64 s[8:9], s[0:1], 0x0
	s_mov_b32 s44, 0
	s_waitcnt lgkmcnt(0)
	s_ashr_i32 s25, s24, 31
	s_add_u32 s26, s0, 0x1a8
	s_addc_u32 s27, s1, 0
	s_lshl_b64 s[12:13], s[24:25], 3
	v_cvt_f32_u32_e32 v3, s2
	s_add_u32 s14, s12, -16
	s_addc_u32 s15, s13, -1
	s_add_u32 s22, s26, s14
	s_addc_u32 s23, s27, s15
	v_rcp_iflag_f32_e32 v3, v3
	s_add_u32 s17, s12, -8
	s_addc_u32 s18, s13, -1
	s_add_u32 s0, s0, 0xd0
	s_addc_u32 s28, s1, 0
	s_mul_i32 s16, s11, s10
	s_add_u32 s10, s0, s17
	s_addc_u32 s11, s28, s18
	s_add_u32 s12, s0, s14
	s_addc_u32 s13, s28, s15
	s_add_i32 s20, s24, -3
	s_waitcnt_depctr 0xfff
	v_mul_f32_e32 v3, 0x4f7ffffe, v3
	s_ashr_i32 s21, s20, 31
	s_add_u32 s14, s26, s17
	s_addc_u32 s15, s27, s18
	s_lshl_b64 s[18:19], s[20:21], 3
	s_lshl_b32 s1, s16, 2
	s_add_u32 s16, s0, s18
	s_addc_u32 s17, s28, s19
	v_cvt_u32_f32_e32 v3, v3
	s_add_u32 s18, s26, s18
	s_addc_u32 s19, s27, s19
	s_add_u32 s20, s20, 1
	s_addc_u32 s21, s21, 0
	s_sub_i32 s0, 0, s2
	s_load_b64 s[22:23], s[22:23], 0x0
	v_mul_lo_u32 v4, s0, v3
	v_cmp_gt_i64_e64 s33, s[24:25], 2
	s_ashr_i32 s24, s3, 31
	s_delay_alu instid0(VALU_DEP_2) | instskip(NEXT) | instid1(VALU_DEP_1)
	v_mul_hi_u32 v4, v3, v4
	v_add_nc_u32_e32 v16, v3, v4
	s_waitcnt lgkmcnt(0)
	s_ashr_i32 s26, s23, 31
	s_branch .LBB2_3
.LBB2_2:                                ;   in Loop: Header=BB2_3 Depth=1
	s_or_b32 exec_lo, exec_lo, s25
	v_add_co_u32 v0, vcc_lo, v0, s1
	v_add_co_ci_u32_e32 v1, vcc_lo, 0, v1, vcc_lo
	s_delay_alu instid0(VALU_DEP_1) | instskip(SKIP_1) | instid1(SALU_CYCLE_1)
	v_cmp_le_i64_e32 vcc_lo, s[6:7], v[0:1]
	s_or_b32 s44, vcc_lo, s44
	s_and_not1_b32 exec_lo, exec_lo, s44
	s_cbranch_execz .LBB2_29
.LBB2_3:                                ; =>This Loop Header: Depth=1
                                        ;     Child Loop BB2_25 Depth 2
	v_or_b32_e32 v3, s3, v1
                                        ; implicit-def: $vgpr6_vgpr7
	s_mov_b32 s0, exec_lo
	s_delay_alu instid0(VALU_DEP_1)
	v_cmpx_ne_u64_e32 0, v[2:3]
	s_xor_b32 s27, exec_lo, s0
	s_cbranch_execz .LBB2_5
; %bb.4:                                ;   in Loop: Header=BB2_3 Depth=1
	s_add_u32 s28, s2, s24
	s_mov_b32 s25, s24
	s_addc_u32 s29, s3, s24
	s_delay_alu instid0(SALU_CYCLE_1) | instskip(NEXT) | instid1(SALU_CYCLE_1)
	s_xor_b64 s[28:29], s[28:29], s[24:25]
	v_cvt_f32_u32_e32 v3, s28
	v_cvt_f32_u32_e32 v4, s29
	s_sub_u32 s0, 0, s28
	s_subb_u32 s25, 0, s29
	s_delay_alu instid0(VALU_DEP_1) | instskip(NEXT) | instid1(VALU_DEP_1)
	v_fmac_f32_e32 v3, 0x4f800000, v4
	v_rcp_f32_e32 v3, v3
	s_waitcnt_depctr 0xfff
	v_mul_f32_e32 v3, 0x5f7ffffc, v3
	s_delay_alu instid0(VALU_DEP_1) | instskip(NEXT) | instid1(VALU_DEP_1)
	v_mul_f32_e32 v4, 0x2f800000, v3
	v_trunc_f32_e32 v4, v4
	s_delay_alu instid0(VALU_DEP_1) | instskip(SKIP_1) | instid1(VALU_DEP_2)
	v_fmac_f32_e32 v3, 0xcf800000, v4
	v_cvt_u32_f32_e32 v4, v4
	v_cvt_u32_f32_e32 v3, v3
	s_delay_alu instid0(VALU_DEP_2) | instskip(NEXT) | instid1(VALU_DEP_2)
	v_mul_lo_u32 v5, s0, v4
	v_mul_hi_u32 v6, s0, v3
	v_mul_lo_u32 v7, s25, v3
	s_delay_alu instid0(VALU_DEP_2) | instskip(SKIP_1) | instid1(VALU_DEP_2)
	v_add_nc_u32_e32 v5, v6, v5
	v_mul_lo_u32 v6, s0, v3
	v_add_nc_u32_e32 v5, v5, v7
	s_delay_alu instid0(VALU_DEP_2) | instskip(NEXT) | instid1(VALU_DEP_2)
	v_mul_hi_u32 v7, v3, v6
	v_mul_lo_u32 v8, v3, v5
	v_mul_hi_u32 v9, v3, v5
	v_mul_hi_u32 v10, v4, v6
	v_mul_lo_u32 v6, v4, v6
	v_mul_hi_u32 v11, v4, v5
	v_mul_lo_u32 v5, v4, v5
	v_add_co_u32 v7, vcc_lo, v7, v8
	v_add_co_ci_u32_e32 v8, vcc_lo, 0, v9, vcc_lo
	s_delay_alu instid0(VALU_DEP_2) | instskip(NEXT) | instid1(VALU_DEP_2)
	v_add_co_u32 v6, vcc_lo, v7, v6
	v_add_co_ci_u32_e32 v6, vcc_lo, v8, v10, vcc_lo
	v_add_co_ci_u32_e32 v7, vcc_lo, 0, v11, vcc_lo
	v_ashrrev_i32_e32 v10, 31, v1
	s_delay_alu instid0(VALU_DEP_3) | instskip(NEXT) | instid1(VALU_DEP_3)
	v_add_co_u32 v5, vcc_lo, v6, v5
	v_add_co_ci_u32_e32 v6, vcc_lo, 0, v7, vcc_lo
	s_delay_alu instid0(VALU_DEP_2) | instskip(NEXT) | instid1(VALU_DEP_2)
	v_add_co_u32 v3, vcc_lo, v3, v5
	v_add_co_ci_u32_e32 v4, vcc_lo, v4, v6, vcc_lo
	s_delay_alu instid0(VALU_DEP_2) | instskip(SKIP_1) | instid1(VALU_DEP_3)
	v_mul_hi_u32 v5, s0, v3
	v_mul_lo_u32 v7, s25, v3
	v_mul_lo_u32 v6, s0, v4
	s_delay_alu instid0(VALU_DEP_1) | instskip(SKIP_1) | instid1(VALU_DEP_2)
	v_add_nc_u32_e32 v5, v5, v6
	v_mul_lo_u32 v6, s0, v3
	v_add_nc_u32_e32 v5, v5, v7
	s_delay_alu instid0(VALU_DEP_2) | instskip(NEXT) | instid1(VALU_DEP_2)
	v_mul_hi_u32 v7, v3, v6
	v_mul_lo_u32 v8, v3, v5
	v_mul_hi_u32 v9, v3, v5
	v_mul_hi_u32 v11, v4, v6
	v_mul_lo_u32 v6, v4, v6
	v_mul_hi_u32 v12, v4, v5
	v_mul_lo_u32 v5, v4, v5
	v_add_co_u32 v7, vcc_lo, v7, v8
	v_add_co_ci_u32_e32 v8, vcc_lo, 0, v9, vcc_lo
	s_delay_alu instid0(VALU_DEP_2) | instskip(NEXT) | instid1(VALU_DEP_2)
	v_add_co_u32 v6, vcc_lo, v7, v6
	v_add_co_ci_u32_e32 v6, vcc_lo, v8, v11, vcc_lo
	v_add_co_ci_u32_e32 v7, vcc_lo, 0, v12, vcc_lo
	v_add_co_u32 v8, vcc_lo, v0, v10
	v_add_co_ci_u32_e32 v9, vcc_lo, v1, v10, vcc_lo
	s_delay_alu instid0(VALU_DEP_4) | instskip(NEXT) | instid1(VALU_DEP_4)
	v_add_co_u32 v5, vcc_lo, v6, v5
	v_add_co_ci_u32_e32 v6, vcc_lo, 0, v7, vcc_lo
	s_delay_alu instid0(VALU_DEP_4) | instskip(NEXT) | instid1(VALU_DEP_3)
	v_xor_b32_e32 v11, v8, v10
	v_add_co_u32 v7, vcc_lo, v3, v5
	s_delay_alu instid0(VALU_DEP_3) | instskip(SKIP_1) | instid1(VALU_DEP_3)
	v_add_co_ci_u32_e32 v12, vcc_lo, v4, v6, vcc_lo
	v_xor_b32_e32 v9, v9, v10
	v_mul_hi_u32 v13, v11, v7
	s_delay_alu instid0(VALU_DEP_3) | instskip(NEXT) | instid1(VALU_DEP_3)
	v_mad_u64_u32 v[3:4], null, v11, v12, 0
	v_mad_u64_u32 v[5:6], null, v9, v7, 0
	;; [unrolled: 1-line block ×3, first 2 shown]
	s_delay_alu instid0(VALU_DEP_3) | instskip(NEXT) | instid1(VALU_DEP_4)
	v_add_co_u32 v3, vcc_lo, v13, v3
	v_add_co_ci_u32_e32 v4, vcc_lo, 0, v4, vcc_lo
	s_delay_alu instid0(VALU_DEP_2) | instskip(NEXT) | instid1(VALU_DEP_2)
	v_add_co_u32 v3, vcc_lo, v3, v5
	v_add_co_ci_u32_e32 v3, vcc_lo, v4, v6, vcc_lo
	v_add_co_ci_u32_e32 v4, vcc_lo, 0, v8, vcc_lo
	s_delay_alu instid0(VALU_DEP_2) | instskip(NEXT) | instid1(VALU_DEP_2)
	v_add_co_u32 v5, vcc_lo, v3, v7
	v_add_co_ci_u32_e32 v6, vcc_lo, 0, v4, vcc_lo
	s_delay_alu instid0(VALU_DEP_2) | instskip(SKIP_1) | instid1(VALU_DEP_3)
	v_mul_lo_u32 v7, s29, v5
	v_mad_u64_u32 v[3:4], null, s28, v5, 0
	v_mul_lo_u32 v8, s28, v6
	s_delay_alu instid0(VALU_DEP_2) | instskip(NEXT) | instid1(VALU_DEP_2)
	v_sub_co_u32 v3, vcc_lo, v11, v3
	v_add3_u32 v4, v4, v8, v7
	s_delay_alu instid0(VALU_DEP_1) | instskip(NEXT) | instid1(VALU_DEP_1)
	v_sub_nc_u32_e32 v7, v9, v4
	v_subrev_co_ci_u32_e64 v7, s0, s29, v7, vcc_lo
	v_add_co_u32 v8, s0, v5, 2
	s_delay_alu instid0(VALU_DEP_1) | instskip(SKIP_3) | instid1(VALU_DEP_3)
	v_add_co_ci_u32_e64 v11, s0, 0, v6, s0
	v_sub_co_u32 v12, s0, v3, s28
	v_sub_co_ci_u32_e32 v4, vcc_lo, v9, v4, vcc_lo
	v_subrev_co_ci_u32_e64 v7, s0, 0, v7, s0
	v_cmp_le_u32_e32 vcc_lo, s28, v12
	s_delay_alu instid0(VALU_DEP_3) | instskip(SKIP_1) | instid1(VALU_DEP_4)
	v_cmp_eq_u32_e64 s0, s29, v4
	v_cndmask_b32_e64 v9, 0, -1, vcc_lo
	v_cmp_le_u32_e32 vcc_lo, s29, v7
	v_cndmask_b32_e64 v12, 0, -1, vcc_lo
	v_cmp_le_u32_e32 vcc_lo, s28, v3
	;; [unrolled: 2-line block ×3, first 2 shown]
	v_cndmask_b32_e64 v13, 0, -1, vcc_lo
	v_cmp_eq_u32_e32 vcc_lo, s29, v7
	s_delay_alu instid0(VALU_DEP_2) | instskip(SKIP_3) | instid1(VALU_DEP_3)
	v_cndmask_b32_e64 v3, v13, v3, s0
	v_cndmask_b32_e32 v7, v12, v9, vcc_lo
	v_add_co_u32 v9, vcc_lo, v5, 1
	v_add_co_ci_u32_e32 v12, vcc_lo, 0, v6, vcc_lo
	v_cmp_ne_u32_e32 vcc_lo, 0, v7
	s_delay_alu instid0(VALU_DEP_2) | instskip(SKIP_2) | instid1(VALU_DEP_3)
	v_dual_cndmask_b32 v4, v12, v11 :: v_dual_cndmask_b32 v7, v9, v8
	v_cmp_ne_u32_e32 vcc_lo, 0, v3
	v_xor_b32_e32 v3, s24, v10
	v_dual_cndmask_b32 v5, v5, v7 :: v_dual_cndmask_b32 v4, v6, v4
	s_delay_alu instid0(VALU_DEP_1) | instskip(NEXT) | instid1(VALU_DEP_2)
	v_xor_b32_e32 v5, v5, v3
	v_xor_b32_e32 v4, v4, v3
	s_delay_alu instid0(VALU_DEP_2) | instskip(NEXT) | instid1(VALU_DEP_2)
	v_sub_co_u32 v6, vcc_lo, v5, v3
	v_sub_co_ci_u32_e32 v7, vcc_lo, v4, v3, vcc_lo
.LBB2_5:                                ;   in Loop: Header=BB2_3 Depth=1
	s_and_not1_saveexec_b32 s0, s27
; %bb.6:                                ;   in Loop: Header=BB2_3 Depth=1
	v_mul_hi_u32 v3, v0, v16
	v_mov_b32_e32 v7, v2
	s_delay_alu instid0(VALU_DEP_2) | instskip(NEXT) | instid1(VALU_DEP_1)
	v_mul_lo_u32 v4, v3, s2
	v_sub_nc_u32_e32 v4, v0, v4
	s_delay_alu instid0(VALU_DEP_1) | instskip(SKIP_1) | instid1(VALU_DEP_2)
	v_subrev_nc_u32_e32 v6, s2, v4
	v_cmp_le_u32_e32 vcc_lo, s2, v4
	v_dual_cndmask_b32 v4, v4, v6 :: v_dual_add_nc_u32 v5, 1, v3
	s_delay_alu instid0(VALU_DEP_1) | instskip(NEXT) | instid1(VALU_DEP_2)
	v_cndmask_b32_e32 v3, v3, v5, vcc_lo
	v_cmp_le_u32_e32 vcc_lo, s2, v4
	s_delay_alu instid0(VALU_DEP_2) | instskip(NEXT) | instid1(VALU_DEP_1)
	v_add_nc_u32_e32 v5, 1, v3
	v_cndmask_b32_e32 v6, v3, v5, vcc_lo
; %bb.7:                                ;   in Loop: Header=BB2_3 Depth=1
	s_or_b32 exec_lo, exec_lo, s0
	v_or_b32_e32 v3, s23, v7
                                        ; implicit-def: $vgpr8_vgpr9
	s_mov_b32 s0, exec_lo
	s_delay_alu instid0(VALU_DEP_1)
	v_cmpx_ne_u64_e32 0, v[2:3]
	s_xor_b32 s25, exec_lo, s0
	s_cbranch_execz .LBB2_9
; %bb.8:                                ;   in Loop: Header=BB2_3 Depth=1
	s_add_u32 s28, s22, s26
	s_mov_b32 s27, s26
	s_addc_u32 s29, s23, s26
	s_delay_alu instid0(SALU_CYCLE_1) | instskip(NEXT) | instid1(SALU_CYCLE_1)
	s_xor_b64 s[28:29], s[28:29], s[26:27]
	v_cvt_f32_u32_e32 v3, s28
	v_cvt_f32_u32_e32 v4, s29
	s_sub_u32 s0, 0, s28
	s_subb_u32 s27, 0, s29
	s_delay_alu instid0(VALU_DEP_1) | instskip(NEXT) | instid1(VALU_DEP_1)
	v_fmac_f32_e32 v3, 0x4f800000, v4
	v_rcp_f32_e32 v3, v3
	s_waitcnt_depctr 0xfff
	v_mul_f32_e32 v3, 0x5f7ffffc, v3
	s_delay_alu instid0(VALU_DEP_1) | instskip(NEXT) | instid1(VALU_DEP_1)
	v_mul_f32_e32 v4, 0x2f800000, v3
	v_trunc_f32_e32 v4, v4
	s_delay_alu instid0(VALU_DEP_1) | instskip(SKIP_1) | instid1(VALU_DEP_2)
	v_fmac_f32_e32 v3, 0xcf800000, v4
	v_cvt_u32_f32_e32 v4, v4
	v_cvt_u32_f32_e32 v3, v3
	s_delay_alu instid0(VALU_DEP_2) | instskip(NEXT) | instid1(VALU_DEP_2)
	v_mul_lo_u32 v5, s0, v4
	v_mul_hi_u32 v8, s0, v3
	v_mul_lo_u32 v9, s27, v3
	s_delay_alu instid0(VALU_DEP_2) | instskip(SKIP_1) | instid1(VALU_DEP_2)
	v_add_nc_u32_e32 v5, v8, v5
	v_mul_lo_u32 v8, s0, v3
	v_add_nc_u32_e32 v5, v5, v9
	s_delay_alu instid0(VALU_DEP_2) | instskip(NEXT) | instid1(VALU_DEP_2)
	v_mul_hi_u32 v9, v3, v8
	v_mul_lo_u32 v10, v3, v5
	v_mul_hi_u32 v11, v3, v5
	v_mul_hi_u32 v12, v4, v8
	v_mul_lo_u32 v8, v4, v8
	v_mul_hi_u32 v13, v4, v5
	v_mul_lo_u32 v5, v4, v5
	v_add_co_u32 v9, vcc_lo, v9, v10
	v_add_co_ci_u32_e32 v10, vcc_lo, 0, v11, vcc_lo
	s_delay_alu instid0(VALU_DEP_2) | instskip(NEXT) | instid1(VALU_DEP_2)
	v_add_co_u32 v8, vcc_lo, v9, v8
	v_add_co_ci_u32_e32 v8, vcc_lo, v10, v12, vcc_lo
	v_add_co_ci_u32_e32 v9, vcc_lo, 0, v13, vcc_lo
	v_ashrrev_i32_e32 v12, 31, v7
	s_delay_alu instid0(VALU_DEP_3) | instskip(NEXT) | instid1(VALU_DEP_3)
	v_add_co_u32 v5, vcc_lo, v8, v5
	v_add_co_ci_u32_e32 v8, vcc_lo, 0, v9, vcc_lo
	s_delay_alu instid0(VALU_DEP_2) | instskip(NEXT) | instid1(VALU_DEP_2)
	v_add_co_u32 v3, vcc_lo, v3, v5
	v_add_co_ci_u32_e32 v4, vcc_lo, v4, v8, vcc_lo
	s_delay_alu instid0(VALU_DEP_2) | instskip(SKIP_1) | instid1(VALU_DEP_3)
	v_mul_hi_u32 v5, s0, v3
	v_mul_lo_u32 v9, s27, v3
	v_mul_lo_u32 v8, s0, v4
	s_delay_alu instid0(VALU_DEP_1) | instskip(SKIP_1) | instid1(VALU_DEP_2)
	v_add_nc_u32_e32 v5, v5, v8
	v_mul_lo_u32 v8, s0, v3
	v_add_nc_u32_e32 v5, v5, v9
	s_delay_alu instid0(VALU_DEP_2) | instskip(NEXT) | instid1(VALU_DEP_2)
	v_mul_hi_u32 v9, v3, v8
	v_mul_lo_u32 v10, v3, v5
	v_mul_hi_u32 v11, v3, v5
	v_mul_hi_u32 v13, v4, v8
	v_mul_lo_u32 v8, v4, v8
	v_mul_hi_u32 v14, v4, v5
	v_mul_lo_u32 v5, v4, v5
	v_add_co_u32 v9, vcc_lo, v9, v10
	v_add_co_ci_u32_e32 v10, vcc_lo, 0, v11, vcc_lo
	s_delay_alu instid0(VALU_DEP_2) | instskip(NEXT) | instid1(VALU_DEP_2)
	v_add_co_u32 v8, vcc_lo, v9, v8
	v_add_co_ci_u32_e32 v8, vcc_lo, v10, v13, vcc_lo
	v_add_co_ci_u32_e32 v9, vcc_lo, 0, v14, vcc_lo
	v_add_co_u32 v10, vcc_lo, v6, v12
	v_add_co_ci_u32_e32 v11, vcc_lo, v7, v12, vcc_lo
	s_delay_alu instid0(VALU_DEP_4) | instskip(NEXT) | instid1(VALU_DEP_4)
	v_add_co_u32 v5, vcc_lo, v8, v5
	v_add_co_ci_u32_e32 v8, vcc_lo, 0, v9, vcc_lo
	s_delay_alu instid0(VALU_DEP_4) | instskip(NEXT) | instid1(VALU_DEP_3)
	v_xor_b32_e32 v13, v10, v12
	v_add_co_u32 v5, vcc_lo, v3, v5
	s_delay_alu instid0(VALU_DEP_3) | instskip(SKIP_1) | instid1(VALU_DEP_3)
	v_add_co_ci_u32_e32 v14, vcc_lo, v4, v8, vcc_lo
	v_xor_b32_e32 v15, v11, v12
	v_mul_hi_u32 v17, v13, v5
	s_delay_alu instid0(VALU_DEP_3) | instskip(NEXT) | instid1(VALU_DEP_3)
	v_mad_u64_u32 v[3:4], null, v13, v14, 0
	v_mad_u64_u32 v[8:9], null, v15, v5, 0
	;; [unrolled: 1-line block ×3, first 2 shown]
	s_delay_alu instid0(VALU_DEP_3) | instskip(NEXT) | instid1(VALU_DEP_4)
	v_add_co_u32 v3, vcc_lo, v17, v3
	v_add_co_ci_u32_e32 v4, vcc_lo, 0, v4, vcc_lo
	s_delay_alu instid0(VALU_DEP_2) | instskip(NEXT) | instid1(VALU_DEP_2)
	v_add_co_u32 v3, vcc_lo, v3, v8
	v_add_co_ci_u32_e32 v3, vcc_lo, v4, v9, vcc_lo
	v_add_co_ci_u32_e32 v4, vcc_lo, 0, v11, vcc_lo
	s_delay_alu instid0(VALU_DEP_2) | instskip(NEXT) | instid1(VALU_DEP_2)
	v_add_co_u32 v5, vcc_lo, v3, v10
	v_add_co_ci_u32_e32 v8, vcc_lo, 0, v4, vcc_lo
	s_delay_alu instid0(VALU_DEP_2) | instskip(SKIP_1) | instid1(VALU_DEP_3)
	v_mul_lo_u32 v9, s29, v5
	v_mad_u64_u32 v[3:4], null, s28, v5, 0
	v_mul_lo_u32 v10, s28, v8
	s_delay_alu instid0(VALU_DEP_2) | instskip(NEXT) | instid1(VALU_DEP_2)
	v_sub_co_u32 v3, vcc_lo, v13, v3
	v_add3_u32 v4, v4, v10, v9
	s_delay_alu instid0(VALU_DEP_1) | instskip(NEXT) | instid1(VALU_DEP_1)
	v_sub_nc_u32_e32 v9, v15, v4
	v_subrev_co_ci_u32_e64 v9, s0, s29, v9, vcc_lo
	v_add_co_u32 v10, s0, v5, 2
	s_delay_alu instid0(VALU_DEP_1) | instskip(SKIP_3) | instid1(VALU_DEP_3)
	v_add_co_ci_u32_e64 v11, s0, 0, v8, s0
	v_sub_co_u32 v13, s0, v3, s28
	v_sub_co_ci_u32_e32 v4, vcc_lo, v15, v4, vcc_lo
	v_subrev_co_ci_u32_e64 v9, s0, 0, v9, s0
	v_cmp_le_u32_e32 vcc_lo, s28, v13
	s_delay_alu instid0(VALU_DEP_3) | instskip(SKIP_1) | instid1(VALU_DEP_4)
	v_cmp_eq_u32_e64 s0, s29, v4
	v_cndmask_b32_e64 v13, 0, -1, vcc_lo
	v_cmp_le_u32_e32 vcc_lo, s29, v9
	v_cndmask_b32_e64 v14, 0, -1, vcc_lo
	v_cmp_le_u32_e32 vcc_lo, s28, v3
	;; [unrolled: 2-line block ×3, first 2 shown]
	v_cndmask_b32_e64 v15, 0, -1, vcc_lo
	v_cmp_eq_u32_e32 vcc_lo, s29, v9
	s_delay_alu instid0(VALU_DEP_2) | instskip(SKIP_3) | instid1(VALU_DEP_3)
	v_cndmask_b32_e64 v3, v15, v3, s0
	v_cndmask_b32_e32 v9, v14, v13, vcc_lo
	v_add_co_u32 v13, vcc_lo, v5, 1
	v_add_co_ci_u32_e32 v14, vcc_lo, 0, v8, vcc_lo
	v_cmp_ne_u32_e32 vcc_lo, 0, v9
	s_delay_alu instid0(VALU_DEP_2) | instskip(SKIP_2) | instid1(VALU_DEP_3)
	v_dual_cndmask_b32 v4, v14, v11 :: v_dual_cndmask_b32 v9, v13, v10
	v_cmp_ne_u32_e32 vcc_lo, 0, v3
	v_xor_b32_e32 v3, s26, v12
	v_dual_cndmask_b32 v5, v5, v9 :: v_dual_cndmask_b32 v4, v8, v4
	s_delay_alu instid0(VALU_DEP_1) | instskip(NEXT) | instid1(VALU_DEP_2)
	v_xor_b32_e32 v5, v5, v3
	v_xor_b32_e32 v4, v4, v3
	s_delay_alu instid0(VALU_DEP_2) | instskip(NEXT) | instid1(VALU_DEP_2)
	v_sub_co_u32 v8, vcc_lo, v5, v3
	v_sub_co_ci_u32_e32 v9, vcc_lo, v4, v3, vcc_lo
.LBB2_9:                                ;   in Loop: Header=BB2_3 Depth=1
	s_and_not1_saveexec_b32 s0, s25
	s_cbranch_execz .LBB2_11
; %bb.10:                               ;   in Loop: Header=BB2_3 Depth=1
	v_cvt_f32_u32_e32 v3, s22
	s_sub_i32 s25, 0, s22
	v_mov_b32_e32 v9, v2
	s_delay_alu instid0(VALU_DEP_2) | instskip(SKIP_2) | instid1(VALU_DEP_1)
	v_rcp_iflag_f32_e32 v3, v3
	s_waitcnt_depctr 0xfff
	v_mul_f32_e32 v3, 0x4f7ffffe, v3
	v_cvt_u32_f32_e32 v3, v3
	s_delay_alu instid0(VALU_DEP_1) | instskip(NEXT) | instid1(VALU_DEP_1)
	v_mul_lo_u32 v4, s25, v3
	v_mul_hi_u32 v4, v3, v4
	s_delay_alu instid0(VALU_DEP_1) | instskip(NEXT) | instid1(VALU_DEP_1)
	v_add_nc_u32_e32 v3, v3, v4
	v_mul_hi_u32 v3, v6, v3
	s_delay_alu instid0(VALU_DEP_1) | instskip(SKIP_1) | instid1(VALU_DEP_2)
	v_mul_lo_u32 v4, v3, s22
	v_add_nc_u32_e32 v5, 1, v3
	v_sub_nc_u32_e32 v4, v6, v4
	s_delay_alu instid0(VALU_DEP_1) | instskip(SKIP_1) | instid1(VALU_DEP_2)
	v_subrev_nc_u32_e32 v8, s22, v4
	v_cmp_le_u32_e32 vcc_lo, s22, v4
	v_dual_cndmask_b32 v4, v4, v8 :: v_dual_cndmask_b32 v3, v3, v5
	s_delay_alu instid0(VALU_DEP_1) | instskip(NEXT) | instid1(VALU_DEP_2)
	v_cmp_le_u32_e32 vcc_lo, s22, v4
	v_add_nc_u32_e32 v5, 1, v3
	s_delay_alu instid0(VALU_DEP_1)
	v_cndmask_b32_e32 v8, v3, v5, vcc_lo
.LBB2_11:                               ;   in Loop: Header=BB2_3 Depth=1
	s_or_b32 exec_lo, exec_lo, s0
	v_mul_lo_u32 v5, v7, s2
	v_mul_lo_u32 v12, v6, s3
	v_mad_u64_u32 v[3:4], null, v6, s2, 0
	v_mul_lo_u32 v13, v9, s22
	v_mul_lo_u32 v14, v8, s23
	v_mad_u64_u32 v[10:11], null, v8, s22, 0
	s_mov_b32 s25, exec_lo
	s_delay_alu instid0(VALU_DEP_4) | instskip(SKIP_1) | instid1(VALU_DEP_3)
	v_add3_u32 v5, v4, v12, v5
	v_sub_co_u32 v4, vcc_lo, v0, v3
	v_add3_u32 v11, v11, v14, v13
	s_delay_alu instid0(VALU_DEP_3) | instskip(SKIP_1) | instid1(VALU_DEP_3)
	v_sub_co_ci_u32_e32 v5, vcc_lo, v1, v5, vcc_lo
	v_sub_co_u32 v17, vcc_lo, v6, v10
	v_sub_co_ci_u32_e32 v18, vcc_lo, v7, v11, vcc_lo
	s_delay_alu instid0(VALU_DEP_2) | instskip(NEXT) | instid1(VALU_DEP_2)
	v_sub_co_u32 v6, vcc_lo, v4, v17
	v_sub_co_ci_u32_e32 v7, vcc_lo, v5, v18, vcc_lo
	s_delay_alu instid0(VALU_DEP_2) | instskip(NEXT) | instid1(VALU_DEP_2)
	v_add_co_u32 v10, vcc_lo, v6, 4
	v_add_co_ci_u32_e32 v11, vcc_lo, 0, v7, vcc_lo
	s_delay_alu instid0(VALU_DEP_1)
	v_cmpx_lt_i64_e64 s[4:5], v[10:11]
	s_cbranch_execz .LBB2_2
; %bb.12:                               ;   in Loop: Header=BB2_3 Depth=1
	s_clause 0x1
	s_load_b64 s[28:29], s[10:11], 0x0
	s_load_b64 s[30:31], s[12:13], 0x0
	s_and_b32 vcc_lo, exec_lo, s33
	s_mov_b64 s[34:35], s[18:19]
	s_mov_b64 s[36:37], s[16:17]
	s_waitcnt lgkmcnt(0)
	v_mul_lo_u32 v3, s29, v4
	v_mul_lo_u32 v12, s28, v5
	v_mad_u64_u32 v[10:11], null, s28, v4, 0
	s_delay_alu instid0(VALU_DEP_1) | instskip(SKIP_1) | instid1(VALU_DEP_2)
	v_add3_u32 v11, v11, v12, v3
	v_mul_lo_u32 v3, s30, v18
	v_mad_u64_u32 v[14:15], null, s30, v17, v[10:11]
	v_mul_lo_u32 v10, s31, v17
	s_mov_b64 s[30:31], s[20:21]
	s_delay_alu instid0(VALU_DEP_1) | instskip(NEXT) | instid1(VALU_DEP_1)
	v_add3_u32 v15, v10, v15, v3
	v_dual_mov_b32 v10, v14 :: v_dual_mov_b32 v11, v15
	s_cbranch_vccnz .LBB2_25
.LBB2_13:                               ;   in Loop: Header=BB2_3 Depth=1
	s_load_b64 s[30:31], s[14:15], 0x0
	s_waitcnt lgkmcnt(0)
	v_cmp_gt_i64_e32 vcc_lo, s[30:31], v[4:5]
	s_and_b32 exec_lo, exec_lo, vcc_lo
	s_cbranch_execz .LBB2_2
; %bb.14:                               ;   in Loop: Header=BB2_3 Depth=1
	v_cmp_lt_i64_e32 vcc_lo, s[4:5], v[6:7]
	v_add_co_u32 v6, s0, s8, v14
	s_delay_alu instid0(VALU_DEP_1)
	v_add_co_ci_u32_e64 v7, s0, s9, v15, s0
	s_and_saveexec_b32 s0, vcc_lo
	s_cbranch_execz .LBB2_16
; %bb.15:                               ;   in Loop: Header=BB2_3 Depth=1
	global_store_b8 v[6:7], v2, off
.LBB2_16:                               ;   in Loop: Header=BB2_3 Depth=1
	s_or_b32 exec_lo, exec_lo, s0
	v_add_co_u32 v8, vcc_lo, v4, 1
	v_add_co_ci_u32_e32 v9, vcc_lo, 0, v5, vcc_lo
	s_delay_alu instid0(VALU_DEP_1)
	v_cmp_gt_i64_e32 vcc_lo, s[30:31], v[8:9]
	s_and_b32 exec_lo, exec_lo, vcc_lo
	s_cbranch_execz .LBB2_2
; %bb.17:                               ;   in Loop: Header=BB2_3 Depth=1
	v_sub_co_u32 v8, vcc_lo, v8, v17
	v_sub_co_ci_u32_e32 v9, vcc_lo, v9, v18, vcc_lo
	s_mov_b32 s0, exec_lo
	s_delay_alu instid0(VALU_DEP_1)
	v_cmpx_lt_i64_e64 s[4:5], v[8:9]
	s_cbranch_execz .LBB2_19
; %bb.18:                               ;   in Loop: Header=BB2_3 Depth=1
	v_add_co_u32 v8, vcc_lo, v6, s28
	v_add_co_ci_u32_e32 v9, vcc_lo, s29, v7, vcc_lo
	global_store_b8 v[8:9], v2, off
.LBB2_19:                               ;   in Loop: Header=BB2_3 Depth=1
	s_or_b32 exec_lo, exec_lo, s0
	v_add_co_u32 v8, vcc_lo, v4, 2
	v_add_co_ci_u32_e32 v9, vcc_lo, 0, v5, vcc_lo
	s_delay_alu instid0(VALU_DEP_1)
	v_cmp_gt_i64_e32 vcc_lo, s[30:31], v[8:9]
	s_and_b32 exec_lo, exec_lo, vcc_lo
	s_cbranch_execz .LBB2_2
; %bb.20:                               ;   in Loop: Header=BB2_3 Depth=1
	v_sub_co_u32 v8, vcc_lo, v8, v17
	v_sub_co_ci_u32_e32 v9, vcc_lo, v9, v18, vcc_lo
	s_mov_b32 s0, exec_lo
	s_delay_alu instid0(VALU_DEP_1)
	v_cmpx_lt_i64_e64 s[4:5], v[8:9]
	s_cbranch_execz .LBB2_22
; %bb.21:                               ;   in Loop: Header=BB2_3 Depth=1
	s_lshl_b64 s[34:35], s[28:29], 1
	s_delay_alu instid0(SALU_CYCLE_1)
	v_add_co_u32 v8, vcc_lo, v6, s34
	v_add_co_ci_u32_e32 v9, vcc_lo, s35, v7, vcc_lo
	global_store_b8 v[8:9], v2, off
.LBB2_22:                               ;   in Loop: Header=BB2_3 Depth=1
	s_or_b32 exec_lo, exec_lo, s0
	v_add_co_u32 v3, vcc_lo, v4, 3
	v_add_co_ci_u32_e32 v4, vcc_lo, 0, v5, vcc_lo
	s_delay_alu instid0(VALU_DEP_2) | instskip(NEXT) | instid1(VALU_DEP_2)
	v_sub_co_u32 v8, vcc_lo, v3, v17
	v_sub_co_ci_u32_e32 v9, vcc_lo, v4, v18, vcc_lo
	v_cmp_gt_i64_e32 vcc_lo, s[30:31], v[3:4]
	s_delay_alu instid0(VALU_DEP_2) | instskip(NEXT) | instid1(VALU_DEP_1)
	v_cmp_lt_i64_e64 s0, s[4:5], v[8:9]
	s_and_b32 s0, vcc_lo, s0
	s_delay_alu instid0(SALU_CYCLE_1)
	s_and_b32 exec_lo, exec_lo, s0
	s_cbranch_execz .LBB2_2
; %bb.23:                               ;   in Loop: Header=BB2_3 Depth=1
	v_mad_u64_u32 v[3:4], null, s28, 3, v[6:7]
	s_delay_alu instid0(VALU_DEP_1) | instskip(NEXT) | instid1(VALU_DEP_1)
	v_mad_u64_u32 v[5:6], null, s29, 3, v[4:5]
	v_mov_b32_e32 v4, v5
	global_store_b8 v[3:4], v2, off
	s_branch .LBB2_2
.LBB2_24:                               ;   in Loop: Header=BB2_25 Depth=2
	s_or_b32 exec_lo, exec_lo, s0
	s_load_b64 s[40:41], s[36:37], 0x0
	s_delay_alu instid0(VALU_DEP_1)
	v_mul_lo_u32 v3, v13, s38
	v_mul_lo_u32 v19, v12, s39
	v_mad_u64_u32 v[14:15], null, v12, s38, 0
	s_add_u32 s36, s36, -8
	s_addc_u32 s37, s37, -1
	s_add_u32 s34, s34, -8
	s_addc_u32 s35, s35, -1
	;; [unrolled: 2-line block ×3, first 2 shown]
	s_delay_alu instid0(VALU_DEP_1) | instskip(SKIP_2) | instid1(VALU_DEP_3)
	v_add3_u32 v3, v15, v19, v3
	v_sub_co_u32 v8, vcc_lo, v8, v14
	v_cmp_lt_i64_e64 s0, s[30:31], 1
	v_sub_co_ci_u32_e32 v3, vcc_lo, v9, v3, vcc_lo
	s_delay_alu instid0(VALU_DEP_2) | instskip(SKIP_1) | instid1(VALU_DEP_1)
	s_and_b32 vcc_lo, exec_lo, s0
	s_waitcnt lgkmcnt(0)
	v_mul_lo_u32 v3, s40, v3
	v_mul_lo_u32 v9, s41, v8
	v_mad_u64_u32 v[14:15], null, s40, v8, v[10:11]
	s_delay_alu instid0(VALU_DEP_1) | instskip(NEXT) | instid1(VALU_DEP_2)
	v_add3_u32 v15, v9, v15, v3
	v_mov_b32_e32 v10, v14
	v_dual_mov_b32 v8, v12 :: v_dual_mov_b32 v9, v13
	s_delay_alu instid0(VALU_DEP_3)
	v_mov_b32_e32 v11, v15
	s_cbranch_vccnz .LBB2_13
.LBB2_25:                               ;   Parent Loop BB2_3 Depth=1
                                        ; =>  This Inner Loop Header: Depth=2
	s_load_b64 s[38:39], s[34:35], 0x0
                                        ; implicit-def: $vgpr12_vgpr13
	s_mov_b32 s0, exec_lo
	s_waitcnt lgkmcnt(0)
	v_or_b32_e32 v3, s39, v9
	s_delay_alu instid0(VALU_DEP_1)
	v_cmpx_ne_u64_e32 0, v[2:3]
	s_xor_b32 s27, exec_lo, s0
	s_cbranch_execz .LBB2_27
; %bb.26:                               ;   in Loop: Header=BB2_25 Depth=2
	s_ashr_i32 s40, s39, 31
	s_delay_alu instid0(SALU_CYCLE_1) | instskip(SKIP_2) | instid1(SALU_CYCLE_1)
	s_add_u32 s42, s38, s40
	s_mov_b32 s41, s40
	s_addc_u32 s43, s39, s40
	s_xor_b64 s[42:43], s[42:43], s[40:41]
	s_delay_alu instid0(SALU_CYCLE_1) | instskip(SKIP_3) | instid1(VALU_DEP_1)
	v_cvt_f32_u32_e32 v3, s42
	v_cvt_f32_u32_e32 v12, s43
	s_sub_u32 s0, 0, s42
	s_subb_u32 s41, 0, s43
	v_fmac_f32_e32 v3, 0x4f800000, v12
	s_delay_alu instid0(VALU_DEP_1) | instskip(SKIP_2) | instid1(VALU_DEP_1)
	v_rcp_f32_e32 v3, v3
	s_waitcnt_depctr 0xfff
	v_mul_f32_e32 v3, 0x5f7ffffc, v3
	v_mul_f32_e32 v12, 0x2f800000, v3
	s_delay_alu instid0(VALU_DEP_1) | instskip(NEXT) | instid1(VALU_DEP_1)
	v_trunc_f32_e32 v12, v12
	v_fmac_f32_e32 v3, 0xcf800000, v12
	v_cvt_u32_f32_e32 v12, v12
	s_delay_alu instid0(VALU_DEP_2) | instskip(NEXT) | instid1(VALU_DEP_2)
	v_cvt_u32_f32_e32 v3, v3
	v_mul_lo_u32 v13, s0, v12
	s_delay_alu instid0(VALU_DEP_2) | instskip(SKIP_1) | instid1(VALU_DEP_2)
	v_mul_hi_u32 v14, s0, v3
	v_mul_lo_u32 v15, s41, v3
	v_add_nc_u32_e32 v13, v14, v13
	v_mul_lo_u32 v14, s0, v3
	s_delay_alu instid0(VALU_DEP_2) | instskip(NEXT) | instid1(VALU_DEP_2)
	v_add_nc_u32_e32 v13, v13, v15
	v_mul_hi_u32 v15, v3, v14
	s_delay_alu instid0(VALU_DEP_2)
	v_mul_lo_u32 v19, v3, v13
	v_mul_hi_u32 v20, v3, v13
	v_mul_hi_u32 v21, v12, v14
	v_mul_lo_u32 v14, v12, v14
	v_mul_hi_u32 v22, v12, v13
	v_mul_lo_u32 v13, v12, v13
	v_add_co_u32 v15, vcc_lo, v15, v19
	v_add_co_ci_u32_e32 v19, vcc_lo, 0, v20, vcc_lo
	s_delay_alu instid0(VALU_DEP_2) | instskip(NEXT) | instid1(VALU_DEP_2)
	v_add_co_u32 v14, vcc_lo, v15, v14
	v_add_co_ci_u32_e32 v14, vcc_lo, v19, v21, vcc_lo
	v_add_co_ci_u32_e32 v15, vcc_lo, 0, v22, vcc_lo
	v_ashrrev_i32_e32 v21, 31, v9
	s_delay_alu instid0(VALU_DEP_3) | instskip(NEXT) | instid1(VALU_DEP_3)
	v_add_co_u32 v13, vcc_lo, v14, v13
	v_add_co_ci_u32_e32 v14, vcc_lo, 0, v15, vcc_lo
	s_delay_alu instid0(VALU_DEP_2) | instskip(NEXT) | instid1(VALU_DEP_2)
	v_add_co_u32 v3, vcc_lo, v3, v13
	v_add_co_ci_u32_e32 v12, vcc_lo, v12, v14, vcc_lo
	s_delay_alu instid0(VALU_DEP_2) | instskip(SKIP_1) | instid1(VALU_DEP_3)
	v_mul_hi_u32 v13, s0, v3
	v_mul_lo_u32 v15, s41, v3
	v_mul_lo_u32 v14, s0, v12
	s_delay_alu instid0(VALU_DEP_1) | instskip(SKIP_1) | instid1(VALU_DEP_2)
	v_add_nc_u32_e32 v13, v13, v14
	v_mul_lo_u32 v14, s0, v3
	v_add_nc_u32_e32 v13, v13, v15
	s_delay_alu instid0(VALU_DEP_2) | instskip(NEXT) | instid1(VALU_DEP_2)
	v_mul_hi_u32 v15, v3, v14
	v_mul_lo_u32 v19, v3, v13
	v_mul_hi_u32 v20, v3, v13
	v_mul_hi_u32 v22, v12, v14
	v_mul_lo_u32 v14, v12, v14
	v_mul_hi_u32 v23, v12, v13
	v_mul_lo_u32 v13, v12, v13
	v_add_co_u32 v15, vcc_lo, v15, v19
	v_add_co_ci_u32_e32 v19, vcc_lo, 0, v20, vcc_lo
	s_delay_alu instid0(VALU_DEP_2) | instskip(NEXT) | instid1(VALU_DEP_2)
	v_add_co_u32 v14, vcc_lo, v15, v14
	v_add_co_ci_u32_e32 v14, vcc_lo, v19, v22, vcc_lo
	v_add_co_ci_u32_e32 v15, vcc_lo, 0, v23, vcc_lo
	v_add_co_u32 v19, vcc_lo, v8, v21
	v_add_co_ci_u32_e32 v20, vcc_lo, v9, v21, vcc_lo
	s_delay_alu instid0(VALU_DEP_4) | instskip(NEXT) | instid1(VALU_DEP_4)
	v_add_co_u32 v13, vcc_lo, v14, v13
	v_add_co_ci_u32_e32 v14, vcc_lo, 0, v15, vcc_lo
	s_delay_alu instid0(VALU_DEP_4) | instskip(NEXT) | instid1(VALU_DEP_3)
	v_xor_b32_e32 v22, v19, v21
	v_add_co_u32 v3, vcc_lo, v3, v13
	s_delay_alu instid0(VALU_DEP_3) | instskip(SKIP_1) | instid1(VALU_DEP_3)
	v_add_co_ci_u32_e32 v23, vcc_lo, v12, v14, vcc_lo
	v_xor_b32_e32 v24, v20, v21
	v_mul_hi_u32 v25, v22, v3
	s_delay_alu instid0(VALU_DEP_3) | instskip(NEXT) | instid1(VALU_DEP_3)
	v_mad_u64_u32 v[12:13], null, v22, v23, 0
	v_mad_u64_u32 v[14:15], null, v24, v3, 0
	;; [unrolled: 1-line block ×3, first 2 shown]
	s_delay_alu instid0(VALU_DEP_3) | instskip(NEXT) | instid1(VALU_DEP_4)
	v_add_co_u32 v3, vcc_lo, v25, v12
	v_add_co_ci_u32_e32 v12, vcc_lo, 0, v13, vcc_lo
	s_delay_alu instid0(VALU_DEP_2) | instskip(NEXT) | instid1(VALU_DEP_2)
	v_add_co_u32 v3, vcc_lo, v3, v14
	v_add_co_ci_u32_e32 v3, vcc_lo, v12, v15, vcc_lo
	v_add_co_ci_u32_e32 v12, vcc_lo, 0, v20, vcc_lo
	s_delay_alu instid0(VALU_DEP_2) | instskip(NEXT) | instid1(VALU_DEP_2)
	v_add_co_u32 v3, vcc_lo, v3, v19
	v_add_co_ci_u32_e32 v14, vcc_lo, 0, v12, vcc_lo
	s_delay_alu instid0(VALU_DEP_2) | instskip(SKIP_1) | instid1(VALU_DEP_3)
	v_mul_lo_u32 v15, s43, v3
	v_mad_u64_u32 v[12:13], null, s42, v3, 0
	v_mul_lo_u32 v19, s42, v14
	s_delay_alu instid0(VALU_DEP_2) | instskip(NEXT) | instid1(VALU_DEP_2)
	v_sub_co_u32 v12, vcc_lo, v22, v12
	v_add3_u32 v13, v13, v19, v15
	s_delay_alu instid0(VALU_DEP_1) | instskip(NEXT) | instid1(VALU_DEP_1)
	v_sub_nc_u32_e32 v15, v24, v13
	v_subrev_co_ci_u32_e64 v15, s0, s43, v15, vcc_lo
	v_add_co_u32 v19, s0, v3, 2
	s_delay_alu instid0(VALU_DEP_1) | instskip(SKIP_3) | instid1(VALU_DEP_3)
	v_add_co_ci_u32_e64 v20, s0, 0, v14, s0
	v_sub_co_u32 v22, s0, v12, s42
	v_sub_co_ci_u32_e32 v13, vcc_lo, v24, v13, vcc_lo
	v_subrev_co_ci_u32_e64 v15, s0, 0, v15, s0
	v_cmp_le_u32_e32 vcc_lo, s42, v22
	s_delay_alu instid0(VALU_DEP_3) | instskip(SKIP_1) | instid1(VALU_DEP_4)
	v_cmp_eq_u32_e64 s0, s43, v13
	v_cndmask_b32_e64 v22, 0, -1, vcc_lo
	v_cmp_le_u32_e32 vcc_lo, s43, v15
	v_cndmask_b32_e64 v23, 0, -1, vcc_lo
	v_cmp_le_u32_e32 vcc_lo, s42, v12
	;; [unrolled: 2-line block ×3, first 2 shown]
	v_cndmask_b32_e64 v24, 0, -1, vcc_lo
	v_cmp_eq_u32_e32 vcc_lo, s43, v15
	s_delay_alu instid0(VALU_DEP_2) | instskip(SKIP_3) | instid1(VALU_DEP_3)
	v_cndmask_b32_e64 v12, v24, v12, s0
	v_cndmask_b32_e32 v15, v23, v22, vcc_lo
	v_add_co_u32 v22, vcc_lo, v3, 1
	v_add_co_ci_u32_e32 v23, vcc_lo, 0, v14, vcc_lo
	v_cmp_ne_u32_e32 vcc_lo, 0, v15
	s_delay_alu instid0(VALU_DEP_2) | instskip(NEXT) | instid1(VALU_DEP_4)
	v_cndmask_b32_e32 v13, v23, v20, vcc_lo
	v_cndmask_b32_e32 v15, v22, v19, vcc_lo
	v_cmp_ne_u32_e32 vcc_lo, 0, v12
	v_xor_b32_e32 v19, s40, v21
	s_delay_alu instid0(VALU_DEP_3) | instskip(NEXT) | instid1(VALU_DEP_1)
	v_dual_cndmask_b32 v3, v3, v15 :: v_dual_cndmask_b32 v12, v14, v13
	v_xor_b32_e32 v3, v3, v19
	s_delay_alu instid0(VALU_DEP_2) | instskip(NEXT) | instid1(VALU_DEP_2)
	v_xor_b32_e32 v13, v12, v19
	v_sub_co_u32 v12, vcc_lo, v3, v19
	s_delay_alu instid0(VALU_DEP_2)
	v_sub_co_ci_u32_e32 v13, vcc_lo, v13, v19, vcc_lo
.LBB2_27:                               ;   in Loop: Header=BB2_25 Depth=2
	s_and_not1_saveexec_b32 s0, s27
	s_cbranch_execz .LBB2_24
; %bb.28:                               ;   in Loop: Header=BB2_25 Depth=2
	v_cvt_f32_u32_e32 v3, s38
	s_sub_i32 s27, 0, s38
	s_delay_alu instid0(VALU_DEP_1) | instskip(SKIP_2) | instid1(VALU_DEP_1)
	v_rcp_iflag_f32_e32 v3, v3
	s_waitcnt_depctr 0xfff
	v_mul_f32_e32 v3, 0x4f7ffffe, v3
	v_cvt_u32_f32_e32 v3, v3
	s_delay_alu instid0(VALU_DEP_1) | instskip(NEXT) | instid1(VALU_DEP_1)
	v_mul_lo_u32 v12, s27, v3
	v_mul_hi_u32 v12, v3, v12
	s_delay_alu instid0(VALU_DEP_1) | instskip(NEXT) | instid1(VALU_DEP_1)
	v_add_nc_u32_e32 v3, v3, v12
	v_mul_hi_u32 v3, v8, v3
	s_delay_alu instid0(VALU_DEP_1) | instskip(SKIP_1) | instid1(VALU_DEP_2)
	v_mul_lo_u32 v12, v3, s38
	v_add_nc_u32_e32 v13, 1, v3
	v_sub_nc_u32_e32 v12, v8, v12
	s_delay_alu instid0(VALU_DEP_1) | instskip(SKIP_1) | instid1(VALU_DEP_2)
	v_subrev_nc_u32_e32 v14, s38, v12
	v_cmp_le_u32_e32 vcc_lo, s38, v12
	v_dual_cndmask_b32 v12, v12, v14 :: v_dual_cndmask_b32 v3, v3, v13
	s_delay_alu instid0(VALU_DEP_1) | instskip(NEXT) | instid1(VALU_DEP_2)
	v_cmp_le_u32_e32 vcc_lo, s38, v12
	v_add_nc_u32_e32 v13, 1, v3
	s_delay_alu instid0(VALU_DEP_1)
	v_dual_cndmask_b32 v12, v3, v13 :: v_dual_mov_b32 v13, v2
	s_branch .LBB2_24
.LBB2_29:
	s_nop 0
	s_sendmsg sendmsg(MSG_DEALLOC_VGPRS)
	s_endpgm
	.section	.rodata,"a",@progbits
	.p2align	6, 0x0
	.amdhsa_kernel _ZN2at6native16triu_tril_kernelIhlLb0ELi4ELb1EEEvNS_4cuda6detail10TensorInfoIT_T0_EENS4_IKS5_S6_EEllS6_
		.amdhsa_group_segment_fixed_size 0
		.amdhsa_private_segment_fixed_size 0
		.amdhsa_kernarg_size 1112
		.amdhsa_user_sgpr_count 15
		.amdhsa_user_sgpr_dispatch_ptr 0
		.amdhsa_user_sgpr_queue_ptr 0
		.amdhsa_user_sgpr_kernarg_segment_ptr 1
		.amdhsa_user_sgpr_dispatch_id 0
		.amdhsa_user_sgpr_private_segment_size 0
		.amdhsa_wavefront_size32 1
		.amdhsa_uses_dynamic_stack 0
		.amdhsa_enable_private_segment 0
		.amdhsa_system_sgpr_workgroup_id_x 1
		.amdhsa_system_sgpr_workgroup_id_y 0
		.amdhsa_system_sgpr_workgroup_id_z 0
		.amdhsa_system_sgpr_workgroup_info 0
		.amdhsa_system_vgpr_workitem_id 0
		.amdhsa_next_free_vgpr 26
		.amdhsa_next_free_sgpr 45
		.amdhsa_reserve_vcc 1
		.amdhsa_float_round_mode_32 0
		.amdhsa_float_round_mode_16_64 0
		.amdhsa_float_denorm_mode_32 3
		.amdhsa_float_denorm_mode_16_64 3
		.amdhsa_dx10_clamp 1
		.amdhsa_ieee_mode 1
		.amdhsa_fp16_overflow 0
		.amdhsa_workgroup_processor_mode 1
		.amdhsa_memory_ordered 1
		.amdhsa_forward_progress 0
		.amdhsa_shared_vgpr_count 0
		.amdhsa_exception_fp_ieee_invalid_op 0
		.amdhsa_exception_fp_denorm_src 0
		.amdhsa_exception_fp_ieee_div_zero 0
		.amdhsa_exception_fp_ieee_overflow 0
		.amdhsa_exception_fp_ieee_underflow 0
		.amdhsa_exception_fp_ieee_inexact 0
		.amdhsa_exception_int_div_zero 0
	.end_amdhsa_kernel
	.section	.text._ZN2at6native16triu_tril_kernelIhlLb0ELi4ELb1EEEvNS_4cuda6detail10TensorInfoIT_T0_EENS4_IKS5_S6_EEllS6_,"axG",@progbits,_ZN2at6native16triu_tril_kernelIhlLb0ELi4ELb1EEEvNS_4cuda6detail10TensorInfoIT_T0_EENS4_IKS5_S6_EEllS6_,comdat
.Lfunc_end2:
	.size	_ZN2at6native16triu_tril_kernelIhlLb0ELi4ELb1EEEvNS_4cuda6detail10TensorInfoIT_T0_EENS4_IKS5_S6_EEllS6_, .Lfunc_end2-_ZN2at6native16triu_tril_kernelIhlLb0ELi4ELb1EEEvNS_4cuda6detail10TensorInfoIT_T0_EENS4_IKS5_S6_EEllS6_
                                        ; -- End function
	.section	.AMDGPU.csdata,"",@progbits
; Kernel info:
; codeLenInByte = 4084
; NumSgprs: 47
; NumVgprs: 26
; ScratchSize: 0
; MemoryBound: 0
; FloatMode: 240
; IeeeMode: 1
; LDSByteSize: 0 bytes/workgroup (compile time only)
; SGPRBlocks: 5
; VGPRBlocks: 3
; NumSGPRsForWavesPerEU: 47
; NumVGPRsForWavesPerEU: 26
; Occupancy: 16
; WaveLimiterHint : 0
; COMPUTE_PGM_RSRC2:SCRATCH_EN: 0
; COMPUTE_PGM_RSRC2:USER_SGPR: 15
; COMPUTE_PGM_RSRC2:TRAP_HANDLER: 0
; COMPUTE_PGM_RSRC2:TGID_X_EN: 1
; COMPUTE_PGM_RSRC2:TGID_Y_EN: 0
; COMPUTE_PGM_RSRC2:TGID_Z_EN: 0
; COMPUTE_PGM_RSRC2:TIDIG_COMP_CNT: 0
	.section	.text._ZN2at6native16triu_tril_kernelIhlLb0ELi4ELb0EEEvNS_4cuda6detail10TensorInfoIT_T0_EENS4_IKS5_S6_EEllS6_,"axG",@progbits,_ZN2at6native16triu_tril_kernelIhlLb0ELi4ELb0EEEvNS_4cuda6detail10TensorInfoIT_T0_EENS4_IKS5_S6_EEllS6_,comdat
	.protected	_ZN2at6native16triu_tril_kernelIhlLb0ELi4ELb0EEEvNS_4cuda6detail10TensorInfoIT_T0_EENS4_IKS5_S6_EEllS6_ ; -- Begin function _ZN2at6native16triu_tril_kernelIhlLb0ELi4ELb0EEEvNS_4cuda6detail10TensorInfoIT_T0_EENS4_IKS5_S6_EEllS6_
	.globl	_ZN2at6native16triu_tril_kernelIhlLb0ELi4ELb0EEEvNS_4cuda6detail10TensorInfoIT_T0_EENS4_IKS5_S6_EEllS6_
	.p2align	8
	.type	_ZN2at6native16triu_tril_kernelIhlLb0ELi4ELb0EEEvNS_4cuda6detail10TensorInfoIT_T0_EENS4_IKS5_S6_EEllS6_,@function
_ZN2at6native16triu_tril_kernelIhlLb0ELi4ELb0EEEvNS_4cuda6detail10TensorInfoIT_T0_EENS4_IKS5_S6_EEllS6_: ; @_ZN2at6native16triu_tril_kernelIhlLb0ELi4ELb0EEEvNS_4cuda6detail10TensorInfoIT_T0_EENS4_IKS5_S6_EEllS6_
; %bb.0:
	s_clause 0x1
	s_load_b32 s2, s[0:1], 0x364
	s_load_b128 s[4:7], s[0:1], 0x340
	v_mov_b32_e32 v2, 0
	s_add_u32 s8, s0, 0x358
	s_addc_u32 s9, s1, 0
	s_delay_alu instid0(VALU_DEP_1) | instskip(SKIP_3) | instid1(VALU_DEP_1)
	v_mov_b32_e32 v1, v2
	s_waitcnt lgkmcnt(0)
	s_and_b32 s24, s2, 0xffff
	s_mov_b32 s2, exec_lo
	v_mad_u64_u32 v[3:4], null, s24, s15, v[0:1]
	s_delay_alu instid0(VALU_DEP_1) | instskip(NEXT) | instid1(VALU_DEP_1)
	v_lshlrev_b64 v[0:1], 2, v[3:4]
	v_cmpx_gt_i64_e64 s[6:7], v[0:1]
	s_cbranch_execz .LBB3_32
; %bb.1:
	s_clause 0x1
	s_load_b32 s26, s[0:1], 0x338
	s_load_b64 s[2:3], s[0:1], 0x350
	s_add_u32 s10, s0, 0x1a0
	s_addc_u32 s11, s1, 0
	s_load_b32 s25, s[8:9], 0x0
	s_clause 0x1
	s_load_b64 s[20:21], s[0:1], 0x1a0
	s_load_b64 s[22:23], s[0:1], 0x0
	s_mov_b32 s46, 0
	s_waitcnt lgkmcnt(0)
	s_ashr_i32 s27, s26, 31
	s_add_u32 s30, s0, 0x1a8
	s_addc_u32 s31, s1, 0
	s_lshl_b64 s[8:9], s[26:27], 3
	v_cvt_f32_u32_e32 v3, s2
	s_add_u32 s14, s8, -16
	s_addc_u32 s15, s9, -1
	s_add_u32 s8, s30, s14
	s_addc_u32 s9, s31, s15
	s_add_u32 s12, s10, s14
	s_addc_u32 s13, s11, s15
	;; [unrolled: 2-line block ×4, first 2 shown]
	s_clause 0x2
	s_load_b128 s[8:11], s[8:9], 0x0
	s_load_b128 s[12:15], s[12:13], 0xd0
	;; [unrolled: 1-line block ×3, first 2 shown]
	v_rcp_iflag_f32_e32 v3, v3
	s_add_i32 s28, s26, -3
	s_mul_i32 s25, s25, s24
	s_ashr_i32 s29, s28, 31
	v_cmp_gt_i64_e64 s1, s[26:27], 2
	s_lshl_b64 s[26:27], s[28:29], 3
	s_lshl_b32 s33, s25, 2
	s_add_u32 s24, s34, s26
	s_addc_u32 s25, s35, s27
	s_add_u32 s26, s30, s26
	s_waitcnt_depctr 0xfff
	v_mul_f32_e32 v3, 0x4f7ffffe, v3
	s_addc_u32 s27, s31, s27
	s_add_u32 s28, s28, 1
	s_addc_u32 s29, s29, 0
	s_ashr_i32 s30, s3, 31
	v_cvt_u32_f32_e32 v18, v3
	s_branch .LBB3_3
.LBB3_2:                                ;   in Loop: Header=BB3_3 Depth=1
	s_or_b32 exec_lo, exec_lo, s0
	v_add_co_u32 v0, vcc_lo, v0, s33
	v_add_co_ci_u32_e32 v1, vcc_lo, 0, v1, vcc_lo
	s_delay_alu instid0(VALU_DEP_1) | instskip(SKIP_1) | instid1(SALU_CYCLE_1)
	v_cmp_le_i64_e32 vcc_lo, s[6:7], v[0:1]
	s_or_b32 s46, vcc_lo, s46
	s_and_not1_b32 exec_lo, exec_lo, s46
	s_cbranch_execz .LBB3_32
.LBB3_3:                                ; =>This Loop Header: Depth=1
                                        ;     Child Loop BB3_28 Depth 2
	v_or_b32_e32 v3, s3, v1
                                        ; implicit-def: $vgpr8_vgpr9
	s_mov_b32 s0, exec_lo
	s_delay_alu instid0(VALU_DEP_1)
	v_cmpx_ne_u64_e32 0, v[2:3]
	s_xor_b32 s36, exec_lo, s0
	s_cbranch_execz .LBB3_5
; %bb.4:                                ;   in Loop: Header=BB3_3 Depth=1
	s_add_u32 s34, s2, s30
	s_mov_b32 s31, s30
	s_addc_u32 s35, s3, s30
	s_delay_alu instid0(SALU_CYCLE_1) | instskip(NEXT) | instid1(SALU_CYCLE_1)
	s_xor_b64 s[34:35], s[34:35], s[30:31]
	v_cvt_f32_u32_e32 v3, s34
	v_cvt_f32_u32_e32 v4, s35
	s_sub_u32 s0, 0, s34
	s_subb_u32 s31, 0, s35
	s_delay_alu instid0(VALU_DEP_1) | instskip(NEXT) | instid1(VALU_DEP_1)
	v_fmac_f32_e32 v3, 0x4f800000, v4
	v_rcp_f32_e32 v3, v3
	s_waitcnt_depctr 0xfff
	v_mul_f32_e32 v3, 0x5f7ffffc, v3
	s_delay_alu instid0(VALU_DEP_1) | instskip(NEXT) | instid1(VALU_DEP_1)
	v_mul_f32_e32 v4, 0x2f800000, v3
	v_trunc_f32_e32 v4, v4
	s_delay_alu instid0(VALU_DEP_1) | instskip(SKIP_1) | instid1(VALU_DEP_2)
	v_fmac_f32_e32 v3, 0xcf800000, v4
	v_cvt_u32_f32_e32 v4, v4
	v_cvt_u32_f32_e32 v3, v3
	s_delay_alu instid0(VALU_DEP_2) | instskip(NEXT) | instid1(VALU_DEP_2)
	v_mul_lo_u32 v5, s0, v4
	v_mul_hi_u32 v6, s0, v3
	v_mul_lo_u32 v7, s31, v3
	s_delay_alu instid0(VALU_DEP_2) | instskip(SKIP_1) | instid1(VALU_DEP_2)
	v_add_nc_u32_e32 v5, v6, v5
	v_mul_lo_u32 v6, s0, v3
	v_add_nc_u32_e32 v5, v5, v7
	s_delay_alu instid0(VALU_DEP_2) | instskip(NEXT) | instid1(VALU_DEP_2)
	v_mul_hi_u32 v7, v3, v6
	v_mul_lo_u32 v8, v3, v5
	v_mul_hi_u32 v9, v3, v5
	v_mul_hi_u32 v10, v4, v6
	v_mul_lo_u32 v6, v4, v6
	v_mul_hi_u32 v11, v4, v5
	v_mul_lo_u32 v5, v4, v5
	v_add_co_u32 v7, vcc_lo, v7, v8
	v_add_co_ci_u32_e32 v8, vcc_lo, 0, v9, vcc_lo
	s_delay_alu instid0(VALU_DEP_2) | instskip(NEXT) | instid1(VALU_DEP_2)
	v_add_co_u32 v6, vcc_lo, v7, v6
	v_add_co_ci_u32_e32 v6, vcc_lo, v8, v10, vcc_lo
	v_add_co_ci_u32_e32 v7, vcc_lo, 0, v11, vcc_lo
	v_ashrrev_i32_e32 v10, 31, v1
	s_delay_alu instid0(VALU_DEP_3) | instskip(NEXT) | instid1(VALU_DEP_3)
	v_add_co_u32 v5, vcc_lo, v6, v5
	v_add_co_ci_u32_e32 v6, vcc_lo, 0, v7, vcc_lo
	s_delay_alu instid0(VALU_DEP_2) | instskip(NEXT) | instid1(VALU_DEP_2)
	v_add_co_u32 v3, vcc_lo, v3, v5
	v_add_co_ci_u32_e32 v4, vcc_lo, v4, v6, vcc_lo
	s_delay_alu instid0(VALU_DEP_2) | instskip(SKIP_1) | instid1(VALU_DEP_3)
	v_mul_hi_u32 v5, s0, v3
	v_mul_lo_u32 v7, s31, v3
	v_mul_lo_u32 v6, s0, v4
	s_delay_alu instid0(VALU_DEP_1) | instskip(SKIP_1) | instid1(VALU_DEP_2)
	v_add_nc_u32_e32 v5, v5, v6
	v_mul_lo_u32 v6, s0, v3
	v_add_nc_u32_e32 v5, v5, v7
	s_delay_alu instid0(VALU_DEP_2) | instskip(NEXT) | instid1(VALU_DEP_2)
	v_mul_hi_u32 v7, v3, v6
	v_mul_lo_u32 v8, v3, v5
	v_mul_hi_u32 v9, v3, v5
	v_mul_hi_u32 v11, v4, v6
	v_mul_lo_u32 v6, v4, v6
	v_mul_hi_u32 v12, v4, v5
	v_mul_lo_u32 v5, v4, v5
	v_add_co_u32 v7, vcc_lo, v7, v8
	v_add_co_ci_u32_e32 v8, vcc_lo, 0, v9, vcc_lo
	s_delay_alu instid0(VALU_DEP_2) | instskip(NEXT) | instid1(VALU_DEP_2)
	v_add_co_u32 v6, vcc_lo, v7, v6
	v_add_co_ci_u32_e32 v6, vcc_lo, v8, v11, vcc_lo
	v_add_co_ci_u32_e32 v7, vcc_lo, 0, v12, vcc_lo
	v_add_co_u32 v8, vcc_lo, v0, v10
	v_add_co_ci_u32_e32 v9, vcc_lo, v1, v10, vcc_lo
	s_delay_alu instid0(VALU_DEP_4) | instskip(NEXT) | instid1(VALU_DEP_4)
	v_add_co_u32 v5, vcc_lo, v6, v5
	v_add_co_ci_u32_e32 v6, vcc_lo, 0, v7, vcc_lo
	s_delay_alu instid0(VALU_DEP_4) | instskip(NEXT) | instid1(VALU_DEP_3)
	v_xor_b32_e32 v11, v8, v10
	v_add_co_u32 v7, vcc_lo, v3, v5
	s_delay_alu instid0(VALU_DEP_3) | instskip(SKIP_1) | instid1(VALU_DEP_3)
	v_add_co_ci_u32_e32 v12, vcc_lo, v4, v6, vcc_lo
	v_xor_b32_e32 v9, v9, v10
	v_mul_hi_u32 v13, v11, v7
	s_delay_alu instid0(VALU_DEP_3) | instskip(NEXT) | instid1(VALU_DEP_3)
	v_mad_u64_u32 v[3:4], null, v11, v12, 0
	v_mad_u64_u32 v[5:6], null, v9, v7, 0
	;; [unrolled: 1-line block ×3, first 2 shown]
	s_delay_alu instid0(VALU_DEP_3) | instskip(NEXT) | instid1(VALU_DEP_4)
	v_add_co_u32 v3, vcc_lo, v13, v3
	v_add_co_ci_u32_e32 v4, vcc_lo, 0, v4, vcc_lo
	s_delay_alu instid0(VALU_DEP_2) | instskip(NEXT) | instid1(VALU_DEP_2)
	v_add_co_u32 v3, vcc_lo, v3, v5
	v_add_co_ci_u32_e32 v3, vcc_lo, v4, v6, vcc_lo
	v_add_co_ci_u32_e32 v4, vcc_lo, 0, v8, vcc_lo
	s_delay_alu instid0(VALU_DEP_2) | instskip(NEXT) | instid1(VALU_DEP_2)
	v_add_co_u32 v5, vcc_lo, v3, v7
	v_add_co_ci_u32_e32 v6, vcc_lo, 0, v4, vcc_lo
	s_delay_alu instid0(VALU_DEP_2) | instskip(SKIP_1) | instid1(VALU_DEP_3)
	v_mul_lo_u32 v7, s35, v5
	v_mad_u64_u32 v[3:4], null, s34, v5, 0
	v_mul_lo_u32 v8, s34, v6
	s_delay_alu instid0(VALU_DEP_2) | instskip(NEXT) | instid1(VALU_DEP_2)
	v_sub_co_u32 v3, vcc_lo, v11, v3
	v_add3_u32 v4, v4, v8, v7
	s_delay_alu instid0(VALU_DEP_1) | instskip(NEXT) | instid1(VALU_DEP_1)
	v_sub_nc_u32_e32 v7, v9, v4
	v_subrev_co_ci_u32_e64 v7, s0, s35, v7, vcc_lo
	v_add_co_u32 v8, s0, v5, 2
	s_delay_alu instid0(VALU_DEP_1) | instskip(SKIP_3) | instid1(VALU_DEP_3)
	v_add_co_ci_u32_e64 v11, s0, 0, v6, s0
	v_sub_co_u32 v12, s0, v3, s34
	v_sub_co_ci_u32_e32 v4, vcc_lo, v9, v4, vcc_lo
	v_subrev_co_ci_u32_e64 v7, s0, 0, v7, s0
	v_cmp_le_u32_e32 vcc_lo, s34, v12
	s_delay_alu instid0(VALU_DEP_3) | instskip(SKIP_1) | instid1(VALU_DEP_4)
	v_cmp_eq_u32_e64 s0, s35, v4
	v_cndmask_b32_e64 v9, 0, -1, vcc_lo
	v_cmp_le_u32_e32 vcc_lo, s35, v7
	v_cndmask_b32_e64 v12, 0, -1, vcc_lo
	v_cmp_le_u32_e32 vcc_lo, s34, v3
	;; [unrolled: 2-line block ×3, first 2 shown]
	v_cndmask_b32_e64 v13, 0, -1, vcc_lo
	v_cmp_eq_u32_e32 vcc_lo, s35, v7
	s_delay_alu instid0(VALU_DEP_2) | instskip(SKIP_3) | instid1(VALU_DEP_3)
	v_cndmask_b32_e64 v3, v13, v3, s0
	v_cndmask_b32_e32 v7, v12, v9, vcc_lo
	v_add_co_u32 v9, vcc_lo, v5, 1
	v_add_co_ci_u32_e32 v12, vcc_lo, 0, v6, vcc_lo
	v_cmp_ne_u32_e32 vcc_lo, 0, v7
	s_delay_alu instid0(VALU_DEP_2) | instskip(SKIP_2) | instid1(VALU_DEP_3)
	v_dual_cndmask_b32 v4, v12, v11 :: v_dual_cndmask_b32 v7, v9, v8
	v_cmp_ne_u32_e32 vcc_lo, 0, v3
	v_xor_b32_e32 v3, s30, v10
	v_dual_cndmask_b32 v5, v5, v7 :: v_dual_cndmask_b32 v4, v6, v4
	s_delay_alu instid0(VALU_DEP_1) | instskip(NEXT) | instid1(VALU_DEP_2)
	v_xor_b32_e32 v5, v5, v3
	v_xor_b32_e32 v4, v4, v3
	s_delay_alu instid0(VALU_DEP_2) | instskip(NEXT) | instid1(VALU_DEP_2)
	v_sub_co_u32 v8, vcc_lo, v5, v3
	v_sub_co_ci_u32_e32 v9, vcc_lo, v4, v3, vcc_lo
.LBB3_5:                                ;   in Loop: Header=BB3_3 Depth=1
	s_and_not1_saveexec_b32 s0, s36
	s_cbranch_execz .LBB3_7
; %bb.6:                                ;   in Loop: Header=BB3_3 Depth=1
	s_sub_i32 s31, 0, s2
	v_mov_b32_e32 v9, v2
	v_mul_lo_u32 v3, s31, v18
	s_delay_alu instid0(VALU_DEP_1) | instskip(NEXT) | instid1(VALU_DEP_1)
	v_mul_hi_u32 v3, v18, v3
	v_add_nc_u32_e32 v3, v18, v3
	s_delay_alu instid0(VALU_DEP_1) | instskip(NEXT) | instid1(VALU_DEP_1)
	v_mul_hi_u32 v3, v0, v3
	v_mul_lo_u32 v4, v3, s2
	v_add_nc_u32_e32 v5, 1, v3
	s_delay_alu instid0(VALU_DEP_2) | instskip(NEXT) | instid1(VALU_DEP_1)
	v_sub_nc_u32_e32 v4, v0, v4
	v_subrev_nc_u32_e32 v6, s2, v4
	v_cmp_le_u32_e32 vcc_lo, s2, v4
	s_delay_alu instid0(VALU_DEP_2) | instskip(NEXT) | instid1(VALU_DEP_1)
	v_dual_cndmask_b32 v4, v4, v6 :: v_dual_cndmask_b32 v3, v3, v5
	v_cmp_le_u32_e32 vcc_lo, s2, v4
	s_delay_alu instid0(VALU_DEP_2) | instskip(NEXT) | instid1(VALU_DEP_1)
	v_add_nc_u32_e32 v5, 1, v3
	v_cndmask_b32_e32 v8, v3, v5, vcc_lo
.LBB3_7:                                ;   in Loop: Header=BB3_3 Depth=1
	s_or_b32 exec_lo, exec_lo, s0
	s_waitcnt lgkmcnt(0)
	v_or_b32_e32 v3, s9, v9
                                        ; implicit-def: $vgpr6_vgpr7
	s_mov_b32 s0, exec_lo
	s_delay_alu instid0(VALU_DEP_1)
	v_cmpx_ne_u64_e32 0, v[2:3]
	s_xor_b32 s31, exec_lo, s0
	s_cbranch_execz .LBB3_9
; %bb.8:                                ;   in Loop: Header=BB3_3 Depth=1
	s_ashr_i32 s34, s9, 31
	s_delay_alu instid0(SALU_CYCLE_1) | instskip(SKIP_2) | instid1(SALU_CYCLE_1)
	s_add_u32 s36, s8, s34
	s_mov_b32 s35, s34
	s_addc_u32 s37, s9, s34
	s_xor_b64 s[36:37], s[36:37], s[34:35]
	s_delay_alu instid0(SALU_CYCLE_1) | instskip(SKIP_3) | instid1(VALU_DEP_1)
	v_cvt_f32_u32_e32 v3, s36
	v_cvt_f32_u32_e32 v4, s37
	s_sub_u32 s0, 0, s36
	s_subb_u32 s35, 0, s37
	v_fmac_f32_e32 v3, 0x4f800000, v4
	s_delay_alu instid0(VALU_DEP_1) | instskip(SKIP_2) | instid1(VALU_DEP_1)
	v_rcp_f32_e32 v3, v3
	s_waitcnt_depctr 0xfff
	v_mul_f32_e32 v3, 0x5f7ffffc, v3
	v_mul_f32_e32 v4, 0x2f800000, v3
	s_delay_alu instid0(VALU_DEP_1) | instskip(NEXT) | instid1(VALU_DEP_1)
	v_trunc_f32_e32 v4, v4
	v_fmac_f32_e32 v3, 0xcf800000, v4
	v_cvt_u32_f32_e32 v4, v4
	s_delay_alu instid0(VALU_DEP_2) | instskip(NEXT) | instid1(VALU_DEP_2)
	v_cvt_u32_f32_e32 v3, v3
	v_mul_lo_u32 v5, s0, v4
	s_delay_alu instid0(VALU_DEP_2) | instskip(SKIP_1) | instid1(VALU_DEP_2)
	v_mul_hi_u32 v6, s0, v3
	v_mul_lo_u32 v7, s35, v3
	v_add_nc_u32_e32 v5, v6, v5
	v_mul_lo_u32 v6, s0, v3
	s_delay_alu instid0(VALU_DEP_2) | instskip(NEXT) | instid1(VALU_DEP_2)
	v_add_nc_u32_e32 v5, v5, v7
	v_mul_hi_u32 v7, v3, v6
	s_delay_alu instid0(VALU_DEP_2)
	v_mul_lo_u32 v10, v3, v5
	v_mul_hi_u32 v11, v3, v5
	v_mul_hi_u32 v12, v4, v6
	v_mul_lo_u32 v6, v4, v6
	v_mul_hi_u32 v13, v4, v5
	v_mul_lo_u32 v5, v4, v5
	v_add_co_u32 v7, vcc_lo, v7, v10
	v_add_co_ci_u32_e32 v10, vcc_lo, 0, v11, vcc_lo
	s_delay_alu instid0(VALU_DEP_2) | instskip(NEXT) | instid1(VALU_DEP_2)
	v_add_co_u32 v6, vcc_lo, v7, v6
	v_add_co_ci_u32_e32 v6, vcc_lo, v10, v12, vcc_lo
	v_add_co_ci_u32_e32 v7, vcc_lo, 0, v13, vcc_lo
	v_ashrrev_i32_e32 v12, 31, v9
	s_delay_alu instid0(VALU_DEP_3) | instskip(NEXT) | instid1(VALU_DEP_3)
	v_add_co_u32 v5, vcc_lo, v6, v5
	v_add_co_ci_u32_e32 v6, vcc_lo, 0, v7, vcc_lo
	s_delay_alu instid0(VALU_DEP_2) | instskip(NEXT) | instid1(VALU_DEP_2)
	v_add_co_u32 v3, vcc_lo, v3, v5
	v_add_co_ci_u32_e32 v4, vcc_lo, v4, v6, vcc_lo
	s_delay_alu instid0(VALU_DEP_2) | instskip(SKIP_1) | instid1(VALU_DEP_3)
	v_mul_hi_u32 v5, s0, v3
	v_mul_lo_u32 v7, s35, v3
	v_mul_lo_u32 v6, s0, v4
	s_delay_alu instid0(VALU_DEP_1) | instskip(SKIP_1) | instid1(VALU_DEP_2)
	v_add_nc_u32_e32 v5, v5, v6
	v_mul_lo_u32 v6, s0, v3
	v_add_nc_u32_e32 v5, v5, v7
	s_delay_alu instid0(VALU_DEP_2) | instskip(NEXT) | instid1(VALU_DEP_2)
	v_mul_hi_u32 v7, v3, v6
	v_mul_lo_u32 v10, v3, v5
	v_mul_hi_u32 v11, v3, v5
	v_mul_hi_u32 v13, v4, v6
	v_mul_lo_u32 v6, v4, v6
	v_mul_hi_u32 v14, v4, v5
	v_mul_lo_u32 v5, v4, v5
	v_add_co_u32 v7, vcc_lo, v7, v10
	v_add_co_ci_u32_e32 v10, vcc_lo, 0, v11, vcc_lo
	s_delay_alu instid0(VALU_DEP_2) | instskip(NEXT) | instid1(VALU_DEP_2)
	v_add_co_u32 v6, vcc_lo, v7, v6
	v_add_co_ci_u32_e32 v6, vcc_lo, v10, v13, vcc_lo
	v_add_co_ci_u32_e32 v7, vcc_lo, 0, v14, vcc_lo
	v_add_co_u32 v10, vcc_lo, v8, v12
	v_add_co_ci_u32_e32 v11, vcc_lo, v9, v12, vcc_lo
	s_delay_alu instid0(VALU_DEP_4) | instskip(NEXT) | instid1(VALU_DEP_4)
	v_add_co_u32 v5, vcc_lo, v6, v5
	v_add_co_ci_u32_e32 v6, vcc_lo, 0, v7, vcc_lo
	s_delay_alu instid0(VALU_DEP_4) | instskip(NEXT) | instid1(VALU_DEP_3)
	v_xor_b32_e32 v7, v10, v12
	v_add_co_u32 v10, vcc_lo, v3, v5
	s_delay_alu instid0(VALU_DEP_3) | instskip(SKIP_1) | instid1(VALU_DEP_3)
	v_add_co_ci_u32_e32 v13, vcc_lo, v4, v6, vcc_lo
	v_xor_b32_e32 v14, v11, v12
	v_mul_hi_u32 v15, v7, v10
	s_delay_alu instid0(VALU_DEP_3) | instskip(NEXT) | instid1(VALU_DEP_3)
	v_mad_u64_u32 v[3:4], null, v7, v13, 0
	v_mad_u64_u32 v[5:6], null, v14, v10, 0
	;; [unrolled: 1-line block ×3, first 2 shown]
	s_delay_alu instid0(VALU_DEP_3) | instskip(NEXT) | instid1(VALU_DEP_4)
	v_add_co_u32 v3, vcc_lo, v15, v3
	v_add_co_ci_u32_e32 v4, vcc_lo, 0, v4, vcc_lo
	s_delay_alu instid0(VALU_DEP_2) | instskip(NEXT) | instid1(VALU_DEP_2)
	v_add_co_u32 v3, vcc_lo, v3, v5
	v_add_co_ci_u32_e32 v3, vcc_lo, v4, v6, vcc_lo
	v_add_co_ci_u32_e32 v4, vcc_lo, 0, v11, vcc_lo
	s_delay_alu instid0(VALU_DEP_2) | instskip(NEXT) | instid1(VALU_DEP_2)
	v_add_co_u32 v5, vcc_lo, v3, v10
	v_add_co_ci_u32_e32 v6, vcc_lo, 0, v4, vcc_lo
	s_delay_alu instid0(VALU_DEP_2) | instskip(SKIP_1) | instid1(VALU_DEP_3)
	v_mul_lo_u32 v10, s37, v5
	v_mad_u64_u32 v[3:4], null, s36, v5, 0
	v_mul_lo_u32 v11, s36, v6
	s_delay_alu instid0(VALU_DEP_2) | instskip(NEXT) | instid1(VALU_DEP_2)
	v_sub_co_u32 v3, vcc_lo, v7, v3
	v_add3_u32 v4, v4, v11, v10
	s_delay_alu instid0(VALU_DEP_1) | instskip(NEXT) | instid1(VALU_DEP_1)
	v_sub_nc_u32_e32 v10, v14, v4
	v_subrev_co_ci_u32_e64 v7, s0, s37, v10, vcc_lo
	v_add_co_u32 v10, s0, v5, 2
	s_delay_alu instid0(VALU_DEP_1) | instskip(SKIP_3) | instid1(VALU_DEP_3)
	v_add_co_ci_u32_e64 v11, s0, 0, v6, s0
	v_sub_co_u32 v13, s0, v3, s36
	v_sub_co_ci_u32_e32 v4, vcc_lo, v14, v4, vcc_lo
	v_subrev_co_ci_u32_e64 v7, s0, 0, v7, s0
	v_cmp_le_u32_e32 vcc_lo, s36, v13
	s_delay_alu instid0(VALU_DEP_3) | instskip(SKIP_1) | instid1(VALU_DEP_4)
	v_cmp_eq_u32_e64 s0, s37, v4
	v_cndmask_b32_e64 v13, 0, -1, vcc_lo
	v_cmp_le_u32_e32 vcc_lo, s37, v7
	v_cndmask_b32_e64 v14, 0, -1, vcc_lo
	v_cmp_le_u32_e32 vcc_lo, s36, v3
	;; [unrolled: 2-line block ×3, first 2 shown]
	v_cndmask_b32_e64 v15, 0, -1, vcc_lo
	v_cmp_eq_u32_e32 vcc_lo, s37, v7
	s_delay_alu instid0(VALU_DEP_2) | instskip(SKIP_3) | instid1(VALU_DEP_3)
	v_cndmask_b32_e64 v3, v15, v3, s0
	v_cndmask_b32_e32 v7, v14, v13, vcc_lo
	v_add_co_u32 v13, vcc_lo, v5, 1
	v_add_co_ci_u32_e32 v14, vcc_lo, 0, v6, vcc_lo
	v_cmp_ne_u32_e32 vcc_lo, 0, v7
	s_delay_alu instid0(VALU_DEP_2) | instskip(SKIP_2) | instid1(VALU_DEP_3)
	v_dual_cndmask_b32 v4, v14, v11 :: v_dual_cndmask_b32 v7, v13, v10
	v_cmp_ne_u32_e32 vcc_lo, 0, v3
	v_xor_b32_e32 v3, s34, v12
	v_dual_cndmask_b32 v5, v5, v7 :: v_dual_cndmask_b32 v4, v6, v4
	s_delay_alu instid0(VALU_DEP_1) | instskip(NEXT) | instid1(VALU_DEP_2)
	v_xor_b32_e32 v5, v5, v3
	v_xor_b32_e32 v4, v4, v3
	s_delay_alu instid0(VALU_DEP_2) | instskip(NEXT) | instid1(VALU_DEP_2)
	v_sub_co_u32 v6, vcc_lo, v5, v3
	v_sub_co_ci_u32_e32 v7, vcc_lo, v4, v3, vcc_lo
.LBB3_9:                                ;   in Loop: Header=BB3_3 Depth=1
	s_and_not1_saveexec_b32 s0, s31
	s_cbranch_execz .LBB3_11
; %bb.10:                               ;   in Loop: Header=BB3_3 Depth=1
	v_cvt_f32_u32_e32 v3, s8
	s_sub_i32 s31, 0, s8
	v_mov_b32_e32 v7, v2
	s_delay_alu instid0(VALU_DEP_2) | instskip(SKIP_2) | instid1(VALU_DEP_1)
	v_rcp_iflag_f32_e32 v3, v3
	s_waitcnt_depctr 0xfff
	v_mul_f32_e32 v3, 0x4f7ffffe, v3
	v_cvt_u32_f32_e32 v3, v3
	s_delay_alu instid0(VALU_DEP_1) | instskip(NEXT) | instid1(VALU_DEP_1)
	v_mul_lo_u32 v4, s31, v3
	v_mul_hi_u32 v4, v3, v4
	s_delay_alu instid0(VALU_DEP_1) | instskip(NEXT) | instid1(VALU_DEP_1)
	v_add_nc_u32_e32 v3, v3, v4
	v_mul_hi_u32 v3, v8, v3
	s_delay_alu instid0(VALU_DEP_1) | instskip(SKIP_1) | instid1(VALU_DEP_2)
	v_mul_lo_u32 v4, v3, s8
	v_add_nc_u32_e32 v5, 1, v3
	v_sub_nc_u32_e32 v4, v8, v4
	s_delay_alu instid0(VALU_DEP_1) | instskip(SKIP_1) | instid1(VALU_DEP_2)
	v_subrev_nc_u32_e32 v6, s8, v4
	v_cmp_le_u32_e32 vcc_lo, s8, v4
	v_dual_cndmask_b32 v4, v4, v6 :: v_dual_cndmask_b32 v3, v3, v5
	s_delay_alu instid0(VALU_DEP_1) | instskip(NEXT) | instid1(VALU_DEP_2)
	v_cmp_le_u32_e32 vcc_lo, s8, v4
	v_add_nc_u32_e32 v5, 1, v3
	s_delay_alu instid0(VALU_DEP_1)
	v_cndmask_b32_e32 v6, v3, v5, vcc_lo
.LBB3_11:                               ;   in Loop: Header=BB3_3 Depth=1
	s_or_b32 exec_lo, exec_lo, s0
	v_mul_lo_u32 v5, v9, s2
	v_mul_lo_u32 v12, v8, s3
	v_mad_u64_u32 v[3:4], null, v8, s2, 0
	v_mul_lo_u32 v13, v7, s8
	v_mul_lo_u32 v14, v6, s9
	v_mad_u64_u32 v[10:11], null, v6, s8, 0
	s_mov_b64 s[34:35], s[28:29]
	s_mov_b64 s[36:37], s[26:27]
	s_delay_alu instid0(VALU_DEP_4) | instskip(SKIP_2) | instid1(VALU_DEP_3)
	v_add3_u32 v5, v4, v12, v5
	v_sub_co_u32 v4, vcc_lo, v0, v3
	s_mov_b64 s[38:39], s[24:25]
	v_add3_u32 v3, v11, v14, v13
	s_delay_alu instid0(VALU_DEP_3) | instskip(NEXT) | instid1(VALU_DEP_3)
	v_sub_co_ci_u32_e32 v5, vcc_lo, v1, v5, vcc_lo
	v_mul_lo_u32 v11, s15, v4
	v_mul_lo_u32 v12, s19, v4
	v_mad_u64_u32 v[14:15], null, s18, v4, 0
	s_delay_alu instid0(VALU_DEP_4)
	v_mul_lo_u32 v13, s14, v5
	v_mul_lo_u32 v16, s18, v5
	v_mad_u64_u32 v[21:22], null, s14, v4, 0
	v_sub_co_u32 v19, vcc_lo, v8, v10
	v_sub_co_ci_u32_e32 v20, vcc_lo, v9, v3, vcc_lo
	s_and_b32 vcc_lo, exec_lo, s1
	s_delay_alu instid0(VALU_DEP_4) | instskip(NEXT) | instid1(VALU_DEP_4)
	v_add3_u32 v15, v15, v16, v12
	v_add3_u32 v22, v22, v13, v11
	v_mul_lo_u32 v3, s13, v19
	v_mul_lo_u32 v8, s12, v20
	;; [unrolled: 1-line block ×3, first 2 shown]
	v_mad_u64_u32 v[12:13], null, s16, v19, v[14:15]
	v_mul_lo_u32 v10, s17, v19
	v_mad_u64_u32 v[16:17], null, s12, v19, v[21:22]
	s_delay_alu instid0(VALU_DEP_2) | instskip(NEXT) | instid1(VALU_DEP_2)
	v_add3_u32 v13, v10, v13, v9
	v_add3_u32 v17, v3, v17, v8
	v_mov_b32_e32 v8, v12
	s_delay_alu instid0(VALU_DEP_3) | instskip(NEXT) | instid1(VALU_DEP_3)
	v_dual_mov_b32 v10, v16 :: v_dual_mov_b32 v9, v13
	v_mov_b32_e32 v11, v17
	s_cbranch_vccnz .LBB3_28
.LBB3_12:                               ;   in Loop: Header=BB3_3 Depth=1
	v_sub_co_u32 v6, vcc_lo, v4, v19
	v_sub_co_ci_u32_e32 v7, vcc_lo, v5, v20, vcc_lo
	v_mov_b32_e32 v8, 0
	s_mov_b32 s0, exec_lo
	s_delay_alu instid0(VALU_DEP_2)
	v_cmpx_ge_i64_e64 s[4:5], v[6:7]
	s_cbranch_execz .LBB3_22
; %bb.13:                               ;   in Loop: Header=BB3_3 Depth=1
	v_mov_b32_e32 v3, 0
	s_mov_b32 s31, exec_lo
	v_cmpx_gt_i64_e64 s[10:11], v[4:5]
	s_cbranch_execz .LBB3_21
; %bb.14:                               ;   in Loop: Header=BB3_3 Depth=1
	v_add_co_u32 v8, vcc_lo, s20, v16
	v_add_co_ci_u32_e32 v9, vcc_lo, s21, v17, vcc_lo
	v_add_co_u32 v10, vcc_lo, v4, 1
	v_add_co_ci_u32_e32 v11, vcc_lo, 0, v5, vcc_lo
	global_load_u8 v3, v[8:9], off
	s_mov_b32 s34, exec_lo
	v_cmpx_gt_i64_e64 s[10:11], v[10:11]
	s_xor_b32 s34, exec_lo, s34
	s_cbranch_execz .LBB3_20
; %bb.15:                               ;   in Loop: Header=BB3_3 Depth=1
	v_add_co_u32 v8, vcc_lo, v8, s14
	v_add_co_ci_u32_e32 v9, vcc_lo, s15, v9, vcc_lo
	s_mov_b32 s35, exec_lo
	global_load_u8 v10, v[8:9], off
	s_waitcnt vmcnt(0)
	v_lshlrev_b16 v14, 8, v10
	v_add_co_u32 v10, vcc_lo, v4, 2
	v_add_co_ci_u32_e32 v11, vcc_lo, 0, v5, vcc_lo
	s_delay_alu instid0(VALU_DEP_3) | instskip(NEXT) | instid1(VALU_DEP_1)
	v_or_b32_e32 v3, v3, v14
	v_and_b32_e32 v3, 0xffff, v3
	s_delay_alu instid0(VALU_DEP_3)
	v_cmpx_gt_i64_e64 s[10:11], v[10:11]
	s_xor_b32 s35, exec_lo, s35
	s_cbranch_execz .LBB3_19
; %bb.16:                               ;   in Loop: Header=BB3_3 Depth=1
	v_add_co_u32 v8, vcc_lo, v8, s14
	v_add_co_ci_u32_e32 v9, vcc_lo, s15, v9, vcc_lo
	v_add_co_u32 v10, vcc_lo, v4, 3
	v_add_co_ci_u32_e32 v11, vcc_lo, 0, v5, vcc_lo
	global_load_u8 v14, v[8:9], off
	s_mov_b32 s36, exec_lo
	s_waitcnt vmcnt(0)
	v_lshl_or_b32 v3, v14, 16, v3
	v_cmpx_gt_i64_e64 s[10:11], v[10:11]
	s_xor_b32 s36, exec_lo, s36
	s_cbranch_execz .LBB3_18
; %bb.17:                               ;   in Loop: Header=BB3_3 Depth=1
	v_add_co_u32 v8, vcc_lo, v8, s14
	v_add_co_ci_u32_e32 v9, vcc_lo, s15, v9, vcc_lo
	global_load_u8 v8, v[8:9], off
	v_lshrrev_b32_e32 v9, 16, v3
	s_waitcnt vmcnt(0)
	v_lshlrev_b16 v8, 8, v8
	s_delay_alu instid0(VALU_DEP_1) | instskip(NEXT) | instid1(VALU_DEP_1)
	v_or_b32_e32 v8, v9, v8
	v_lshlrev_b32_e32 v8, 16, v8
	s_delay_alu instid0(VALU_DEP_1)
	v_and_or_b32 v3, 0xffff, v3, v8
.LBB3_18:                               ;   in Loop: Header=BB3_3 Depth=1
	s_or_b32 exec_lo, exec_lo, s36
.LBB3_19:                               ;   in Loop: Header=BB3_3 Depth=1
	s_delay_alu instid0(SALU_CYCLE_1)
	s_or_b32 exec_lo, exec_lo, s35
.LBB3_20:                               ;   in Loop: Header=BB3_3 Depth=1
	s_delay_alu instid0(SALU_CYCLE_1)
	s_or_b32 exec_lo, exec_lo, s34
.LBB3_21:                               ;   in Loop: Header=BB3_3 Depth=1
	s_delay_alu instid0(SALU_CYCLE_1)
	s_or_b32 exec_lo, exec_lo, s31
	v_add_co_u32 v8, vcc_lo, v6, 1
	v_add_co_ci_u32_e32 v9, vcc_lo, 0, v7, vcc_lo
	v_add_co_u32 v10, vcc_lo, v6, 2
	v_add_co_ci_u32_e32 v11, vcc_lo, 0, v7, vcc_lo
	;; [unrolled: 2-line block ×3, first 2 shown]
	v_cmp_ge_i64_e32 vcc_lo, s[4:5], v[8:9]
	s_waitcnt vmcnt(0)
	v_lshrrev_b32_e32 v15, 8, v3
	v_lshrrev_b32_e32 v14, 16, v3
	;; [unrolled: 1-line block ×3, first 2 shown]
	v_and_b32_e32 v3, 0xff, v3
	s_delay_alu instid0(VALU_DEP_4) | instskip(SKIP_3) | instid1(VALU_DEP_4)
	v_cndmask_b32_e32 v8, 0, v15, vcc_lo
	v_cmp_ge_i64_e32 vcc_lo, s[4:5], v[10:11]
	v_cndmask_b32_e32 v9, 0, v14, vcc_lo
	v_cmp_ge_i64_e32 vcc_lo, s[4:5], v[6:7]
	v_lshlrev_b16 v7, 8, v8
	s_delay_alu instid0(VALU_DEP_3) | instskip(SKIP_1) | instid1(VALU_DEP_3)
	v_and_b32_e32 v8, 0xff, v9
	v_cndmask_b32_e32 v6, 0, v16, vcc_lo
	v_or_b32_e32 v3, v3, v7
	s_delay_alu instid0(VALU_DEP_2) | instskip(NEXT) | instid1(VALU_DEP_2)
	v_lshlrev_b16 v6, 8, v6
	v_and_b32_e32 v3, 0xffff, v3
	s_delay_alu instid0(VALU_DEP_2) | instskip(NEXT) | instid1(VALU_DEP_1)
	v_or_b32_e32 v6, v8, v6
	v_lshlrev_b32_e32 v6, 16, v6
	s_delay_alu instid0(VALU_DEP_1)
	v_or_b32_e32 v8, v3, v6
.LBB3_22:                               ;   in Loop: Header=BB3_3 Depth=1
	s_or_b32 exec_lo, exec_lo, s0
	s_delay_alu instid0(SALU_CYCLE_1)
	s_mov_b32 s0, exec_lo
	v_cmpx_gt_i64_e64 s[10:11], v[4:5]
	s_cbranch_execz .LBB3_2
; %bb.23:                               ;   in Loop: Header=BB3_3 Depth=1
	v_add_co_u32 v9, vcc_lo, v4, 1
	v_add_co_ci_u32_e32 v10, vcc_lo, 0, v5, vcc_lo
	v_add_co_u32 v6, vcc_lo, s22, v12
	v_add_co_ci_u32_e32 v7, vcc_lo, s23, v13, vcc_lo
	s_mov_b32 s31, exec_lo
	global_store_b8 v[6:7], v8, off
	v_cmpx_gt_i64_e64 s[10:11], v[9:10]
	s_xor_b32 s31, exec_lo, s31
	s_cbranch_execz .LBB3_2
; %bb.24:                               ;   in Loop: Header=BB3_3 Depth=1
	v_add_co_u32 v9, vcc_lo, v4, 2
	v_add_co_ci_u32_e32 v10, vcc_lo, 0, v5, vcc_lo
	v_add_co_u32 v6, vcc_lo, v6, s18
	v_lshrrev_b32_e32 v3, 8, v8
	v_add_co_ci_u32_e32 v7, vcc_lo, s19, v7, vcc_lo
	s_mov_b32 s31, exec_lo
	global_store_b8 v[6:7], v3, off
	v_cmpx_gt_i64_e64 s[10:11], v[9:10]
	s_xor_b32 s31, exec_lo, s31
	s_cbranch_execz .LBB3_2
; %bb.25:                               ;   in Loop: Header=BB3_3 Depth=1
	v_add_co_u32 v9, vcc_lo, v4, 3
	v_add_co_ci_u32_e32 v10, vcc_lo, 0, v5, vcc_lo
	v_add_co_u32 v3, vcc_lo, v6, s18
	v_add_co_ci_u32_e32 v4, vcc_lo, s19, v7, vcc_lo
	s_mov_b32 s31, exec_lo
	global_store_d16_hi_b8 v[3:4], v8, off
	v_cmpx_gt_i64_e64 s[10:11], v[9:10]
	s_xor_b32 s31, exec_lo, s31
	s_cbranch_execz .LBB3_2
; %bb.26:                               ;   in Loop: Header=BB3_3 Depth=1
	v_add_co_u32 v3, vcc_lo, v3, s18
	v_lshrrev_b32_e32 v5, 24, v8
	v_add_co_ci_u32_e32 v4, vcc_lo, s19, v4, vcc_lo
	global_store_b8 v[3:4], v5, off
	s_branch .LBB3_2
.LBB3_27:                               ;   in Loop: Header=BB3_28 Depth=2
	s_or_b32 exec_lo, exec_lo, s0
	s_delay_alu instid0(VALU_DEP_1) | instskip(NEXT) | instid1(VALU_DEP_2)
	v_mul_lo_u32 v3, v15, s40
	v_mul_lo_u32 v16, v14, s41
	s_load_b64 s[42:43], s[36:37], 0xc8
	v_mad_u64_u32 v[12:13], null, v14, s40, 0
	s_load_b64 s[40:41], s[38:39], 0x0
	s_add_u32 s38, s38, -8
	s_addc_u32 s39, s39, -1
	s_add_u32 s36, s36, -8
	s_addc_u32 s37, s37, -1
	s_add_u32 s34, s34, -1
	s_delay_alu instid0(VALU_DEP_1) | instskip(SKIP_2) | instid1(VALU_DEP_2)
	v_add3_u32 v3, v13, v16, v3
	v_sub_co_u32 v6, vcc_lo, v6, v12
	s_addc_u32 s35, s35, -1
	v_sub_co_ci_u32_e32 v3, vcc_lo, v7, v3, vcc_lo
	v_cmp_lt_i64_e64 s0, s[34:35], 1
	s_waitcnt lgkmcnt(0)
	s_delay_alu instid0(VALU_DEP_2)
	v_mul_lo_u32 v7, s42, v3
	v_mul_lo_u32 v21, s43, v6
	v_mad_u64_u32 v[16:17], null, s42, v6, v[10:11]
	v_mul_lo_u32 v3, s40, v3
	v_mul_lo_u32 v10, s41, v6
	v_mad_u64_u32 v[12:13], null, s40, v6, v[8:9]
	s_and_b32 vcc_lo, exec_lo, s0
	s_delay_alu instid0(VALU_DEP_4) | instskip(SKIP_1) | instid1(VALU_DEP_3)
	v_add3_u32 v17, v21, v17, v7
	v_dual_mov_b32 v6, v14 :: v_dual_mov_b32 v7, v15
	v_add3_u32 v13, v10, v13, v3
	s_delay_alu instid0(VALU_DEP_4) | instskip(NEXT) | instid1(VALU_DEP_4)
	v_mov_b32_e32 v8, v12
	v_dual_mov_b32 v10, v16 :: v_dual_mov_b32 v11, v17
	s_delay_alu instid0(VALU_DEP_3)
	v_mov_b32_e32 v9, v13
	s_cbranch_vccnz .LBB3_12
.LBB3_28:                               ;   Parent Loop BB3_3 Depth=1
                                        ; =>  This Inner Loop Header: Depth=2
	s_load_b64 s[40:41], s[36:37], 0x0
                                        ; implicit-def: $vgpr14_vgpr15
	s_mov_b32 s0, exec_lo
	s_waitcnt lgkmcnt(0)
	v_or_b32_e32 v3, s41, v7
	s_delay_alu instid0(VALU_DEP_1)
	v_cmpx_ne_u64_e32 0, v[2:3]
	s_xor_b32 s31, exec_lo, s0
	s_cbranch_execz .LBB3_30
; %bb.29:                               ;   in Loop: Header=BB3_28 Depth=2
	s_ashr_i32 s42, s41, 31
	s_delay_alu instid0(SALU_CYCLE_1) | instskip(SKIP_2) | instid1(SALU_CYCLE_1)
	s_add_u32 s44, s40, s42
	s_mov_b32 s43, s42
	s_addc_u32 s45, s41, s42
	s_xor_b64 s[44:45], s[44:45], s[42:43]
	s_delay_alu instid0(SALU_CYCLE_1) | instskip(SKIP_3) | instid1(VALU_DEP_1)
	v_cvt_f32_u32_e32 v3, s44
	v_cvt_f32_u32_e32 v12, s45
	s_sub_u32 s0, 0, s44
	s_subb_u32 s43, 0, s45
	v_fmac_f32_e32 v3, 0x4f800000, v12
	s_delay_alu instid0(VALU_DEP_1) | instskip(SKIP_2) | instid1(VALU_DEP_1)
	v_rcp_f32_e32 v3, v3
	s_waitcnt_depctr 0xfff
	v_mul_f32_e32 v3, 0x5f7ffffc, v3
	v_mul_f32_e32 v12, 0x2f800000, v3
	s_delay_alu instid0(VALU_DEP_1) | instskip(NEXT) | instid1(VALU_DEP_1)
	v_trunc_f32_e32 v12, v12
	v_fmac_f32_e32 v3, 0xcf800000, v12
	v_cvt_u32_f32_e32 v12, v12
	s_delay_alu instid0(VALU_DEP_2) | instskip(NEXT) | instid1(VALU_DEP_2)
	v_cvt_u32_f32_e32 v3, v3
	v_mul_lo_u32 v13, s0, v12
	s_delay_alu instid0(VALU_DEP_2) | instskip(SKIP_1) | instid1(VALU_DEP_2)
	v_mul_hi_u32 v14, s0, v3
	v_mul_lo_u32 v15, s43, v3
	v_add_nc_u32_e32 v13, v14, v13
	v_mul_lo_u32 v14, s0, v3
	s_delay_alu instid0(VALU_DEP_2) | instskip(NEXT) | instid1(VALU_DEP_2)
	v_add_nc_u32_e32 v13, v13, v15
	v_mul_hi_u32 v15, v3, v14
	s_delay_alu instid0(VALU_DEP_2)
	v_mul_lo_u32 v16, v3, v13
	v_mul_hi_u32 v17, v3, v13
	v_mul_hi_u32 v21, v12, v14
	v_mul_lo_u32 v14, v12, v14
	v_mul_hi_u32 v22, v12, v13
	v_mul_lo_u32 v13, v12, v13
	v_add_co_u32 v15, vcc_lo, v15, v16
	v_add_co_ci_u32_e32 v16, vcc_lo, 0, v17, vcc_lo
	s_delay_alu instid0(VALU_DEP_2) | instskip(NEXT) | instid1(VALU_DEP_2)
	v_add_co_u32 v14, vcc_lo, v15, v14
	v_add_co_ci_u32_e32 v14, vcc_lo, v16, v21, vcc_lo
	v_add_co_ci_u32_e32 v15, vcc_lo, 0, v22, vcc_lo
	v_ashrrev_i32_e32 v21, 31, v7
	s_delay_alu instid0(VALU_DEP_3) | instskip(NEXT) | instid1(VALU_DEP_3)
	v_add_co_u32 v13, vcc_lo, v14, v13
	v_add_co_ci_u32_e32 v14, vcc_lo, 0, v15, vcc_lo
	s_delay_alu instid0(VALU_DEP_2) | instskip(NEXT) | instid1(VALU_DEP_2)
	v_add_co_u32 v3, vcc_lo, v3, v13
	v_add_co_ci_u32_e32 v12, vcc_lo, v12, v14, vcc_lo
	s_delay_alu instid0(VALU_DEP_2) | instskip(SKIP_1) | instid1(VALU_DEP_3)
	v_mul_hi_u32 v13, s0, v3
	v_mul_lo_u32 v15, s43, v3
	v_mul_lo_u32 v14, s0, v12
	s_delay_alu instid0(VALU_DEP_1) | instskip(SKIP_1) | instid1(VALU_DEP_2)
	v_add_nc_u32_e32 v13, v13, v14
	v_mul_lo_u32 v14, s0, v3
	v_add_nc_u32_e32 v13, v13, v15
	s_delay_alu instid0(VALU_DEP_2) | instskip(NEXT) | instid1(VALU_DEP_2)
	v_mul_hi_u32 v15, v3, v14
	v_mul_lo_u32 v16, v3, v13
	v_mul_hi_u32 v17, v3, v13
	v_mul_hi_u32 v22, v12, v14
	v_mul_lo_u32 v14, v12, v14
	v_mul_hi_u32 v23, v12, v13
	v_mul_lo_u32 v13, v12, v13
	v_add_co_u32 v15, vcc_lo, v15, v16
	v_add_co_ci_u32_e32 v16, vcc_lo, 0, v17, vcc_lo
	s_delay_alu instid0(VALU_DEP_2) | instskip(NEXT) | instid1(VALU_DEP_2)
	v_add_co_u32 v14, vcc_lo, v15, v14
	v_add_co_ci_u32_e32 v14, vcc_lo, v16, v22, vcc_lo
	v_add_co_ci_u32_e32 v15, vcc_lo, 0, v23, vcc_lo
	v_add_co_u32 v16, vcc_lo, v6, v21
	v_add_co_ci_u32_e32 v17, vcc_lo, v7, v21, vcc_lo
	s_delay_alu instid0(VALU_DEP_4) | instskip(NEXT) | instid1(VALU_DEP_4)
	v_add_co_u32 v13, vcc_lo, v14, v13
	v_add_co_ci_u32_e32 v14, vcc_lo, 0, v15, vcc_lo
	s_delay_alu instid0(VALU_DEP_4) | instskip(NEXT) | instid1(VALU_DEP_3)
	v_xor_b32_e32 v22, v16, v21
	v_add_co_u32 v3, vcc_lo, v3, v13
	s_delay_alu instid0(VALU_DEP_3) | instskip(SKIP_1) | instid1(VALU_DEP_3)
	v_add_co_ci_u32_e32 v23, vcc_lo, v12, v14, vcc_lo
	v_xor_b32_e32 v24, v17, v21
	v_mul_hi_u32 v25, v22, v3
	s_delay_alu instid0(VALU_DEP_3) | instskip(NEXT) | instid1(VALU_DEP_3)
	v_mad_u64_u32 v[12:13], null, v22, v23, 0
	v_mad_u64_u32 v[14:15], null, v24, v3, 0
	;; [unrolled: 1-line block ×3, first 2 shown]
	s_delay_alu instid0(VALU_DEP_3) | instskip(NEXT) | instid1(VALU_DEP_4)
	v_add_co_u32 v3, vcc_lo, v25, v12
	v_add_co_ci_u32_e32 v12, vcc_lo, 0, v13, vcc_lo
	s_delay_alu instid0(VALU_DEP_2) | instskip(NEXT) | instid1(VALU_DEP_2)
	v_add_co_u32 v3, vcc_lo, v3, v14
	v_add_co_ci_u32_e32 v3, vcc_lo, v12, v15, vcc_lo
	v_add_co_ci_u32_e32 v12, vcc_lo, 0, v17, vcc_lo
	s_delay_alu instid0(VALU_DEP_2) | instskip(NEXT) | instid1(VALU_DEP_2)
	v_add_co_u32 v3, vcc_lo, v3, v16
	v_add_co_ci_u32_e32 v14, vcc_lo, 0, v12, vcc_lo
	s_delay_alu instid0(VALU_DEP_2) | instskip(SKIP_1) | instid1(VALU_DEP_3)
	v_mul_lo_u32 v15, s45, v3
	v_mad_u64_u32 v[12:13], null, s44, v3, 0
	v_mul_lo_u32 v16, s44, v14
	s_delay_alu instid0(VALU_DEP_2) | instskip(NEXT) | instid1(VALU_DEP_2)
	v_sub_co_u32 v12, vcc_lo, v22, v12
	v_add3_u32 v13, v13, v16, v15
	s_delay_alu instid0(VALU_DEP_1) | instskip(NEXT) | instid1(VALU_DEP_1)
	v_sub_nc_u32_e32 v15, v24, v13
	v_subrev_co_ci_u32_e64 v15, s0, s45, v15, vcc_lo
	v_add_co_u32 v16, s0, v3, 2
	s_delay_alu instid0(VALU_DEP_1) | instskip(SKIP_3) | instid1(VALU_DEP_3)
	v_add_co_ci_u32_e64 v17, s0, 0, v14, s0
	v_sub_co_u32 v22, s0, v12, s44
	v_sub_co_ci_u32_e32 v13, vcc_lo, v24, v13, vcc_lo
	v_subrev_co_ci_u32_e64 v15, s0, 0, v15, s0
	v_cmp_le_u32_e32 vcc_lo, s44, v22
	s_delay_alu instid0(VALU_DEP_3) | instskip(SKIP_1) | instid1(VALU_DEP_4)
	v_cmp_eq_u32_e64 s0, s45, v13
	v_cndmask_b32_e64 v22, 0, -1, vcc_lo
	v_cmp_le_u32_e32 vcc_lo, s45, v15
	v_cndmask_b32_e64 v23, 0, -1, vcc_lo
	v_cmp_le_u32_e32 vcc_lo, s44, v12
	;; [unrolled: 2-line block ×3, first 2 shown]
	v_cndmask_b32_e64 v24, 0, -1, vcc_lo
	v_cmp_eq_u32_e32 vcc_lo, s45, v15
	s_delay_alu instid0(VALU_DEP_2) | instskip(SKIP_3) | instid1(VALU_DEP_3)
	v_cndmask_b32_e64 v12, v24, v12, s0
	v_cndmask_b32_e32 v15, v23, v22, vcc_lo
	v_add_co_u32 v22, vcc_lo, v3, 1
	v_add_co_ci_u32_e32 v23, vcc_lo, 0, v14, vcc_lo
	v_cmp_ne_u32_e32 vcc_lo, 0, v15
	s_delay_alu instid0(VALU_DEP_2) | instskip(NEXT) | instid1(VALU_DEP_4)
	v_cndmask_b32_e32 v13, v23, v17, vcc_lo
	v_cndmask_b32_e32 v15, v22, v16, vcc_lo
	v_cmp_ne_u32_e32 vcc_lo, 0, v12
	v_xor_b32_e32 v12, s42, v21
	s_delay_alu instid0(VALU_DEP_3) | instskip(SKIP_1) | instid1(VALU_DEP_2)
	v_cndmask_b32_e32 v3, v3, v15, vcc_lo
	v_cndmask_b32_e32 v13, v14, v13, vcc_lo
	v_xor_b32_e32 v3, v3, v12
	s_delay_alu instid0(VALU_DEP_2) | instskip(NEXT) | instid1(VALU_DEP_2)
	v_xor_b32_e32 v13, v13, v12
	v_sub_co_u32 v14, vcc_lo, v3, v12
	s_delay_alu instid0(VALU_DEP_2)
	v_sub_co_ci_u32_e32 v15, vcc_lo, v13, v12, vcc_lo
.LBB3_30:                               ;   in Loop: Header=BB3_28 Depth=2
	s_and_not1_saveexec_b32 s0, s31
	s_cbranch_execz .LBB3_27
; %bb.31:                               ;   in Loop: Header=BB3_28 Depth=2
	v_cvt_f32_u32_e32 v3, s40
	s_sub_i32 s31, 0, s40
	v_mov_b32_e32 v15, v2
	s_delay_alu instid0(VALU_DEP_2) | instskip(SKIP_2) | instid1(VALU_DEP_1)
	v_rcp_iflag_f32_e32 v3, v3
	s_waitcnt_depctr 0xfff
	v_mul_f32_e32 v3, 0x4f7ffffe, v3
	v_cvt_u32_f32_e32 v3, v3
	s_delay_alu instid0(VALU_DEP_1) | instskip(NEXT) | instid1(VALU_DEP_1)
	v_mul_lo_u32 v12, s31, v3
	v_mul_hi_u32 v12, v3, v12
	s_delay_alu instid0(VALU_DEP_1) | instskip(NEXT) | instid1(VALU_DEP_1)
	v_add_nc_u32_e32 v3, v3, v12
	v_mul_hi_u32 v3, v6, v3
	s_delay_alu instid0(VALU_DEP_1) | instskip(SKIP_1) | instid1(VALU_DEP_2)
	v_mul_lo_u32 v12, v3, s40
	v_add_nc_u32_e32 v13, 1, v3
	v_sub_nc_u32_e32 v12, v6, v12
	s_delay_alu instid0(VALU_DEP_1) | instskip(SKIP_1) | instid1(VALU_DEP_2)
	v_subrev_nc_u32_e32 v14, s40, v12
	v_cmp_le_u32_e32 vcc_lo, s40, v12
	v_dual_cndmask_b32 v12, v12, v14 :: v_dual_cndmask_b32 v3, v3, v13
	s_delay_alu instid0(VALU_DEP_1) | instskip(NEXT) | instid1(VALU_DEP_2)
	v_cmp_le_u32_e32 vcc_lo, s40, v12
	v_add_nc_u32_e32 v13, 1, v3
	s_delay_alu instid0(VALU_DEP_1)
	v_cndmask_b32_e32 v14, v3, v13, vcc_lo
	s_branch .LBB3_27
.LBB3_32:
	s_nop 0
	s_sendmsg sendmsg(MSG_DEALLOC_VGPRS)
	s_endpgm
	.section	.rodata,"a",@progbits
	.p2align	6, 0x0
	.amdhsa_kernel _ZN2at6native16triu_tril_kernelIhlLb0ELi4ELb0EEEvNS_4cuda6detail10TensorInfoIT_T0_EENS4_IKS5_S6_EEllS6_
		.amdhsa_group_segment_fixed_size 0
		.amdhsa_private_segment_fixed_size 0
		.amdhsa_kernarg_size 1112
		.amdhsa_user_sgpr_count 15
		.amdhsa_user_sgpr_dispatch_ptr 0
		.amdhsa_user_sgpr_queue_ptr 0
		.amdhsa_user_sgpr_kernarg_segment_ptr 1
		.amdhsa_user_sgpr_dispatch_id 0
		.amdhsa_user_sgpr_private_segment_size 0
		.amdhsa_wavefront_size32 1
		.amdhsa_uses_dynamic_stack 0
		.amdhsa_enable_private_segment 0
		.amdhsa_system_sgpr_workgroup_id_x 1
		.amdhsa_system_sgpr_workgroup_id_y 0
		.amdhsa_system_sgpr_workgroup_id_z 0
		.amdhsa_system_sgpr_workgroup_info 0
		.amdhsa_system_vgpr_workitem_id 0
		.amdhsa_next_free_vgpr 26
		.amdhsa_next_free_sgpr 47
		.amdhsa_reserve_vcc 1
		.amdhsa_float_round_mode_32 0
		.amdhsa_float_round_mode_16_64 0
		.amdhsa_float_denorm_mode_32 3
		.amdhsa_float_denorm_mode_16_64 3
		.amdhsa_dx10_clamp 1
		.amdhsa_ieee_mode 1
		.amdhsa_fp16_overflow 0
		.amdhsa_workgroup_processor_mode 1
		.amdhsa_memory_ordered 1
		.amdhsa_forward_progress 0
		.amdhsa_shared_vgpr_count 0
		.amdhsa_exception_fp_ieee_invalid_op 0
		.amdhsa_exception_fp_denorm_src 0
		.amdhsa_exception_fp_ieee_div_zero 0
		.amdhsa_exception_fp_ieee_overflow 0
		.amdhsa_exception_fp_ieee_underflow 0
		.amdhsa_exception_fp_ieee_inexact 0
		.amdhsa_exception_int_div_zero 0
	.end_amdhsa_kernel
	.section	.text._ZN2at6native16triu_tril_kernelIhlLb0ELi4ELb0EEEvNS_4cuda6detail10TensorInfoIT_T0_EENS4_IKS5_S6_EEllS6_,"axG",@progbits,_ZN2at6native16triu_tril_kernelIhlLb0ELi4ELb0EEEvNS_4cuda6detail10TensorInfoIT_T0_EENS4_IKS5_S6_EEllS6_,comdat
.Lfunc_end3:
	.size	_ZN2at6native16triu_tril_kernelIhlLb0ELi4ELb0EEEvNS_4cuda6detail10TensorInfoIT_T0_EENS4_IKS5_S6_EEllS6_, .Lfunc_end3-_ZN2at6native16triu_tril_kernelIhlLb0ELi4ELb0EEEvNS_4cuda6detail10TensorInfoIT_T0_EENS4_IKS5_S6_EEllS6_
                                        ; -- End function
	.section	.AMDGPU.csdata,"",@progbits
; Kernel info:
; codeLenInByte = 4548
; NumSgprs: 49
; NumVgprs: 26
; ScratchSize: 0
; MemoryBound: 0
; FloatMode: 240
; IeeeMode: 1
; LDSByteSize: 0 bytes/workgroup (compile time only)
; SGPRBlocks: 6
; VGPRBlocks: 3
; NumSGPRsForWavesPerEU: 49
; NumVGPRsForWavesPerEU: 26
; Occupancy: 16
; WaveLimiterHint : 0
; COMPUTE_PGM_RSRC2:SCRATCH_EN: 0
; COMPUTE_PGM_RSRC2:USER_SGPR: 15
; COMPUTE_PGM_RSRC2:TRAP_HANDLER: 0
; COMPUTE_PGM_RSRC2:TGID_X_EN: 1
; COMPUTE_PGM_RSRC2:TGID_Y_EN: 0
; COMPUTE_PGM_RSRC2:TGID_Z_EN: 0
; COMPUTE_PGM_RSRC2:TIDIG_COMP_CNT: 0
	.section	.text._ZN2at6native16triu_tril_kernelIaiLb0ELi4ELb1EEEvNS_4cuda6detail10TensorInfoIT_T0_EENS4_IKS5_S6_EEllS6_,"axG",@progbits,_ZN2at6native16triu_tril_kernelIaiLb0ELi4ELb1EEEvNS_4cuda6detail10TensorInfoIT_T0_EENS4_IKS5_S6_EEllS6_,comdat
	.protected	_ZN2at6native16triu_tril_kernelIaiLb0ELi4ELb1EEEvNS_4cuda6detail10TensorInfoIT_T0_EENS4_IKS5_S6_EEllS6_ ; -- Begin function _ZN2at6native16triu_tril_kernelIaiLb0ELi4ELb1EEEvNS_4cuda6detail10TensorInfoIT_T0_EENS4_IKS5_S6_EEllS6_
	.globl	_ZN2at6native16triu_tril_kernelIaiLb0ELi4ELb1EEEvNS_4cuda6detail10TensorInfoIT_T0_EENS4_IKS5_S6_EEllS6_
	.p2align	8
	.type	_ZN2at6native16triu_tril_kernelIaiLb0ELi4ELb1EEEvNS_4cuda6detail10TensorInfoIT_T0_EENS4_IKS5_S6_EEllS6_,@function
_ZN2at6native16triu_tril_kernelIaiLb0ELi4ELb1EEEvNS_4cuda6detail10TensorInfoIT_T0_EENS4_IKS5_S6_EEllS6_: ; @_ZN2at6native16triu_tril_kernelIaiLb0ELi4ELb1EEEvNS_4cuda6detail10TensorInfoIT_T0_EENS4_IKS5_S6_EEllS6_
; %bb.0:
	s_clause 0x1
	s_load_b32 s2, s[0:1], 0x1d4
	s_load_b128 s[4:7], s[0:1], 0x1b0
	v_mov_b32_e32 v2, 0
	s_add_u32 s8, s0, 0x1c8
	s_addc_u32 s9, s1, 0
	s_delay_alu instid0(VALU_DEP_1) | instskip(SKIP_3) | instid1(VALU_DEP_1)
	v_mov_b32_e32 v1, v2
	s_waitcnt lgkmcnt(0)
	s_and_b32 s14, s2, 0xffff
	s_mov_b32 s2, exec_lo
	v_mad_u64_u32 v[3:4], null, s14, s15, v[0:1]
	s_delay_alu instid0(VALU_DEP_1) | instskip(NEXT) | instid1(VALU_DEP_1)
	v_lshlrev_b64 v[0:1], 2, v[3:4]
	v_cmpx_gt_i64_e64 s[6:7], v[0:1]
	s_cbranch_execz .LBB4_70
; %bb.1:
	s_clause 0x2
	s_load_b32 s24, s[0:1], 0x1c0
	s_load_b32 s16, s[0:1], 0x1a8
	s_load_b64 s[2:3], s[0:1], 0x0
	s_load_b32 s19, s[8:9], 0x0
	s_mov_b32 s38, 0
	s_waitcnt lgkmcnt(0)
	s_ashr_i32 s25, s24, 31
	s_ashr_i32 s17, s16, 31
	s_add_u32 s26, s0, 0xe0
	s_addc_u32 s27, s1, 0
	s_lshl_b64 s[10:11], s[16:17], 2
	v_cvt_f32_u32_e32 v3, s24
	s_add_u32 s15, s10, -8
	s_addc_u32 s18, s11, -1
	s_add_u32 s12, s26, s15
	s_addc_u32 s13, s27, s18
	v_rcp_iflag_f32_e32 v3, v3
	s_load_b32 s28, s[12:13], 0x0
	s_mul_i32 s19, s19, s14
	v_cmp_gt_i64_e64 s37, s[16:17], 2
	s_waitcnt_depctr 0xfff
	v_mul_f32_e32 v3, 0x4f7ffffe, v3
	s_delay_alu instid0(VALU_DEP_1)
	v_cvt_u32_f32_e32 v3, v3
	s_waitcnt lgkmcnt(0)
	s_ashr_i32 s29, s28, 31
	s_add_u32 s12, s10, -4
	s_addc_u32 s13, s11, -1
	s_add_u32 s30, s0, 0x6c
	s_addc_u32 s1, s1, 0
	s_add_u32 s8, s30, s12
	s_addc_u32 s9, s1, s13
	;; [unrolled: 2-line block ×3, first 2 shown]
	s_add_i32 s31, s16, -3
	s_add_u32 s12, s26, s12
	s_addc_u32 s13, s27, s13
	s_add_i32 s0, s16, 6
	s_lshl_b32 s34, s19, 2
	s_and_b32 s33, s0, 7
	s_mov_b32 s15, 0
	s_cmp_lg_u32 s33, 0
	s_cselect_b32 s35, -1, 0
	s_cmp_gt_u32 s31, 6
	s_cselect_b32 s36, -1, 0
	s_sub_i32 s0, 0, s24
	s_delay_alu instid0(SALU_CYCLE_1) | instskip(NEXT) | instid1(VALU_DEP_1)
	v_mul_lo_u32 v4, s0, v3
	v_mul_hi_u32 v4, v3, v4
	s_delay_alu instid0(VALU_DEP_1)
	v_add_nc_u32_e32 v25, v3, v4
	s_branch .LBB4_3
.LBB4_2:                                ;   in Loop: Header=BB4_3 Depth=1
	s_or_b32 exec_lo, exec_lo, s39
	v_add_co_u32 v0, vcc_lo, v0, s34
	v_add_co_ci_u32_e32 v1, vcc_lo, 0, v1, vcc_lo
	s_delay_alu instid0(VALU_DEP_1) | instskip(SKIP_1) | instid1(SALU_CYCLE_1)
	v_cmp_le_i64_e32 vcc_lo, s[6:7], v[0:1]
	s_or_b32 s38, vcc_lo, s38
	s_and_not1_b32 exec_lo, exec_lo, s38
	s_cbranch_execz .LBB4_70
.LBB4_3:                                ; =>This Loop Header: Depth=1
                                        ;     Child Loop BB4_15 Depth 2
                                        ;     Child Loop BB4_24 Depth 2
	v_or_b32_e32 v3, s25, v1
                                        ; implicit-def: $vgpr4_vgpr5
	s_mov_b32 s0, exec_lo
	s_delay_alu instid0(VALU_DEP_1)
	v_cmpx_ne_u64_e32 0, v[2:3]
	s_xor_b32 s14, exec_lo, s0
	s_cbranch_execz .LBB4_5
; %bb.4:                                ;   in Loop: Header=BB4_3 Depth=1
	s_add_u32 s18, s24, s25
	s_mov_b32 s16, s25
	s_mov_b32 s17, s25
	s_addc_u32 s19, s25, s25
	s_delay_alu instid0(SALU_CYCLE_1) | instskip(NEXT) | instid1(SALU_CYCLE_1)
	s_xor_b64 s[18:19], s[18:19], s[16:17]
	v_cvt_f32_u32_e32 v3, s18
	v_cvt_f32_u32_e32 v4, s19
	s_sub_u32 s0, 0, s18
	s_subb_u32 s20, 0, s19
	s_delay_alu instid0(VALU_DEP_1) | instskip(NEXT) | instid1(VALU_DEP_1)
	v_fmac_f32_e32 v3, 0x4f800000, v4
	v_rcp_f32_e32 v3, v3
	s_waitcnt_depctr 0xfff
	v_mul_f32_e32 v3, 0x5f7ffffc, v3
	s_delay_alu instid0(VALU_DEP_1) | instskip(NEXT) | instid1(VALU_DEP_1)
	v_mul_f32_e32 v4, 0x2f800000, v3
	v_trunc_f32_e32 v4, v4
	s_delay_alu instid0(VALU_DEP_1) | instskip(SKIP_1) | instid1(VALU_DEP_2)
	v_fmac_f32_e32 v3, 0xcf800000, v4
	v_cvt_u32_f32_e32 v4, v4
	v_cvt_u32_f32_e32 v3, v3
	s_delay_alu instid0(VALU_DEP_2) | instskip(NEXT) | instid1(VALU_DEP_2)
	v_mul_lo_u32 v5, s0, v4
	v_mul_hi_u32 v6, s0, v3
	v_mul_lo_u32 v7, s20, v3
	s_delay_alu instid0(VALU_DEP_2) | instskip(SKIP_1) | instid1(VALU_DEP_2)
	v_add_nc_u32_e32 v5, v6, v5
	v_mul_lo_u32 v6, s0, v3
	v_add_nc_u32_e32 v5, v5, v7
	s_delay_alu instid0(VALU_DEP_2) | instskip(NEXT) | instid1(VALU_DEP_2)
	v_mul_hi_u32 v7, v3, v6
	v_mul_lo_u32 v8, v3, v5
	v_mul_hi_u32 v9, v3, v5
	v_mul_hi_u32 v10, v4, v6
	v_mul_lo_u32 v6, v4, v6
	v_mul_hi_u32 v11, v4, v5
	v_mul_lo_u32 v5, v4, v5
	v_add_co_u32 v7, vcc_lo, v7, v8
	v_add_co_ci_u32_e32 v8, vcc_lo, 0, v9, vcc_lo
	s_delay_alu instid0(VALU_DEP_2) | instskip(NEXT) | instid1(VALU_DEP_2)
	v_add_co_u32 v6, vcc_lo, v7, v6
	v_add_co_ci_u32_e32 v6, vcc_lo, v8, v10, vcc_lo
	v_add_co_ci_u32_e32 v7, vcc_lo, 0, v11, vcc_lo
	v_ashrrev_i32_e32 v10, 31, v1
	s_delay_alu instid0(VALU_DEP_3) | instskip(NEXT) | instid1(VALU_DEP_3)
	v_add_co_u32 v5, vcc_lo, v6, v5
	v_add_co_ci_u32_e32 v6, vcc_lo, 0, v7, vcc_lo
	s_delay_alu instid0(VALU_DEP_2) | instskip(NEXT) | instid1(VALU_DEP_2)
	v_add_co_u32 v3, vcc_lo, v3, v5
	v_add_co_ci_u32_e32 v4, vcc_lo, v4, v6, vcc_lo
	s_delay_alu instid0(VALU_DEP_2) | instskip(SKIP_1) | instid1(VALU_DEP_3)
	v_mul_hi_u32 v5, s0, v3
	v_mul_lo_u32 v7, s20, v3
	v_mul_lo_u32 v6, s0, v4
	s_delay_alu instid0(VALU_DEP_1) | instskip(SKIP_1) | instid1(VALU_DEP_2)
	v_add_nc_u32_e32 v5, v5, v6
	v_mul_lo_u32 v6, s0, v3
	v_add_nc_u32_e32 v5, v5, v7
	s_delay_alu instid0(VALU_DEP_2) | instskip(NEXT) | instid1(VALU_DEP_2)
	v_mul_hi_u32 v7, v3, v6
	v_mul_lo_u32 v8, v3, v5
	v_mul_hi_u32 v9, v3, v5
	v_mul_hi_u32 v11, v4, v6
	v_mul_lo_u32 v6, v4, v6
	v_mul_hi_u32 v12, v4, v5
	v_mul_lo_u32 v5, v4, v5
	v_add_co_u32 v7, vcc_lo, v7, v8
	v_add_co_ci_u32_e32 v8, vcc_lo, 0, v9, vcc_lo
	s_delay_alu instid0(VALU_DEP_2) | instskip(NEXT) | instid1(VALU_DEP_2)
	v_add_co_u32 v6, vcc_lo, v7, v6
	v_add_co_ci_u32_e32 v6, vcc_lo, v8, v11, vcc_lo
	v_add_co_ci_u32_e32 v7, vcc_lo, 0, v12, vcc_lo
	v_add_co_u32 v8, vcc_lo, v0, v10
	v_add_co_ci_u32_e32 v9, vcc_lo, v1, v10, vcc_lo
	s_delay_alu instid0(VALU_DEP_4) | instskip(NEXT) | instid1(VALU_DEP_4)
	v_add_co_u32 v5, vcc_lo, v6, v5
	v_add_co_ci_u32_e32 v6, vcc_lo, 0, v7, vcc_lo
	s_delay_alu instid0(VALU_DEP_4) | instskip(NEXT) | instid1(VALU_DEP_3)
	v_xor_b32_e32 v11, v8, v10
	v_add_co_u32 v7, vcc_lo, v3, v5
	s_delay_alu instid0(VALU_DEP_3) | instskip(SKIP_1) | instid1(VALU_DEP_3)
	v_add_co_ci_u32_e32 v12, vcc_lo, v4, v6, vcc_lo
	v_xor_b32_e32 v9, v9, v10
	v_mul_hi_u32 v13, v11, v7
	s_delay_alu instid0(VALU_DEP_3) | instskip(NEXT) | instid1(VALU_DEP_3)
	v_mad_u64_u32 v[3:4], null, v11, v12, 0
	v_mad_u64_u32 v[5:6], null, v9, v7, 0
	;; [unrolled: 1-line block ×3, first 2 shown]
	s_delay_alu instid0(VALU_DEP_3) | instskip(NEXT) | instid1(VALU_DEP_4)
	v_add_co_u32 v3, vcc_lo, v13, v3
	v_add_co_ci_u32_e32 v4, vcc_lo, 0, v4, vcc_lo
	s_delay_alu instid0(VALU_DEP_2) | instskip(NEXT) | instid1(VALU_DEP_2)
	v_add_co_u32 v3, vcc_lo, v3, v5
	v_add_co_ci_u32_e32 v3, vcc_lo, v4, v6, vcc_lo
	v_add_co_ci_u32_e32 v4, vcc_lo, 0, v8, vcc_lo
	s_delay_alu instid0(VALU_DEP_2) | instskip(NEXT) | instid1(VALU_DEP_2)
	v_add_co_u32 v5, vcc_lo, v3, v7
	v_add_co_ci_u32_e32 v6, vcc_lo, 0, v4, vcc_lo
	s_delay_alu instid0(VALU_DEP_2) | instskip(SKIP_1) | instid1(VALU_DEP_3)
	v_mul_lo_u32 v7, s19, v5
	v_mad_u64_u32 v[3:4], null, s18, v5, 0
	v_mul_lo_u32 v8, s18, v6
	s_delay_alu instid0(VALU_DEP_2) | instskip(NEXT) | instid1(VALU_DEP_2)
	v_sub_co_u32 v3, vcc_lo, v11, v3
	v_add3_u32 v4, v4, v8, v7
	s_delay_alu instid0(VALU_DEP_1) | instskip(NEXT) | instid1(VALU_DEP_1)
	v_sub_nc_u32_e32 v7, v9, v4
	v_subrev_co_ci_u32_e64 v7, s0, s19, v7, vcc_lo
	v_add_co_u32 v8, s0, v5, 2
	s_delay_alu instid0(VALU_DEP_1) | instskip(SKIP_3) | instid1(VALU_DEP_3)
	v_add_co_ci_u32_e64 v11, s0, 0, v6, s0
	v_sub_co_u32 v12, s0, v3, s18
	v_sub_co_ci_u32_e32 v4, vcc_lo, v9, v4, vcc_lo
	v_subrev_co_ci_u32_e64 v7, s0, 0, v7, s0
	v_cmp_le_u32_e32 vcc_lo, s18, v12
	s_delay_alu instid0(VALU_DEP_3) | instskip(SKIP_1) | instid1(VALU_DEP_4)
	v_cmp_eq_u32_e64 s0, s19, v4
	v_cndmask_b32_e64 v9, 0, -1, vcc_lo
	v_cmp_le_u32_e32 vcc_lo, s19, v7
	v_cndmask_b32_e64 v12, 0, -1, vcc_lo
	v_cmp_le_u32_e32 vcc_lo, s18, v3
	;; [unrolled: 2-line block ×3, first 2 shown]
	v_cndmask_b32_e64 v13, 0, -1, vcc_lo
	v_cmp_eq_u32_e32 vcc_lo, s19, v7
	s_delay_alu instid0(VALU_DEP_2) | instskip(SKIP_3) | instid1(VALU_DEP_3)
	v_cndmask_b32_e64 v3, v13, v3, s0
	v_cndmask_b32_e32 v7, v12, v9, vcc_lo
	v_add_co_u32 v9, vcc_lo, v5, 1
	v_add_co_ci_u32_e32 v12, vcc_lo, 0, v6, vcc_lo
	v_cmp_ne_u32_e32 vcc_lo, 0, v7
	s_delay_alu instid0(VALU_DEP_2) | instskip(SKIP_2) | instid1(VALU_DEP_3)
	v_dual_cndmask_b32 v4, v12, v11 :: v_dual_cndmask_b32 v7, v9, v8
	v_cmp_ne_u32_e32 vcc_lo, 0, v3
	v_xor_b32_e32 v3, s16, v10
	v_dual_cndmask_b32 v5, v5, v7 :: v_dual_cndmask_b32 v4, v6, v4
	v_xor_b32_e32 v6, s17, v10
	s_delay_alu instid0(VALU_DEP_2) | instskip(NEXT) | instid1(VALU_DEP_2)
	v_xor_b32_e32 v5, v5, v3
	v_xor_b32_e32 v7, v4, v6
	s_delay_alu instid0(VALU_DEP_2) | instskip(NEXT) | instid1(VALU_DEP_2)
	v_sub_co_u32 v4, vcc_lo, v5, v3
	v_sub_co_ci_u32_e32 v5, vcc_lo, v7, v6, vcc_lo
.LBB4_5:                                ;   in Loop: Header=BB4_3 Depth=1
	s_and_not1_saveexec_b32 s0, s14
; %bb.6:                                ;   in Loop: Header=BB4_3 Depth=1
	v_mul_hi_u32 v3, v0, v25
	s_delay_alu instid0(VALU_DEP_1) | instskip(NEXT) | instid1(VALU_DEP_1)
	v_mul_lo_u32 v4, v3, s24
	v_sub_nc_u32_e32 v4, v0, v4
	s_delay_alu instid0(VALU_DEP_1) | instskip(SKIP_1) | instid1(VALU_DEP_2)
	v_subrev_nc_u32_e32 v6, s24, v4
	v_cmp_le_u32_e32 vcc_lo, s24, v4
	v_dual_cndmask_b32 v4, v4, v6 :: v_dual_add_nc_u32 v5, 1, v3
	s_delay_alu instid0(VALU_DEP_1) | instskip(NEXT) | instid1(VALU_DEP_2)
	v_cndmask_b32_e32 v3, v3, v5, vcc_lo
	v_cmp_le_u32_e32 vcc_lo, s24, v4
	s_delay_alu instid0(VALU_DEP_2) | instskip(NEXT) | instid1(VALU_DEP_1)
	v_add_nc_u32_e32 v5, 1, v3
	v_dual_cndmask_b32 v4, v3, v5 :: v_dual_mov_b32 v5, v2
; %bb.7:                                ;   in Loop: Header=BB4_3 Depth=1
	s_or_b32 exec_lo, exec_lo, s0
	s_delay_alu instid0(VALU_DEP_1) | instskip(SKIP_1) | instid1(VALU_DEP_1)
	v_or_b32_e32 v3, s29, v5
                                        ; implicit-def: $vgpr7_vgpr8
	s_mov_b32 s0, exec_lo
	v_cmpx_ne_u64_e32 0, v[2:3]
	s_xor_b32 s14, exec_lo, s0
	s_cbranch_execz .LBB4_9
; %bb.8:                                ;   in Loop: Header=BB4_3 Depth=1
	s_add_u32 s18, s28, s29
	s_mov_b32 s16, s29
	s_mov_b32 s17, s29
	s_addc_u32 s19, s29, s29
	s_delay_alu instid0(SALU_CYCLE_1) | instskip(NEXT) | instid1(SALU_CYCLE_1)
	s_xor_b64 s[18:19], s[18:19], s[16:17]
	v_cvt_f32_u32_e32 v3, s18
	v_cvt_f32_u32_e32 v6, s19
	s_sub_u32 s0, 0, s18
	s_subb_u32 s20, 0, s19
	s_delay_alu instid0(VALU_DEP_1) | instskip(NEXT) | instid1(VALU_DEP_1)
	v_fmac_f32_e32 v3, 0x4f800000, v6
	v_rcp_f32_e32 v3, v3
	s_waitcnt_depctr 0xfff
	v_mul_f32_e32 v3, 0x5f7ffffc, v3
	s_delay_alu instid0(VALU_DEP_1) | instskip(NEXT) | instid1(VALU_DEP_1)
	v_mul_f32_e32 v6, 0x2f800000, v3
	v_trunc_f32_e32 v6, v6
	s_delay_alu instid0(VALU_DEP_1) | instskip(SKIP_1) | instid1(VALU_DEP_2)
	v_fmac_f32_e32 v3, 0xcf800000, v6
	v_cvt_u32_f32_e32 v6, v6
	v_cvt_u32_f32_e32 v3, v3
	s_delay_alu instid0(VALU_DEP_2) | instskip(NEXT) | instid1(VALU_DEP_2)
	v_mul_lo_u32 v7, s0, v6
	v_mul_hi_u32 v8, s0, v3
	v_mul_lo_u32 v9, s20, v3
	s_delay_alu instid0(VALU_DEP_2) | instskip(SKIP_1) | instid1(VALU_DEP_2)
	v_add_nc_u32_e32 v7, v8, v7
	v_mul_lo_u32 v8, s0, v3
	v_add_nc_u32_e32 v7, v7, v9
	s_delay_alu instid0(VALU_DEP_2) | instskip(NEXT) | instid1(VALU_DEP_2)
	v_mul_hi_u32 v9, v3, v8
	v_mul_lo_u32 v10, v3, v7
	v_mul_hi_u32 v11, v3, v7
	v_mul_hi_u32 v12, v6, v8
	v_mul_lo_u32 v8, v6, v8
	v_mul_hi_u32 v13, v6, v7
	v_mul_lo_u32 v7, v6, v7
	v_add_co_u32 v9, vcc_lo, v9, v10
	v_add_co_ci_u32_e32 v10, vcc_lo, 0, v11, vcc_lo
	s_delay_alu instid0(VALU_DEP_2) | instskip(NEXT) | instid1(VALU_DEP_2)
	v_add_co_u32 v8, vcc_lo, v9, v8
	v_add_co_ci_u32_e32 v8, vcc_lo, v10, v12, vcc_lo
	v_add_co_ci_u32_e32 v9, vcc_lo, 0, v13, vcc_lo
	v_ashrrev_i32_e32 v12, 31, v5
	s_delay_alu instid0(VALU_DEP_3) | instskip(NEXT) | instid1(VALU_DEP_3)
	v_add_co_u32 v7, vcc_lo, v8, v7
	v_add_co_ci_u32_e32 v8, vcc_lo, 0, v9, vcc_lo
	s_delay_alu instid0(VALU_DEP_2) | instskip(NEXT) | instid1(VALU_DEP_2)
	v_add_co_u32 v3, vcc_lo, v3, v7
	v_add_co_ci_u32_e32 v6, vcc_lo, v6, v8, vcc_lo
	s_delay_alu instid0(VALU_DEP_2) | instskip(SKIP_1) | instid1(VALU_DEP_3)
	v_mul_hi_u32 v7, s0, v3
	v_mul_lo_u32 v9, s20, v3
	v_mul_lo_u32 v8, s0, v6
	s_delay_alu instid0(VALU_DEP_1) | instskip(SKIP_1) | instid1(VALU_DEP_2)
	v_add_nc_u32_e32 v7, v7, v8
	v_mul_lo_u32 v8, s0, v3
	v_add_nc_u32_e32 v7, v7, v9
	s_delay_alu instid0(VALU_DEP_2) | instskip(NEXT) | instid1(VALU_DEP_2)
	v_mul_hi_u32 v9, v3, v8
	v_mul_lo_u32 v10, v3, v7
	v_mul_hi_u32 v11, v3, v7
	v_mul_hi_u32 v13, v6, v8
	v_mul_lo_u32 v8, v6, v8
	v_mul_hi_u32 v14, v6, v7
	v_mul_lo_u32 v7, v6, v7
	v_add_co_u32 v9, vcc_lo, v9, v10
	v_add_co_ci_u32_e32 v10, vcc_lo, 0, v11, vcc_lo
	s_delay_alu instid0(VALU_DEP_2) | instskip(NEXT) | instid1(VALU_DEP_2)
	v_add_co_u32 v8, vcc_lo, v9, v8
	v_add_co_ci_u32_e32 v8, vcc_lo, v10, v13, vcc_lo
	v_add_co_ci_u32_e32 v9, vcc_lo, 0, v14, vcc_lo
	v_add_co_u32 v10, vcc_lo, v4, v12
	v_add_co_ci_u32_e32 v5, vcc_lo, v5, v12, vcc_lo
	s_delay_alu instid0(VALU_DEP_4) | instskip(NEXT) | instid1(VALU_DEP_4)
	v_add_co_u32 v7, vcc_lo, v8, v7
	v_add_co_ci_u32_e32 v8, vcc_lo, 0, v9, vcc_lo
	s_delay_alu instid0(VALU_DEP_4) | instskip(NEXT) | instid1(VALU_DEP_3)
	v_xor_b32_e32 v11, v10, v12
	v_add_co_u32 v3, vcc_lo, v3, v7
	s_delay_alu instid0(VALU_DEP_3) | instskip(SKIP_1) | instid1(VALU_DEP_3)
	v_add_co_ci_u32_e32 v13, vcc_lo, v6, v8, vcc_lo
	v_xor_b32_e32 v14, v5, v12
	v_mul_hi_u32 v15, v11, v3
	s_delay_alu instid0(VALU_DEP_3) | instskip(NEXT) | instid1(VALU_DEP_3)
	v_mad_u64_u32 v[5:6], null, v11, v13, 0
	v_mad_u64_u32 v[7:8], null, v14, v3, 0
	;; [unrolled: 1-line block ×3, first 2 shown]
	s_delay_alu instid0(VALU_DEP_3) | instskip(NEXT) | instid1(VALU_DEP_4)
	v_add_co_u32 v3, vcc_lo, v15, v5
	v_add_co_ci_u32_e32 v5, vcc_lo, 0, v6, vcc_lo
	s_delay_alu instid0(VALU_DEP_2) | instskip(NEXT) | instid1(VALU_DEP_2)
	v_add_co_u32 v3, vcc_lo, v3, v7
	v_add_co_ci_u32_e32 v3, vcc_lo, v5, v8, vcc_lo
	v_add_co_ci_u32_e32 v5, vcc_lo, 0, v10, vcc_lo
	s_delay_alu instid0(VALU_DEP_2) | instskip(NEXT) | instid1(VALU_DEP_2)
	v_add_co_u32 v3, vcc_lo, v3, v9
	v_add_co_ci_u32_e32 v7, vcc_lo, 0, v5, vcc_lo
	s_delay_alu instid0(VALU_DEP_2) | instskip(SKIP_1) | instid1(VALU_DEP_3)
	v_mul_lo_u32 v8, s19, v3
	v_mad_u64_u32 v[5:6], null, s18, v3, 0
	v_mul_lo_u32 v9, s18, v7
	s_delay_alu instid0(VALU_DEP_2) | instskip(NEXT) | instid1(VALU_DEP_2)
	v_sub_co_u32 v5, vcc_lo, v11, v5
	v_add3_u32 v6, v6, v9, v8
	s_delay_alu instid0(VALU_DEP_1) | instskip(NEXT) | instid1(VALU_DEP_1)
	v_sub_nc_u32_e32 v8, v14, v6
	v_subrev_co_ci_u32_e64 v8, s0, s19, v8, vcc_lo
	v_add_co_u32 v9, s0, v3, 2
	s_delay_alu instid0(VALU_DEP_1) | instskip(SKIP_3) | instid1(VALU_DEP_3)
	v_add_co_ci_u32_e64 v10, s0, 0, v7, s0
	v_sub_co_u32 v11, s0, v5, s18
	v_sub_co_ci_u32_e32 v6, vcc_lo, v14, v6, vcc_lo
	v_subrev_co_ci_u32_e64 v8, s0, 0, v8, s0
	v_cmp_le_u32_e32 vcc_lo, s18, v11
	s_delay_alu instid0(VALU_DEP_3) | instskip(SKIP_1) | instid1(VALU_DEP_4)
	v_cmp_eq_u32_e64 s0, s19, v6
	v_cndmask_b32_e64 v11, 0, -1, vcc_lo
	v_cmp_le_u32_e32 vcc_lo, s19, v8
	v_cndmask_b32_e64 v13, 0, -1, vcc_lo
	v_cmp_le_u32_e32 vcc_lo, s18, v5
	;; [unrolled: 2-line block ×3, first 2 shown]
	v_cndmask_b32_e64 v14, 0, -1, vcc_lo
	v_cmp_eq_u32_e32 vcc_lo, s19, v8
	s_delay_alu instid0(VALU_DEP_2) | instskip(SKIP_3) | instid1(VALU_DEP_3)
	v_cndmask_b32_e64 v5, v14, v5, s0
	v_cndmask_b32_e32 v8, v13, v11, vcc_lo
	v_add_co_u32 v11, vcc_lo, v3, 1
	v_add_co_ci_u32_e32 v13, vcc_lo, 0, v7, vcc_lo
	v_cmp_ne_u32_e32 vcc_lo, 0, v8
	s_delay_alu instid0(VALU_DEP_3) | instskip(NEXT) | instid1(VALU_DEP_3)
	v_cndmask_b32_e32 v8, v11, v9, vcc_lo
	v_cndmask_b32_e32 v6, v13, v10, vcc_lo
	v_cmp_ne_u32_e32 vcc_lo, 0, v5
	v_xor_b32_e32 v5, s16, v12
	s_delay_alu instid0(VALU_DEP_4) | instskip(NEXT) | instid1(VALU_DEP_4)
	v_cndmask_b32_e32 v3, v3, v8, vcc_lo
	v_cndmask_b32_e32 v6, v7, v6, vcc_lo
	v_xor_b32_e32 v8, s17, v12
	s_delay_alu instid0(VALU_DEP_3) | instskip(NEXT) | instid1(VALU_DEP_2)
	v_xor_b32_e32 v3, v3, v5
	v_xor_b32_e32 v6, v6, v8
	s_delay_alu instid0(VALU_DEP_2) | instskip(NEXT) | instid1(VALU_DEP_2)
	v_sub_co_u32 v7, vcc_lo, v3, v5
	v_sub_co_ci_u32_e32 v8, vcc_lo, v6, v8, vcc_lo
.LBB4_9:                                ;   in Loop: Header=BB4_3 Depth=1
	s_and_not1_saveexec_b32 s0, s14
	s_cbranch_execz .LBB4_11
; %bb.10:                               ;   in Loop: Header=BB4_3 Depth=1
	v_cvt_f32_u32_e32 v3, s28
	s_sub_i32 s14, 0, s28
	v_mov_b32_e32 v8, v2
	s_delay_alu instid0(VALU_DEP_2) | instskip(SKIP_2) | instid1(VALU_DEP_1)
	v_rcp_iflag_f32_e32 v3, v3
	s_waitcnt_depctr 0xfff
	v_mul_f32_e32 v3, 0x4f7ffffe, v3
	v_cvt_u32_f32_e32 v3, v3
	s_delay_alu instid0(VALU_DEP_1) | instskip(NEXT) | instid1(VALU_DEP_1)
	v_mul_lo_u32 v5, s14, v3
	v_mul_hi_u32 v5, v3, v5
	s_delay_alu instid0(VALU_DEP_1) | instskip(NEXT) | instid1(VALU_DEP_1)
	v_add_nc_u32_e32 v3, v3, v5
	v_mul_hi_u32 v3, v4, v3
	s_delay_alu instid0(VALU_DEP_1) | instskip(SKIP_1) | instid1(VALU_DEP_2)
	v_mul_lo_u32 v5, v3, s28
	v_add_nc_u32_e32 v6, 1, v3
	v_sub_nc_u32_e32 v5, v4, v5
	s_delay_alu instid0(VALU_DEP_1) | instskip(SKIP_1) | instid1(VALU_DEP_2)
	v_subrev_nc_u32_e32 v7, s28, v5
	v_cmp_le_u32_e32 vcc_lo, s28, v5
	v_cndmask_b32_e32 v5, v5, v7, vcc_lo
	v_cndmask_b32_e32 v3, v3, v6, vcc_lo
	s_delay_alu instid0(VALU_DEP_2) | instskip(NEXT) | instid1(VALU_DEP_2)
	v_cmp_le_u32_e32 vcc_lo, s28, v5
	v_add_nc_u32_e32 v6, 1, v3
	s_delay_alu instid0(VALU_DEP_1)
	v_cndmask_b32_e32 v7, v3, v6, vcc_lo
.LBB4_11:                               ;   in Loop: Header=BB4_3 Depth=1
	s_or_b32 exec_lo, exec_lo, s0
	v_mad_u64_u32 v[5:6], null, v4, s24, 0
	s_delay_alu instid0(VALU_DEP_2) | instskip(SKIP_1) | instid1(VALU_DEP_2)
	v_mad_u64_u32 v[9:10], null, v7, s28, 0
	s_mov_b32 s39, exec_lo
	v_sub_co_u32 v27, null, v0, v5
	s_delay_alu instid0(VALU_DEP_2) | instskip(NEXT) | instid1(VALU_DEP_1)
	v_sub_co_u32 v26, null, v4, v9
	v_sub_nc_u32_e32 v6, v27, v26
	s_delay_alu instid0(VALU_DEP_1) | instskip(NEXT) | instid1(VALU_DEP_1)
	v_add_nc_u32_e32 v3, 4, v6
	v_ashrrev_i32_e32 v4, 31, v3
	s_delay_alu instid0(VALU_DEP_1)
	v_cmpx_lt_i64_e64 s[4:5], v[3:4]
	s_cbranch_execz .LBB4_2
; %bb.12:                               ;   in Loop: Header=BB4_3 Depth=1
	s_clause 0x1
	s_load_b32 s40, s[8:9], 0x0
	s_load_b32 s0, s[10:11], 0x0
	s_and_not1_b32 vcc_lo, exec_lo, s37
	s_waitcnt lgkmcnt(0)
	v_mul_lo_u32 v3, s40, v27
	s_delay_alu instid0(VALU_DEP_1)
	v_mad_u64_u32 v[4:5], null, s0, v26, v[3:4]
	s_cbranch_vccnz .LBB4_58
; %bb.13:                               ;   in Loop: Header=BB4_3 Depth=1
	s_and_not1_b32 vcc_lo, exec_lo, s35
	s_cbranch_vccnz .LBB4_21
; %bb.14:                               ;   in Loop: Header=BB4_3 Depth=1
	v_dual_mov_b32 v10, v8 :: v_dual_mov_b32 v9, v7
	s_mov_b32 s22, s33
	s_mov_b32 s14, s31
.LBB4_15:                               ;   Parent Loop BB4_3 Depth=1
                                        ; =>  This Inner Loop Header: Depth=2
	s_delay_alu instid0(SALU_CYCLE_1) | instskip(NEXT) | instid1(SALU_CYCLE_1)
	s_lshl_b64 s[16:17], s[14:15], 2
                                        ; implicit-def: $vgpr7_vgpr8
	s_add_u32 s18, s26, s16
	s_addc_u32 s19, s27, s17
	s_load_b32 s23, s[18:19], 0x0
	s_mov_b32 s18, exec_lo
	s_waitcnt lgkmcnt(0)
	s_ashr_i32 s0, s23, 31
	s_delay_alu instid0(SALU_CYCLE_1) | instskip(NEXT) | instid1(VALU_DEP_1)
	v_or_b32_e32 v3, s0, v10
	v_cmpx_ne_u64_e32 0, v[2:3]
	s_xor_b32 s41, exec_lo, s18
	s_cbranch_execz .LBB4_17
; %bb.16:                               ;   in Loop: Header=BB4_15 Depth=2
	s_add_u32 s20, s23, s0
	s_mov_b32 s18, s0
	s_mov_b32 s19, s0
	s_addc_u32 s21, s0, s0
	s_delay_alu instid0(SALU_CYCLE_1) | instskip(NEXT) | instid1(SALU_CYCLE_1)
	s_xor_b64 s[20:21], s[20:21], s[18:19]
	v_cvt_f32_u32_e32 v3, s20
	v_cvt_f32_u32_e32 v5, s21
	s_sub_u32 s0, 0, s20
	s_subb_u32 s42, 0, s21
	s_delay_alu instid0(VALU_DEP_1) | instskip(NEXT) | instid1(VALU_DEP_1)
	v_fmac_f32_e32 v3, 0x4f800000, v5
	v_rcp_f32_e32 v3, v3
	s_waitcnt_depctr 0xfff
	v_mul_f32_e32 v3, 0x5f7ffffc, v3
	s_delay_alu instid0(VALU_DEP_1) | instskip(NEXT) | instid1(VALU_DEP_1)
	v_mul_f32_e32 v5, 0x2f800000, v3
	v_trunc_f32_e32 v5, v5
	s_delay_alu instid0(VALU_DEP_1) | instskip(SKIP_1) | instid1(VALU_DEP_2)
	v_fmac_f32_e32 v3, 0xcf800000, v5
	v_cvt_u32_f32_e32 v5, v5
	v_cvt_u32_f32_e32 v3, v3
	s_delay_alu instid0(VALU_DEP_2) | instskip(NEXT) | instid1(VALU_DEP_2)
	v_mul_lo_u32 v7, s0, v5
	v_mul_hi_u32 v8, s0, v3
	v_mul_lo_u32 v11, s42, v3
	s_delay_alu instid0(VALU_DEP_2) | instskip(SKIP_1) | instid1(VALU_DEP_2)
	v_add_nc_u32_e32 v7, v8, v7
	v_mul_lo_u32 v8, s0, v3
	v_add_nc_u32_e32 v7, v7, v11
	s_delay_alu instid0(VALU_DEP_2) | instskip(NEXT) | instid1(VALU_DEP_2)
	v_mul_hi_u32 v11, v3, v8
	v_mul_lo_u32 v12, v3, v7
	v_mul_hi_u32 v13, v3, v7
	v_mul_hi_u32 v14, v5, v8
	v_mul_lo_u32 v8, v5, v8
	v_mul_hi_u32 v15, v5, v7
	v_mul_lo_u32 v7, v5, v7
	v_add_co_u32 v11, vcc_lo, v11, v12
	v_add_co_ci_u32_e32 v12, vcc_lo, 0, v13, vcc_lo
	s_delay_alu instid0(VALU_DEP_2) | instskip(NEXT) | instid1(VALU_DEP_2)
	v_add_co_u32 v8, vcc_lo, v11, v8
	v_add_co_ci_u32_e32 v8, vcc_lo, v12, v14, vcc_lo
	v_add_co_ci_u32_e32 v11, vcc_lo, 0, v15, vcc_lo
	v_ashrrev_i32_e32 v14, 31, v10
	s_delay_alu instid0(VALU_DEP_3) | instskip(NEXT) | instid1(VALU_DEP_3)
	v_add_co_u32 v7, vcc_lo, v8, v7
	v_add_co_ci_u32_e32 v8, vcc_lo, 0, v11, vcc_lo
	s_delay_alu instid0(VALU_DEP_2) | instskip(NEXT) | instid1(VALU_DEP_2)
	v_add_co_u32 v3, vcc_lo, v3, v7
	v_add_co_ci_u32_e32 v5, vcc_lo, v5, v8, vcc_lo
	s_delay_alu instid0(VALU_DEP_2) | instskip(SKIP_1) | instid1(VALU_DEP_3)
	v_mul_hi_u32 v7, s0, v3
	v_mul_lo_u32 v11, s42, v3
	v_mul_lo_u32 v8, s0, v5
	s_delay_alu instid0(VALU_DEP_1) | instskip(SKIP_1) | instid1(VALU_DEP_2)
	v_add_nc_u32_e32 v7, v7, v8
	v_mul_lo_u32 v8, s0, v3
	v_add_nc_u32_e32 v7, v7, v11
	s_delay_alu instid0(VALU_DEP_2) | instskip(NEXT) | instid1(VALU_DEP_2)
	v_mul_hi_u32 v11, v3, v8
	v_mul_lo_u32 v12, v3, v7
	v_mul_hi_u32 v13, v3, v7
	v_mul_hi_u32 v15, v5, v8
	v_mul_lo_u32 v8, v5, v8
	v_mul_hi_u32 v16, v5, v7
	v_mul_lo_u32 v7, v5, v7
	v_add_co_u32 v11, vcc_lo, v11, v12
	v_add_co_ci_u32_e32 v12, vcc_lo, 0, v13, vcc_lo
	s_delay_alu instid0(VALU_DEP_2) | instskip(NEXT) | instid1(VALU_DEP_2)
	v_add_co_u32 v8, vcc_lo, v11, v8
	v_add_co_ci_u32_e32 v8, vcc_lo, v12, v15, vcc_lo
	v_add_co_ci_u32_e32 v11, vcc_lo, 0, v16, vcc_lo
	v_add_co_u32 v12, vcc_lo, v9, v14
	v_add_co_ci_u32_e32 v10, vcc_lo, v10, v14, vcc_lo
	s_delay_alu instid0(VALU_DEP_4) | instskip(NEXT) | instid1(VALU_DEP_4)
	v_add_co_u32 v7, vcc_lo, v8, v7
	v_add_co_ci_u32_e32 v8, vcc_lo, 0, v11, vcc_lo
	s_delay_alu instid0(VALU_DEP_4) | instskip(NEXT) | instid1(VALU_DEP_3)
	v_xor_b32_e32 v15, v12, v14
	v_add_co_u32 v3, vcc_lo, v3, v7
	s_delay_alu instid0(VALU_DEP_3) | instskip(SKIP_1) | instid1(VALU_DEP_3)
	v_add_co_ci_u32_e32 v5, vcc_lo, v5, v8, vcc_lo
	v_xor_b32_e32 v16, v10, v14
	v_mul_hi_u32 v17, v15, v3
	s_delay_alu instid0(VALU_DEP_3) | instskip(NEXT) | instid1(VALU_DEP_3)
	v_mad_u64_u32 v[7:8], null, v15, v5, 0
	v_mad_u64_u32 v[10:11], null, v16, v3, 0
	;; [unrolled: 1-line block ×3, first 2 shown]
	s_delay_alu instid0(VALU_DEP_3) | instskip(NEXT) | instid1(VALU_DEP_4)
	v_add_co_u32 v3, vcc_lo, v17, v7
	v_add_co_ci_u32_e32 v5, vcc_lo, 0, v8, vcc_lo
	s_delay_alu instid0(VALU_DEP_2) | instskip(NEXT) | instid1(VALU_DEP_2)
	v_add_co_u32 v3, vcc_lo, v3, v10
	v_add_co_ci_u32_e32 v3, vcc_lo, v5, v11, vcc_lo
	v_add_co_ci_u32_e32 v5, vcc_lo, 0, v13, vcc_lo
	s_delay_alu instid0(VALU_DEP_2) | instskip(NEXT) | instid1(VALU_DEP_2)
	v_add_co_u32 v3, vcc_lo, v3, v12
	v_add_co_ci_u32_e32 v5, vcc_lo, 0, v5, vcc_lo
	s_delay_alu instid0(VALU_DEP_2) | instskip(SKIP_1) | instid1(VALU_DEP_3)
	v_mul_lo_u32 v10, s21, v3
	v_mad_u64_u32 v[7:8], null, s20, v3, 0
	v_mul_lo_u32 v11, s20, v5
	s_delay_alu instid0(VALU_DEP_2) | instskip(NEXT) | instid1(VALU_DEP_2)
	v_sub_co_u32 v7, vcc_lo, v15, v7
	v_add3_u32 v8, v8, v11, v10
	s_delay_alu instid0(VALU_DEP_1) | instskip(NEXT) | instid1(VALU_DEP_1)
	v_sub_nc_u32_e32 v10, v16, v8
	v_subrev_co_ci_u32_e64 v10, s0, s21, v10, vcc_lo
	v_add_co_u32 v11, s0, v3, 2
	s_delay_alu instid0(VALU_DEP_1) | instskip(SKIP_3) | instid1(VALU_DEP_3)
	v_add_co_ci_u32_e64 v12, s0, 0, v5, s0
	v_sub_co_u32 v13, s0, v7, s20
	v_sub_co_ci_u32_e32 v8, vcc_lo, v16, v8, vcc_lo
	v_subrev_co_ci_u32_e64 v10, s0, 0, v10, s0
	v_cmp_le_u32_e32 vcc_lo, s20, v13
	s_delay_alu instid0(VALU_DEP_3) | instskip(SKIP_1) | instid1(VALU_DEP_4)
	v_cmp_eq_u32_e64 s0, s21, v8
	v_cndmask_b32_e64 v13, 0, -1, vcc_lo
	v_cmp_le_u32_e32 vcc_lo, s21, v10
	v_cndmask_b32_e64 v15, 0, -1, vcc_lo
	v_cmp_le_u32_e32 vcc_lo, s20, v7
	;; [unrolled: 2-line block ×3, first 2 shown]
	v_cndmask_b32_e64 v16, 0, -1, vcc_lo
	v_cmp_eq_u32_e32 vcc_lo, s21, v10
	s_delay_alu instid0(VALU_DEP_2) | instskip(SKIP_3) | instid1(VALU_DEP_3)
	v_cndmask_b32_e64 v7, v16, v7, s0
	v_cndmask_b32_e32 v10, v15, v13, vcc_lo
	v_add_co_u32 v13, vcc_lo, v3, 1
	v_add_co_ci_u32_e32 v15, vcc_lo, 0, v5, vcc_lo
	v_cmp_ne_u32_e32 vcc_lo, 0, v10
	s_delay_alu instid0(VALU_DEP_3) | instskip(NEXT) | instid1(VALU_DEP_3)
	v_cndmask_b32_e32 v10, v13, v11, vcc_lo
	v_cndmask_b32_e32 v8, v15, v12, vcc_lo
	v_cmp_ne_u32_e32 vcc_lo, 0, v7
	v_xor_b32_e32 v7, s18, v14
	s_delay_alu instid0(VALU_DEP_4) | instskip(NEXT) | instid1(VALU_DEP_4)
	v_cndmask_b32_e32 v3, v3, v10, vcc_lo
	v_cndmask_b32_e32 v5, v5, v8, vcc_lo
	v_xor_b32_e32 v8, s19, v14
	s_delay_alu instid0(VALU_DEP_3) | instskip(NEXT) | instid1(VALU_DEP_2)
	v_xor_b32_e32 v3, v3, v7
	v_xor_b32_e32 v5, v5, v8
	s_delay_alu instid0(VALU_DEP_2) | instskip(NEXT) | instid1(VALU_DEP_2)
	v_sub_co_u32 v7, vcc_lo, v3, v7
	v_sub_co_ci_u32_e32 v8, vcc_lo, v5, v8, vcc_lo
.LBB4_17:                               ;   in Loop: Header=BB4_15 Depth=2
	s_and_not1_saveexec_b32 s0, s41
	s_cbranch_execz .LBB4_19
; %bb.18:                               ;   in Loop: Header=BB4_15 Depth=2
	v_cvt_f32_u32_e32 v3, s23
	s_sub_i32 s18, 0, s23
	s_delay_alu instid0(VALU_DEP_1) | instskip(SKIP_2) | instid1(VALU_DEP_1)
	v_rcp_iflag_f32_e32 v3, v3
	s_waitcnt_depctr 0xfff
	v_mul_f32_e32 v3, 0x4f7ffffe, v3
	v_cvt_u32_f32_e32 v3, v3
	s_delay_alu instid0(VALU_DEP_1) | instskip(NEXT) | instid1(VALU_DEP_1)
	v_mul_lo_u32 v5, s18, v3
	v_mul_hi_u32 v5, v3, v5
	s_delay_alu instid0(VALU_DEP_1) | instskip(NEXT) | instid1(VALU_DEP_1)
	v_add_nc_u32_e32 v3, v3, v5
	v_mul_hi_u32 v3, v9, v3
	s_delay_alu instid0(VALU_DEP_1) | instskip(SKIP_1) | instid1(VALU_DEP_2)
	v_mul_lo_u32 v5, v3, s23
	v_add_nc_u32_e32 v7, 1, v3
	v_sub_nc_u32_e32 v5, v9, v5
	s_delay_alu instid0(VALU_DEP_1) | instskip(SKIP_1) | instid1(VALU_DEP_2)
	v_subrev_nc_u32_e32 v8, s23, v5
	v_cmp_le_u32_e32 vcc_lo, s23, v5
	v_dual_cndmask_b32 v5, v5, v8 :: v_dual_mov_b32 v8, v2
	v_cndmask_b32_e32 v3, v3, v7, vcc_lo
	s_delay_alu instid0(VALU_DEP_2) | instskip(NEXT) | instid1(VALU_DEP_2)
	v_cmp_le_u32_e32 vcc_lo, s23, v5
	v_add_nc_u32_e32 v7, 1, v3
	s_delay_alu instid0(VALU_DEP_1)
	v_cndmask_b32_e32 v7, v3, v7, vcc_lo
.LBB4_19:                               ;   in Loop: Header=BB4_15 Depth=2
	s_or_b32 exec_lo, exec_lo, s0
	s_add_u32 s16, s30, s16
	s_addc_u32 s17, s1, s17
	s_delay_alu instid0(VALU_DEP_1) | instskip(SKIP_4) | instid1(VALU_DEP_1)
	v_mul_lo_u32 v3, v7, s23
	s_load_b32 s0, s[16:17], 0x0
	s_add_i32 s22, s22, -1
	s_add_i32 s14, s14, -1
	s_cmp_lg_u32 s22, 0
	v_sub_nc_u32_e32 v3, v9, v3
	s_waitcnt lgkmcnt(0)
	s_delay_alu instid0(VALU_DEP_1) | instskip(NEXT) | instid1(VALU_DEP_1)
	v_mad_u64_u32 v[9:10], null, s0, v3, v[4:5]
	v_mov_b32_e32 v4, v9
	s_cbranch_scc0 .LBB4_22
; %bb.20:                               ;   in Loop: Header=BB4_15 Depth=2
	v_dual_mov_b32 v10, v8 :: v_dual_mov_b32 v9, v7
	s_branch .LBB4_15
.LBB4_21:                               ;   in Loop: Header=BB4_3 Depth=1
	s_mov_b32 s14, s31
.LBB4_22:                               ;   in Loop: Header=BB4_3 Depth=1
	s_and_not1_b32 vcc_lo, exec_lo, s36
	s_cbranch_vccnz .LBB4_58
; %bb.23:                               ;   in Loop: Header=BB4_3 Depth=1
	s_add_i32 s16, s14, -7
.LBB4_24:                               ;   Parent Loop BB4_3 Depth=1
                                        ; =>  This Inner Loop Header: Depth=2
	s_delay_alu instid0(SALU_CYCLE_1) | instskip(NEXT) | instid1(SALU_CYCLE_1)
	s_add_i32 s14, s16, 7
                                        ; implicit-def: $vgpr9_vgpr10
	s_lshl_b64 s[18:19], s[14:15], 2
	s_mov_b32 s14, exec_lo
	s_add_u32 s20, s26, s18
	s_addc_u32 s21, s27, s19
	s_load_b32 s41, s[20:21], 0x0
	s_waitcnt lgkmcnt(0)
	s_ashr_i32 s0, s41, 31
	s_delay_alu instid0(SALU_CYCLE_1) | instskip(NEXT) | instid1(VALU_DEP_1)
	v_or_b32_e32 v3, s0, v8
	v_cmpx_ne_u64_e32 0, v[2:3]
	s_xor_b32 s14, exec_lo, s14
	s_cbranch_execz .LBB4_26
; %bb.25:                               ;   in Loop: Header=BB4_24 Depth=2
	s_add_u32 s22, s41, s0
	s_mov_b32 s20, s0
	s_mov_b32 s21, s0
	s_addc_u32 s23, s0, s0
	s_delay_alu instid0(SALU_CYCLE_1) | instskip(NEXT) | instid1(SALU_CYCLE_1)
	s_xor_b64 s[22:23], s[22:23], s[20:21]
	v_cvt_f32_u32_e32 v3, s22
	v_cvt_f32_u32_e32 v5, s23
	s_sub_u32 s0, 0, s22
	s_subb_u32 s17, 0, s23
	s_delay_alu instid0(VALU_DEP_1) | instskip(NEXT) | instid1(VALU_DEP_1)
	v_fmac_f32_e32 v3, 0x4f800000, v5
	v_rcp_f32_e32 v3, v3
	s_waitcnt_depctr 0xfff
	v_mul_f32_e32 v3, 0x5f7ffffc, v3
	s_delay_alu instid0(VALU_DEP_1) | instskip(NEXT) | instid1(VALU_DEP_1)
	v_mul_f32_e32 v5, 0x2f800000, v3
	v_trunc_f32_e32 v5, v5
	s_delay_alu instid0(VALU_DEP_1) | instskip(SKIP_1) | instid1(VALU_DEP_2)
	v_fmac_f32_e32 v3, 0xcf800000, v5
	v_cvt_u32_f32_e32 v5, v5
	v_cvt_u32_f32_e32 v3, v3
	s_delay_alu instid0(VALU_DEP_2) | instskip(NEXT) | instid1(VALU_DEP_2)
	v_mul_lo_u32 v9, s0, v5
	v_mul_hi_u32 v10, s0, v3
	v_mul_lo_u32 v11, s17, v3
	s_delay_alu instid0(VALU_DEP_2) | instskip(SKIP_1) | instid1(VALU_DEP_2)
	v_add_nc_u32_e32 v9, v10, v9
	v_mul_lo_u32 v10, s0, v3
	v_add_nc_u32_e32 v9, v9, v11
	s_delay_alu instid0(VALU_DEP_2) | instskip(NEXT) | instid1(VALU_DEP_2)
	v_mul_hi_u32 v11, v3, v10
	v_mul_lo_u32 v12, v3, v9
	v_mul_hi_u32 v13, v3, v9
	v_mul_hi_u32 v14, v5, v10
	v_mul_lo_u32 v10, v5, v10
	v_mul_hi_u32 v15, v5, v9
	v_mul_lo_u32 v9, v5, v9
	v_add_co_u32 v11, vcc_lo, v11, v12
	v_add_co_ci_u32_e32 v12, vcc_lo, 0, v13, vcc_lo
	s_delay_alu instid0(VALU_DEP_2) | instskip(NEXT) | instid1(VALU_DEP_2)
	v_add_co_u32 v10, vcc_lo, v11, v10
	v_add_co_ci_u32_e32 v10, vcc_lo, v12, v14, vcc_lo
	v_add_co_ci_u32_e32 v11, vcc_lo, 0, v15, vcc_lo
	v_ashrrev_i32_e32 v14, 31, v8
	s_delay_alu instid0(VALU_DEP_3) | instskip(NEXT) | instid1(VALU_DEP_3)
	v_add_co_u32 v9, vcc_lo, v10, v9
	v_add_co_ci_u32_e32 v10, vcc_lo, 0, v11, vcc_lo
	s_delay_alu instid0(VALU_DEP_2) | instskip(NEXT) | instid1(VALU_DEP_2)
	v_add_co_u32 v3, vcc_lo, v3, v9
	v_add_co_ci_u32_e32 v5, vcc_lo, v5, v10, vcc_lo
	s_delay_alu instid0(VALU_DEP_2) | instskip(SKIP_1) | instid1(VALU_DEP_3)
	v_mul_hi_u32 v9, s0, v3
	v_mul_lo_u32 v11, s17, v3
	v_mul_lo_u32 v10, s0, v5
	s_delay_alu instid0(VALU_DEP_1) | instskip(SKIP_1) | instid1(VALU_DEP_2)
	v_add_nc_u32_e32 v9, v9, v10
	v_mul_lo_u32 v10, s0, v3
	v_add_nc_u32_e32 v9, v9, v11
	s_delay_alu instid0(VALU_DEP_2) | instskip(NEXT) | instid1(VALU_DEP_2)
	v_mul_hi_u32 v11, v3, v10
	v_mul_lo_u32 v12, v3, v9
	v_mul_hi_u32 v13, v3, v9
	v_mul_hi_u32 v15, v5, v10
	v_mul_lo_u32 v10, v5, v10
	v_mul_hi_u32 v16, v5, v9
	v_mul_lo_u32 v9, v5, v9
	v_add_co_u32 v11, vcc_lo, v11, v12
	v_add_co_ci_u32_e32 v12, vcc_lo, 0, v13, vcc_lo
	s_delay_alu instid0(VALU_DEP_2) | instskip(NEXT) | instid1(VALU_DEP_2)
	v_add_co_u32 v10, vcc_lo, v11, v10
	v_add_co_ci_u32_e32 v10, vcc_lo, v12, v15, vcc_lo
	v_add_co_ci_u32_e32 v11, vcc_lo, 0, v16, vcc_lo
	v_add_co_u32 v12, vcc_lo, v7, v14
	v_add_co_ci_u32_e32 v8, vcc_lo, v8, v14, vcc_lo
	s_delay_alu instid0(VALU_DEP_4) | instskip(NEXT) | instid1(VALU_DEP_4)
	v_add_co_u32 v9, vcc_lo, v10, v9
	v_add_co_ci_u32_e32 v10, vcc_lo, 0, v11, vcc_lo
	s_delay_alu instid0(VALU_DEP_4) | instskip(NEXT) | instid1(VALU_DEP_3)
	v_xor_b32_e32 v15, v12, v14
	v_add_co_u32 v3, vcc_lo, v3, v9
	s_delay_alu instid0(VALU_DEP_3) | instskip(SKIP_1) | instid1(VALU_DEP_3)
	v_add_co_ci_u32_e32 v5, vcc_lo, v5, v10, vcc_lo
	v_xor_b32_e32 v16, v8, v14
	v_mul_hi_u32 v17, v15, v3
	s_delay_alu instid0(VALU_DEP_3) | instskip(NEXT) | instid1(VALU_DEP_3)
	v_mad_u64_u32 v[8:9], null, v15, v5, 0
	v_mad_u64_u32 v[10:11], null, v16, v3, 0
	;; [unrolled: 1-line block ×3, first 2 shown]
	s_delay_alu instid0(VALU_DEP_3) | instskip(NEXT) | instid1(VALU_DEP_4)
	v_add_co_u32 v3, vcc_lo, v17, v8
	v_add_co_ci_u32_e32 v5, vcc_lo, 0, v9, vcc_lo
	s_delay_alu instid0(VALU_DEP_2) | instskip(NEXT) | instid1(VALU_DEP_2)
	v_add_co_u32 v3, vcc_lo, v3, v10
	v_add_co_ci_u32_e32 v3, vcc_lo, v5, v11, vcc_lo
	v_add_co_ci_u32_e32 v5, vcc_lo, 0, v13, vcc_lo
	s_delay_alu instid0(VALU_DEP_2) | instskip(NEXT) | instid1(VALU_DEP_2)
	v_add_co_u32 v3, vcc_lo, v3, v12
	v_add_co_ci_u32_e32 v5, vcc_lo, 0, v5, vcc_lo
	s_delay_alu instid0(VALU_DEP_2) | instskip(SKIP_1) | instid1(VALU_DEP_3)
	v_mul_lo_u32 v10, s23, v3
	v_mad_u64_u32 v[8:9], null, s22, v3, 0
	v_mul_lo_u32 v11, s22, v5
	s_delay_alu instid0(VALU_DEP_2) | instskip(NEXT) | instid1(VALU_DEP_2)
	v_sub_co_u32 v8, vcc_lo, v15, v8
	v_add3_u32 v9, v9, v11, v10
	s_delay_alu instid0(VALU_DEP_1) | instskip(NEXT) | instid1(VALU_DEP_1)
	v_sub_nc_u32_e32 v10, v16, v9
	v_subrev_co_ci_u32_e64 v10, s0, s23, v10, vcc_lo
	v_add_co_u32 v11, s0, v3, 2
	s_delay_alu instid0(VALU_DEP_1) | instskip(SKIP_3) | instid1(VALU_DEP_3)
	v_add_co_ci_u32_e64 v12, s0, 0, v5, s0
	v_sub_co_u32 v13, s0, v8, s22
	v_sub_co_ci_u32_e32 v9, vcc_lo, v16, v9, vcc_lo
	v_subrev_co_ci_u32_e64 v10, s0, 0, v10, s0
	v_cmp_le_u32_e32 vcc_lo, s22, v13
	s_delay_alu instid0(VALU_DEP_3) | instskip(SKIP_1) | instid1(VALU_DEP_4)
	v_cmp_eq_u32_e64 s0, s23, v9
	v_cndmask_b32_e64 v13, 0, -1, vcc_lo
	v_cmp_le_u32_e32 vcc_lo, s23, v10
	v_cndmask_b32_e64 v15, 0, -1, vcc_lo
	v_cmp_le_u32_e32 vcc_lo, s22, v8
	;; [unrolled: 2-line block ×3, first 2 shown]
	v_cndmask_b32_e64 v16, 0, -1, vcc_lo
	v_cmp_eq_u32_e32 vcc_lo, s23, v10
	s_delay_alu instid0(VALU_DEP_2) | instskip(SKIP_3) | instid1(VALU_DEP_3)
	v_cndmask_b32_e64 v8, v16, v8, s0
	v_cndmask_b32_e32 v10, v15, v13, vcc_lo
	v_add_co_u32 v13, vcc_lo, v3, 1
	v_add_co_ci_u32_e32 v15, vcc_lo, 0, v5, vcc_lo
	v_cmp_ne_u32_e32 vcc_lo, 0, v10
	s_delay_alu instid0(VALU_DEP_2) | instskip(SKIP_2) | instid1(VALU_DEP_3)
	v_dual_cndmask_b32 v9, v15, v12 :: v_dual_cndmask_b32 v10, v13, v11
	v_cmp_ne_u32_e32 vcc_lo, 0, v8
	v_xor_b32_e32 v8, s20, v14
	v_cndmask_b32_e32 v3, v3, v10, vcc_lo
	s_delay_alu instid0(VALU_DEP_4) | instskip(SKIP_1) | instid1(VALU_DEP_3)
	v_cndmask_b32_e32 v5, v5, v9, vcc_lo
	v_xor_b32_e32 v10, s21, v14
	v_xor_b32_e32 v3, v3, v8
	s_delay_alu instid0(VALU_DEP_2) | instskip(NEXT) | instid1(VALU_DEP_2)
	v_xor_b32_e32 v5, v5, v10
	v_sub_co_u32 v9, vcc_lo, v3, v8
	s_delay_alu instid0(VALU_DEP_2)
	v_sub_co_ci_u32_e32 v10, vcc_lo, v5, v10, vcc_lo
.LBB4_26:                               ;   in Loop: Header=BB4_24 Depth=2
	s_and_not1_saveexec_b32 s0, s14
	s_cbranch_execz .LBB4_28
; %bb.27:                               ;   in Loop: Header=BB4_24 Depth=2
	v_cvt_f32_u32_e32 v3, s41
	s_sub_i32 s14, 0, s41
	v_mov_b32_e32 v10, v2
	s_delay_alu instid0(VALU_DEP_2) | instskip(SKIP_2) | instid1(VALU_DEP_1)
	v_rcp_iflag_f32_e32 v3, v3
	s_waitcnt_depctr 0xfff
	v_mul_f32_e32 v3, 0x4f7ffffe, v3
	v_cvt_u32_f32_e32 v3, v3
	s_delay_alu instid0(VALU_DEP_1) | instskip(NEXT) | instid1(VALU_DEP_1)
	v_mul_lo_u32 v5, s14, v3
	v_mul_hi_u32 v5, v3, v5
	s_delay_alu instid0(VALU_DEP_1) | instskip(NEXT) | instid1(VALU_DEP_1)
	v_add_nc_u32_e32 v3, v3, v5
	v_mul_hi_u32 v3, v7, v3
	s_delay_alu instid0(VALU_DEP_1) | instskip(NEXT) | instid1(VALU_DEP_1)
	v_mul_lo_u32 v5, v3, s41
	v_sub_nc_u32_e32 v5, v7, v5
	s_delay_alu instid0(VALU_DEP_1) | instskip(SKIP_1) | instid1(VALU_DEP_2)
	v_subrev_nc_u32_e32 v9, s41, v5
	v_cmp_le_u32_e32 vcc_lo, s41, v5
	v_dual_cndmask_b32 v5, v5, v9 :: v_dual_add_nc_u32 v8, 1, v3
	s_delay_alu instid0(VALU_DEP_1) | instskip(NEXT) | instid1(VALU_DEP_2)
	v_cndmask_b32_e32 v3, v3, v8, vcc_lo
	v_cmp_le_u32_e32 vcc_lo, s41, v5
	s_delay_alu instid0(VALU_DEP_2) | instskip(NEXT) | instid1(VALU_DEP_1)
	v_add_nc_u32_e32 v8, 1, v3
	v_cndmask_b32_e32 v9, v3, v8, vcc_lo
.LBB4_28:                               ;   in Loop: Header=BB4_24 Depth=2
	s_or_b32 exec_lo, exec_lo, s0
	s_add_u32 s20, s30, s18
	s_addc_u32 s21, s1, s19
	s_add_i32 s14, s16, 6
                                        ; implicit-def: $vgpr11_vgpr12
	s_delay_alu instid0(SALU_CYCLE_1)
	s_lshl_b64 s[18:19], s[14:15], 2
	s_mov_b32 s14, exec_lo
	s_add_u32 s22, s26, s18
	s_addc_u32 s23, s27, s19
	s_clause 0x1
	s_load_b32 s43, s[22:23], 0x0
	s_load_b32 s42, s[20:21], 0x0
	s_waitcnt lgkmcnt(0)
	s_ashr_i32 s0, s43, 31
	s_delay_alu instid0(SALU_CYCLE_1) | instskip(NEXT) | instid1(VALU_DEP_1)
	v_or_b32_e32 v3, s0, v10
	v_cmpx_ne_u64_e32 0, v[2:3]
	s_xor_b32 s14, exec_lo, s14
	s_cbranch_execz .LBB4_30
; %bb.29:                               ;   in Loop: Header=BB4_24 Depth=2
	s_add_u32 s22, s43, s0
	s_mov_b32 s20, s0
	s_mov_b32 s21, s0
	s_addc_u32 s23, s0, s0
	s_delay_alu instid0(SALU_CYCLE_1) | instskip(NEXT) | instid1(SALU_CYCLE_1)
	s_xor_b64 s[22:23], s[22:23], s[20:21]
	v_cvt_f32_u32_e32 v3, s22
	v_cvt_f32_u32_e32 v5, s23
	s_sub_u32 s0, 0, s22
	s_subb_u32 s17, 0, s23
	s_delay_alu instid0(VALU_DEP_1) | instskip(NEXT) | instid1(VALU_DEP_1)
	v_fmac_f32_e32 v3, 0x4f800000, v5
	v_rcp_f32_e32 v3, v3
	s_waitcnt_depctr 0xfff
	v_mul_f32_e32 v3, 0x5f7ffffc, v3
	s_delay_alu instid0(VALU_DEP_1) | instskip(NEXT) | instid1(VALU_DEP_1)
	v_mul_f32_e32 v5, 0x2f800000, v3
	v_trunc_f32_e32 v5, v5
	s_delay_alu instid0(VALU_DEP_1) | instskip(SKIP_1) | instid1(VALU_DEP_2)
	v_fmac_f32_e32 v3, 0xcf800000, v5
	v_cvt_u32_f32_e32 v5, v5
	v_cvt_u32_f32_e32 v3, v3
	s_delay_alu instid0(VALU_DEP_2) | instskip(NEXT) | instid1(VALU_DEP_2)
	v_mul_lo_u32 v8, s0, v5
	v_mul_hi_u32 v11, s0, v3
	v_mul_lo_u32 v12, s17, v3
	s_delay_alu instid0(VALU_DEP_2) | instskip(SKIP_1) | instid1(VALU_DEP_2)
	v_add_nc_u32_e32 v8, v11, v8
	v_mul_lo_u32 v11, s0, v3
	v_add_nc_u32_e32 v8, v8, v12
	s_delay_alu instid0(VALU_DEP_2) | instskip(NEXT) | instid1(VALU_DEP_2)
	v_mul_hi_u32 v12, v3, v11
	v_mul_lo_u32 v13, v3, v8
	v_mul_hi_u32 v14, v3, v8
	v_mul_hi_u32 v15, v5, v11
	v_mul_lo_u32 v11, v5, v11
	v_mul_hi_u32 v16, v5, v8
	v_mul_lo_u32 v8, v5, v8
	v_add_co_u32 v12, vcc_lo, v12, v13
	v_add_co_ci_u32_e32 v13, vcc_lo, 0, v14, vcc_lo
	s_delay_alu instid0(VALU_DEP_2) | instskip(NEXT) | instid1(VALU_DEP_2)
	v_add_co_u32 v11, vcc_lo, v12, v11
	v_add_co_ci_u32_e32 v11, vcc_lo, v13, v15, vcc_lo
	v_add_co_ci_u32_e32 v12, vcc_lo, 0, v16, vcc_lo
	v_ashrrev_i32_e32 v16, 31, v10
	s_delay_alu instid0(VALU_DEP_3) | instskip(NEXT) | instid1(VALU_DEP_3)
	v_add_co_u32 v8, vcc_lo, v11, v8
	v_add_co_ci_u32_e32 v11, vcc_lo, 0, v12, vcc_lo
	s_delay_alu instid0(VALU_DEP_2) | instskip(NEXT) | instid1(VALU_DEP_2)
	v_add_co_u32 v3, vcc_lo, v3, v8
	v_add_co_ci_u32_e32 v5, vcc_lo, v5, v11, vcc_lo
	s_delay_alu instid0(VALU_DEP_2) | instskip(SKIP_1) | instid1(VALU_DEP_3)
	v_mul_hi_u32 v8, s0, v3
	v_mul_lo_u32 v12, s17, v3
	v_mul_lo_u32 v11, s0, v5
	s_delay_alu instid0(VALU_DEP_1) | instskip(SKIP_1) | instid1(VALU_DEP_2)
	v_add_nc_u32_e32 v8, v8, v11
	v_mul_lo_u32 v11, s0, v3
	v_add_nc_u32_e32 v8, v8, v12
	s_delay_alu instid0(VALU_DEP_2) | instskip(NEXT) | instid1(VALU_DEP_2)
	v_mul_hi_u32 v12, v3, v11
	v_mul_lo_u32 v13, v3, v8
	v_mul_hi_u32 v14, v3, v8
	v_mul_hi_u32 v15, v5, v11
	v_mul_lo_u32 v11, v5, v11
	v_mul_hi_u32 v17, v5, v8
	v_mul_lo_u32 v8, v5, v8
	v_add_co_u32 v12, vcc_lo, v12, v13
	v_add_co_ci_u32_e32 v13, vcc_lo, 0, v14, vcc_lo
	s_delay_alu instid0(VALU_DEP_2) | instskip(NEXT) | instid1(VALU_DEP_2)
	v_add_co_u32 v11, vcc_lo, v12, v11
	v_add_co_ci_u32_e32 v11, vcc_lo, v13, v15, vcc_lo
	v_add_co_ci_u32_e32 v12, vcc_lo, 0, v17, vcc_lo
	v_add_co_u32 v13, vcc_lo, v9, v16
	v_add_co_ci_u32_e32 v10, vcc_lo, v10, v16, vcc_lo
	s_delay_alu instid0(VALU_DEP_4) | instskip(NEXT) | instid1(VALU_DEP_4)
	v_add_co_u32 v8, vcc_lo, v11, v8
	v_add_co_ci_u32_e32 v11, vcc_lo, 0, v12, vcc_lo
	s_delay_alu instid0(VALU_DEP_4) | instskip(NEXT) | instid1(VALU_DEP_3)
	v_xor_b32_e32 v17, v13, v16
	v_add_co_u32 v3, vcc_lo, v3, v8
	s_delay_alu instid0(VALU_DEP_3) | instskip(SKIP_1) | instid1(VALU_DEP_3)
	v_add_co_ci_u32_e32 v5, vcc_lo, v5, v11, vcc_lo
	v_xor_b32_e32 v8, v10, v16
	v_mul_hi_u32 v18, v17, v3
	s_delay_alu instid0(VALU_DEP_3) | instskip(NEXT) | instid1(VALU_DEP_3)
	v_mad_u64_u32 v[10:11], null, v17, v5, 0
	v_mad_u64_u32 v[12:13], null, v8, v3, 0
	;; [unrolled: 1-line block ×3, first 2 shown]
	s_delay_alu instid0(VALU_DEP_3) | instskip(NEXT) | instid1(VALU_DEP_4)
	v_add_co_u32 v3, vcc_lo, v18, v10
	v_add_co_ci_u32_e32 v5, vcc_lo, 0, v11, vcc_lo
	s_delay_alu instid0(VALU_DEP_2) | instskip(NEXT) | instid1(VALU_DEP_2)
	v_add_co_u32 v3, vcc_lo, v3, v12
	v_add_co_ci_u32_e32 v3, vcc_lo, v5, v13, vcc_lo
	v_add_co_ci_u32_e32 v5, vcc_lo, 0, v15, vcc_lo
	s_delay_alu instid0(VALU_DEP_2) | instskip(NEXT) | instid1(VALU_DEP_2)
	v_add_co_u32 v3, vcc_lo, v3, v14
	v_add_co_ci_u32_e32 v5, vcc_lo, 0, v5, vcc_lo
	s_delay_alu instid0(VALU_DEP_2) | instskip(SKIP_1) | instid1(VALU_DEP_3)
	v_mul_lo_u32 v12, s23, v3
	v_mad_u64_u32 v[10:11], null, s22, v3, 0
	v_mul_lo_u32 v13, s22, v5
	s_delay_alu instid0(VALU_DEP_2) | instskip(NEXT) | instid1(VALU_DEP_2)
	v_sub_co_u32 v10, vcc_lo, v17, v10
	v_add3_u32 v11, v11, v13, v12
	s_delay_alu instid0(VALU_DEP_1) | instskip(NEXT) | instid1(VALU_DEP_1)
	v_sub_nc_u32_e32 v12, v8, v11
	v_subrev_co_ci_u32_e64 v12, s0, s23, v12, vcc_lo
	v_add_co_u32 v13, s0, v3, 2
	s_delay_alu instid0(VALU_DEP_1) | instskip(SKIP_3) | instid1(VALU_DEP_3)
	v_add_co_ci_u32_e64 v14, s0, 0, v5, s0
	v_sub_co_u32 v15, s0, v10, s22
	v_sub_co_ci_u32_e32 v8, vcc_lo, v8, v11, vcc_lo
	v_subrev_co_ci_u32_e64 v12, s0, 0, v12, s0
	v_cmp_le_u32_e32 vcc_lo, s22, v15
	s_delay_alu instid0(VALU_DEP_3) | instskip(SKIP_1) | instid1(VALU_DEP_4)
	v_cmp_eq_u32_e64 s0, s23, v8
	v_cndmask_b32_e64 v11, 0, -1, vcc_lo
	v_cmp_le_u32_e32 vcc_lo, s23, v12
	v_cndmask_b32_e64 v15, 0, -1, vcc_lo
	v_cmp_le_u32_e32 vcc_lo, s22, v10
	;; [unrolled: 2-line block ×3, first 2 shown]
	v_cndmask_b32_e64 v17, 0, -1, vcc_lo
	v_cmp_eq_u32_e32 vcc_lo, s23, v12
	s_delay_alu instid0(VALU_DEP_2) | instskip(SKIP_3) | instid1(VALU_DEP_3)
	v_cndmask_b32_e64 v8, v17, v10, s0
	v_cndmask_b32_e32 v11, v15, v11, vcc_lo
	v_add_co_u32 v12, vcc_lo, v3, 1
	v_add_co_ci_u32_e32 v15, vcc_lo, 0, v5, vcc_lo
	v_cmp_ne_u32_e32 vcc_lo, 0, v11
	s_delay_alu instid0(VALU_DEP_2) | instskip(SKIP_2) | instid1(VALU_DEP_3)
	v_dual_cndmask_b32 v10, v15, v14 :: v_dual_cndmask_b32 v11, v12, v13
	v_cmp_ne_u32_e32 vcc_lo, 0, v8
	v_xor_b32_e32 v8, s20, v16
	v_cndmask_b32_e32 v3, v3, v11, vcc_lo
	s_delay_alu instid0(VALU_DEP_4) | instskip(SKIP_1) | instid1(VALU_DEP_3)
	v_cndmask_b32_e32 v5, v5, v10, vcc_lo
	v_xor_b32_e32 v10, s21, v16
	v_xor_b32_e32 v3, v3, v8
	s_delay_alu instid0(VALU_DEP_2) | instskip(NEXT) | instid1(VALU_DEP_2)
	v_xor_b32_e32 v5, v5, v10
	v_sub_co_u32 v11, vcc_lo, v3, v8
	s_delay_alu instid0(VALU_DEP_2)
	v_sub_co_ci_u32_e32 v12, vcc_lo, v5, v10, vcc_lo
.LBB4_30:                               ;   in Loop: Header=BB4_24 Depth=2
	s_and_not1_saveexec_b32 s0, s14
	s_cbranch_execz .LBB4_32
; %bb.31:                               ;   in Loop: Header=BB4_24 Depth=2
	v_cvt_f32_u32_e32 v3, s43
	s_sub_i32 s14, 0, s43
	v_mov_b32_e32 v12, v2
	s_delay_alu instid0(VALU_DEP_2) | instskip(SKIP_2) | instid1(VALU_DEP_1)
	v_rcp_iflag_f32_e32 v3, v3
	s_waitcnt_depctr 0xfff
	v_mul_f32_e32 v3, 0x4f7ffffe, v3
	v_cvt_u32_f32_e32 v3, v3
	s_delay_alu instid0(VALU_DEP_1) | instskip(NEXT) | instid1(VALU_DEP_1)
	v_mul_lo_u32 v5, s14, v3
	v_mul_hi_u32 v5, v3, v5
	s_delay_alu instid0(VALU_DEP_1) | instskip(NEXT) | instid1(VALU_DEP_1)
	v_add_nc_u32_e32 v3, v3, v5
	v_mul_hi_u32 v3, v9, v3
	s_delay_alu instid0(VALU_DEP_1) | instskip(NEXT) | instid1(VALU_DEP_1)
	v_mul_lo_u32 v5, v3, s43
	v_sub_nc_u32_e32 v5, v9, v5
	s_delay_alu instid0(VALU_DEP_1) | instskip(SKIP_1) | instid1(VALU_DEP_2)
	v_subrev_nc_u32_e32 v10, s43, v5
	v_cmp_le_u32_e32 vcc_lo, s43, v5
	v_dual_cndmask_b32 v5, v5, v10 :: v_dual_add_nc_u32 v8, 1, v3
	s_delay_alu instid0(VALU_DEP_1) | instskip(NEXT) | instid1(VALU_DEP_2)
	v_cndmask_b32_e32 v3, v3, v8, vcc_lo
	v_cmp_le_u32_e32 vcc_lo, s43, v5
	s_delay_alu instid0(VALU_DEP_2) | instskip(NEXT) | instid1(VALU_DEP_1)
	v_add_nc_u32_e32 v8, 1, v3
	v_cndmask_b32_e32 v11, v3, v8, vcc_lo
.LBB4_32:                               ;   in Loop: Header=BB4_24 Depth=2
	s_or_b32 exec_lo, exec_lo, s0
	s_add_u32 s20, s30, s18
	s_addc_u32 s21, s1, s19
	s_add_i32 s14, s16, 5
                                        ; implicit-def: $vgpr13_vgpr14
	s_delay_alu instid0(SALU_CYCLE_1)
	s_lshl_b64 s[18:19], s[14:15], 2
	s_mov_b32 s14, exec_lo
	s_add_u32 s22, s26, s18
	s_addc_u32 s23, s27, s19
	s_clause 0x1
	s_load_b32 s45, s[22:23], 0x0
	s_load_b32 s44, s[20:21], 0x0
	s_waitcnt lgkmcnt(0)
	s_ashr_i32 s0, s45, 31
	s_delay_alu instid0(SALU_CYCLE_1) | instskip(NEXT) | instid1(VALU_DEP_1)
	v_or_b32_e32 v3, s0, v12
	v_cmpx_ne_u64_e32 0, v[2:3]
	s_xor_b32 s14, exec_lo, s14
	s_cbranch_execz .LBB4_34
; %bb.33:                               ;   in Loop: Header=BB4_24 Depth=2
	s_add_u32 s22, s45, s0
	s_mov_b32 s20, s0
	s_mov_b32 s21, s0
	s_addc_u32 s23, s0, s0
	v_ashrrev_i32_e32 v18, 31, v12
	s_xor_b64 s[22:23], s[22:23], s[20:21]
	s_delay_alu instid0(SALU_CYCLE_1) | instskip(SKIP_3) | instid1(VALU_DEP_1)
	v_cvt_f32_u32_e32 v3, s22
	v_cvt_f32_u32_e32 v5, s23
	s_sub_u32 s0, 0, s22
	s_subb_u32 s17, 0, s23
	v_fmac_f32_e32 v3, 0x4f800000, v5
	s_delay_alu instid0(VALU_DEP_1) | instskip(SKIP_2) | instid1(VALU_DEP_1)
	v_rcp_f32_e32 v3, v3
	s_waitcnt_depctr 0xfff
	v_mul_f32_e32 v3, 0x5f7ffffc, v3
	v_mul_f32_e32 v5, 0x2f800000, v3
	s_delay_alu instid0(VALU_DEP_1) | instskip(NEXT) | instid1(VALU_DEP_1)
	v_trunc_f32_e32 v5, v5
	v_fmac_f32_e32 v3, 0xcf800000, v5
	v_cvt_u32_f32_e32 v5, v5
	s_delay_alu instid0(VALU_DEP_2) | instskip(NEXT) | instid1(VALU_DEP_2)
	v_cvt_u32_f32_e32 v3, v3
	v_mul_lo_u32 v8, s0, v5
	s_delay_alu instid0(VALU_DEP_2) | instskip(SKIP_1) | instid1(VALU_DEP_2)
	v_mul_hi_u32 v10, s0, v3
	v_mul_lo_u32 v13, s17, v3
	v_add_nc_u32_e32 v8, v10, v8
	v_mul_lo_u32 v10, s0, v3
	s_delay_alu instid0(VALU_DEP_2) | instskip(NEXT) | instid1(VALU_DEP_2)
	v_add_nc_u32_e32 v8, v8, v13
	v_mul_hi_u32 v13, v3, v10
	s_delay_alu instid0(VALU_DEP_2)
	v_mul_lo_u32 v14, v3, v8
	v_mul_hi_u32 v15, v3, v8
	v_mul_hi_u32 v16, v5, v10
	v_mul_lo_u32 v10, v5, v10
	v_mul_hi_u32 v17, v5, v8
	v_mul_lo_u32 v8, v5, v8
	v_add_co_u32 v13, vcc_lo, v13, v14
	v_add_co_ci_u32_e32 v14, vcc_lo, 0, v15, vcc_lo
	s_delay_alu instid0(VALU_DEP_2) | instskip(NEXT) | instid1(VALU_DEP_2)
	v_add_co_u32 v10, vcc_lo, v13, v10
	v_add_co_ci_u32_e32 v10, vcc_lo, v14, v16, vcc_lo
	v_add_co_ci_u32_e32 v13, vcc_lo, 0, v17, vcc_lo
	s_delay_alu instid0(VALU_DEP_2) | instskip(NEXT) | instid1(VALU_DEP_2)
	v_add_co_u32 v8, vcc_lo, v10, v8
	v_add_co_ci_u32_e32 v10, vcc_lo, 0, v13, vcc_lo
	s_delay_alu instid0(VALU_DEP_2) | instskip(NEXT) | instid1(VALU_DEP_2)
	v_add_co_u32 v3, vcc_lo, v3, v8
	v_add_co_ci_u32_e32 v5, vcc_lo, v5, v10, vcc_lo
	s_delay_alu instid0(VALU_DEP_2) | instskip(SKIP_1) | instid1(VALU_DEP_3)
	v_mul_hi_u32 v8, s0, v3
	v_mul_lo_u32 v13, s17, v3
	v_mul_lo_u32 v10, s0, v5
	s_delay_alu instid0(VALU_DEP_1) | instskip(SKIP_1) | instid1(VALU_DEP_2)
	v_add_nc_u32_e32 v8, v8, v10
	v_mul_lo_u32 v10, s0, v3
	v_add_nc_u32_e32 v8, v8, v13
	s_delay_alu instid0(VALU_DEP_2) | instskip(NEXT) | instid1(VALU_DEP_2)
	v_mul_hi_u32 v13, v3, v10
	v_mul_lo_u32 v14, v3, v8
	v_mul_hi_u32 v15, v3, v8
	v_mul_hi_u32 v16, v5, v10
	v_mul_lo_u32 v10, v5, v10
	v_mul_hi_u32 v17, v5, v8
	v_mul_lo_u32 v8, v5, v8
	v_add_co_u32 v13, vcc_lo, v13, v14
	v_add_co_ci_u32_e32 v14, vcc_lo, 0, v15, vcc_lo
	s_delay_alu instid0(VALU_DEP_2) | instskip(NEXT) | instid1(VALU_DEP_2)
	v_add_co_u32 v10, vcc_lo, v13, v10
	v_add_co_ci_u32_e32 v10, vcc_lo, v14, v16, vcc_lo
	v_add_co_ci_u32_e32 v13, vcc_lo, 0, v17, vcc_lo
	v_add_co_u32 v14, vcc_lo, v11, v18
	v_add_co_ci_u32_e32 v12, vcc_lo, v12, v18, vcc_lo
	s_delay_alu instid0(VALU_DEP_4) | instskip(NEXT) | instid1(VALU_DEP_4)
	v_add_co_u32 v8, vcc_lo, v10, v8
	v_add_co_ci_u32_e32 v10, vcc_lo, 0, v13, vcc_lo
	s_delay_alu instid0(VALU_DEP_4) | instskip(NEXT) | instid1(VALU_DEP_3)
	v_xor_b32_e32 v19, v14, v18
	v_add_co_u32 v3, vcc_lo, v3, v8
	s_delay_alu instid0(VALU_DEP_3) | instskip(SKIP_1) | instid1(VALU_DEP_3)
	v_add_co_ci_u32_e32 v5, vcc_lo, v5, v10, vcc_lo
	v_xor_b32_e32 v8, v12, v18
	v_mul_hi_u32 v10, v19, v3
	s_delay_alu instid0(VALU_DEP_3) | instskip(NEXT) | instid1(VALU_DEP_3)
	v_mad_u64_u32 v[12:13], null, v19, v5, 0
	v_mad_u64_u32 v[14:15], null, v8, v3, 0
	;; [unrolled: 1-line block ×3, first 2 shown]
	s_delay_alu instid0(VALU_DEP_3) | instskip(NEXT) | instid1(VALU_DEP_4)
	v_add_co_u32 v3, vcc_lo, v10, v12
	v_add_co_ci_u32_e32 v5, vcc_lo, 0, v13, vcc_lo
	s_delay_alu instid0(VALU_DEP_2) | instskip(NEXT) | instid1(VALU_DEP_2)
	v_add_co_u32 v3, vcc_lo, v3, v14
	v_add_co_ci_u32_e32 v3, vcc_lo, v5, v15, vcc_lo
	v_add_co_ci_u32_e32 v5, vcc_lo, 0, v17, vcc_lo
	s_delay_alu instid0(VALU_DEP_2) | instskip(NEXT) | instid1(VALU_DEP_2)
	v_add_co_u32 v3, vcc_lo, v3, v16
	v_add_co_ci_u32_e32 v5, vcc_lo, 0, v5, vcc_lo
	s_delay_alu instid0(VALU_DEP_2) | instskip(SKIP_1) | instid1(VALU_DEP_3)
	v_mul_lo_u32 v10, s23, v3
	v_mad_u64_u32 v[12:13], null, s22, v3, 0
	v_mul_lo_u32 v14, s22, v5
	s_delay_alu instid0(VALU_DEP_2) | instskip(NEXT) | instid1(VALU_DEP_2)
	v_sub_co_u32 v12, vcc_lo, v19, v12
	v_add3_u32 v10, v13, v14, v10
	s_delay_alu instid0(VALU_DEP_1) | instskip(NEXT) | instid1(VALU_DEP_1)
	v_sub_nc_u32_e32 v13, v8, v10
	v_subrev_co_ci_u32_e64 v13, s0, s23, v13, vcc_lo
	v_add_co_u32 v14, s0, v3, 2
	s_delay_alu instid0(VALU_DEP_1) | instskip(SKIP_3) | instid1(VALU_DEP_3)
	v_add_co_ci_u32_e64 v15, s0, 0, v5, s0
	v_sub_co_u32 v16, s0, v12, s22
	v_sub_co_ci_u32_e32 v8, vcc_lo, v8, v10, vcc_lo
	v_subrev_co_ci_u32_e64 v13, s0, 0, v13, s0
	v_cmp_le_u32_e32 vcc_lo, s22, v16
	s_delay_alu instid0(VALU_DEP_3) | instskip(SKIP_1) | instid1(VALU_DEP_4)
	v_cmp_eq_u32_e64 s0, s23, v8
	v_cndmask_b32_e64 v10, 0, -1, vcc_lo
	v_cmp_le_u32_e32 vcc_lo, s23, v13
	v_cndmask_b32_e64 v16, 0, -1, vcc_lo
	v_cmp_le_u32_e32 vcc_lo, s22, v12
	;; [unrolled: 2-line block ×3, first 2 shown]
	v_cndmask_b32_e64 v17, 0, -1, vcc_lo
	v_cmp_eq_u32_e32 vcc_lo, s23, v13
	s_delay_alu instid0(VALU_DEP_2) | instskip(SKIP_3) | instid1(VALU_DEP_3)
	v_cndmask_b32_e64 v8, v17, v12, s0
	v_cndmask_b32_e32 v10, v16, v10, vcc_lo
	v_add_co_u32 v13, vcc_lo, v3, 1
	v_add_co_ci_u32_e32 v16, vcc_lo, 0, v5, vcc_lo
	v_cmp_ne_u32_e32 vcc_lo, 0, v10
	s_delay_alu instid0(VALU_DEP_3) | instskip(NEXT) | instid1(VALU_DEP_3)
	v_cndmask_b32_e32 v12, v13, v14, vcc_lo
	v_cndmask_b32_e32 v10, v16, v15, vcc_lo
	v_cmp_ne_u32_e32 vcc_lo, 0, v8
	v_xor_b32_e32 v8, s20, v18
	s_delay_alu instid0(VALU_DEP_4) | instskip(NEXT) | instid1(VALU_DEP_4)
	v_cndmask_b32_e32 v3, v3, v12, vcc_lo
	v_cndmask_b32_e32 v5, v5, v10, vcc_lo
	v_xor_b32_e32 v10, s21, v18
	s_delay_alu instid0(VALU_DEP_3) | instskip(NEXT) | instid1(VALU_DEP_2)
	v_xor_b32_e32 v3, v3, v8
	v_xor_b32_e32 v5, v5, v10
	s_delay_alu instid0(VALU_DEP_2) | instskip(NEXT) | instid1(VALU_DEP_2)
	v_sub_co_u32 v13, vcc_lo, v3, v8
	v_sub_co_ci_u32_e32 v14, vcc_lo, v5, v10, vcc_lo
.LBB4_34:                               ;   in Loop: Header=BB4_24 Depth=2
	s_and_not1_saveexec_b32 s0, s14
	s_cbranch_execz .LBB4_36
; %bb.35:                               ;   in Loop: Header=BB4_24 Depth=2
	v_cvt_f32_u32_e32 v3, s45
	s_sub_i32 s14, 0, s45
	v_mov_b32_e32 v14, v2
	s_delay_alu instid0(VALU_DEP_2) | instskip(SKIP_2) | instid1(VALU_DEP_1)
	v_rcp_iflag_f32_e32 v3, v3
	s_waitcnt_depctr 0xfff
	v_mul_f32_e32 v3, 0x4f7ffffe, v3
	v_cvt_u32_f32_e32 v3, v3
	s_delay_alu instid0(VALU_DEP_1) | instskip(NEXT) | instid1(VALU_DEP_1)
	v_mul_lo_u32 v5, s14, v3
	v_mul_hi_u32 v5, v3, v5
	s_delay_alu instid0(VALU_DEP_1) | instskip(NEXT) | instid1(VALU_DEP_1)
	v_add_nc_u32_e32 v3, v3, v5
	v_mul_hi_u32 v3, v11, v3
	s_delay_alu instid0(VALU_DEP_1) | instskip(NEXT) | instid1(VALU_DEP_1)
	v_mul_lo_u32 v5, v3, s45
	v_sub_nc_u32_e32 v5, v11, v5
	s_delay_alu instid0(VALU_DEP_1) | instskip(SKIP_1) | instid1(VALU_DEP_2)
	v_subrev_nc_u32_e32 v10, s45, v5
	v_cmp_le_u32_e32 vcc_lo, s45, v5
	v_dual_cndmask_b32 v5, v5, v10 :: v_dual_add_nc_u32 v8, 1, v3
	s_delay_alu instid0(VALU_DEP_1) | instskip(NEXT) | instid1(VALU_DEP_2)
	v_cndmask_b32_e32 v3, v3, v8, vcc_lo
	v_cmp_le_u32_e32 vcc_lo, s45, v5
	s_delay_alu instid0(VALU_DEP_2) | instskip(NEXT) | instid1(VALU_DEP_1)
	v_add_nc_u32_e32 v8, 1, v3
	v_cndmask_b32_e32 v13, v3, v8, vcc_lo
.LBB4_36:                               ;   in Loop: Header=BB4_24 Depth=2
	s_or_b32 exec_lo, exec_lo, s0
	s_add_u32 s20, s30, s18
	s_addc_u32 s21, s1, s19
	s_add_i32 s14, s16, 4
                                        ; implicit-def: $vgpr15_vgpr16
	s_delay_alu instid0(SALU_CYCLE_1)
	s_lshl_b64 s[18:19], s[14:15], 2
	s_mov_b32 s14, exec_lo
	s_add_u32 s22, s26, s18
	s_addc_u32 s23, s27, s19
	s_clause 0x1
	s_load_b32 s47, s[22:23], 0x0
	s_load_b32 s46, s[20:21], 0x0
	s_waitcnt lgkmcnt(0)
	s_ashr_i32 s0, s47, 31
	s_delay_alu instid0(SALU_CYCLE_1) | instskip(NEXT) | instid1(VALU_DEP_1)
	v_or_b32_e32 v3, s0, v14
	v_cmpx_ne_u64_e32 0, v[2:3]
	s_xor_b32 s14, exec_lo, s14
	s_cbranch_execz .LBB4_38
; %bb.37:                               ;   in Loop: Header=BB4_24 Depth=2
	s_add_u32 s22, s47, s0
	s_mov_b32 s20, s0
	s_mov_b32 s21, s0
	s_addc_u32 s23, s0, s0
	v_ashrrev_i32_e32 v20, 31, v14
	s_xor_b64 s[22:23], s[22:23], s[20:21]
	s_delay_alu instid0(SALU_CYCLE_1) | instskip(SKIP_3) | instid1(VALU_DEP_1)
	v_cvt_f32_u32_e32 v3, s22
	v_cvt_f32_u32_e32 v5, s23
	s_sub_u32 s0, 0, s22
	s_subb_u32 s17, 0, s23
	v_fmac_f32_e32 v3, 0x4f800000, v5
	s_delay_alu instid0(VALU_DEP_1) | instskip(SKIP_2) | instid1(VALU_DEP_1)
	v_rcp_f32_e32 v3, v3
	s_waitcnt_depctr 0xfff
	v_mul_f32_e32 v3, 0x5f7ffffc, v3
	v_mul_f32_e32 v5, 0x2f800000, v3
	s_delay_alu instid0(VALU_DEP_1) | instskip(NEXT) | instid1(VALU_DEP_1)
	v_trunc_f32_e32 v5, v5
	v_fmac_f32_e32 v3, 0xcf800000, v5
	v_cvt_u32_f32_e32 v5, v5
	s_delay_alu instid0(VALU_DEP_2) | instskip(NEXT) | instid1(VALU_DEP_2)
	v_cvt_u32_f32_e32 v3, v3
	v_mul_lo_u32 v8, s0, v5
	s_delay_alu instid0(VALU_DEP_2) | instskip(SKIP_1) | instid1(VALU_DEP_2)
	v_mul_hi_u32 v10, s0, v3
	v_mul_lo_u32 v12, s17, v3
	v_add_nc_u32_e32 v8, v10, v8
	v_mul_lo_u32 v10, s0, v3
	s_delay_alu instid0(VALU_DEP_2) | instskip(NEXT) | instid1(VALU_DEP_2)
	v_add_nc_u32_e32 v8, v8, v12
	v_mul_hi_u32 v12, v3, v10
	s_delay_alu instid0(VALU_DEP_2)
	v_mul_lo_u32 v15, v3, v8
	v_mul_hi_u32 v16, v3, v8
	v_mul_hi_u32 v17, v5, v10
	v_mul_lo_u32 v10, v5, v10
	v_mul_hi_u32 v18, v5, v8
	v_mul_lo_u32 v8, v5, v8
	v_add_co_u32 v12, vcc_lo, v12, v15
	v_add_co_ci_u32_e32 v15, vcc_lo, 0, v16, vcc_lo
	s_delay_alu instid0(VALU_DEP_2) | instskip(NEXT) | instid1(VALU_DEP_2)
	v_add_co_u32 v10, vcc_lo, v12, v10
	v_add_co_ci_u32_e32 v10, vcc_lo, v15, v17, vcc_lo
	v_add_co_ci_u32_e32 v12, vcc_lo, 0, v18, vcc_lo
	s_delay_alu instid0(VALU_DEP_2) | instskip(NEXT) | instid1(VALU_DEP_2)
	v_add_co_u32 v8, vcc_lo, v10, v8
	v_add_co_ci_u32_e32 v10, vcc_lo, 0, v12, vcc_lo
	s_delay_alu instid0(VALU_DEP_2) | instskip(NEXT) | instid1(VALU_DEP_2)
	v_add_co_u32 v3, vcc_lo, v3, v8
	v_add_co_ci_u32_e32 v5, vcc_lo, v5, v10, vcc_lo
	s_delay_alu instid0(VALU_DEP_2) | instskip(SKIP_1) | instid1(VALU_DEP_3)
	v_mul_hi_u32 v8, s0, v3
	v_mul_lo_u32 v12, s17, v3
	v_mul_lo_u32 v10, s0, v5
	s_delay_alu instid0(VALU_DEP_1) | instskip(SKIP_1) | instid1(VALU_DEP_2)
	v_add_nc_u32_e32 v8, v8, v10
	v_mul_lo_u32 v10, s0, v3
	v_add_nc_u32_e32 v8, v8, v12
	s_delay_alu instid0(VALU_DEP_2) | instskip(NEXT) | instid1(VALU_DEP_2)
	v_mul_hi_u32 v12, v3, v10
	v_mul_lo_u32 v15, v3, v8
	v_mul_hi_u32 v16, v3, v8
	v_mul_hi_u32 v17, v5, v10
	v_mul_lo_u32 v10, v5, v10
	v_mul_hi_u32 v18, v5, v8
	v_mul_lo_u32 v8, v5, v8
	v_add_co_u32 v12, vcc_lo, v12, v15
	v_add_co_ci_u32_e32 v15, vcc_lo, 0, v16, vcc_lo
	s_delay_alu instid0(VALU_DEP_2) | instskip(NEXT) | instid1(VALU_DEP_2)
	v_add_co_u32 v10, vcc_lo, v12, v10
	v_add_co_ci_u32_e32 v10, vcc_lo, v15, v17, vcc_lo
	v_add_co_ci_u32_e32 v12, vcc_lo, 0, v18, vcc_lo
	v_add_co_u32 v15, vcc_lo, v13, v20
	v_add_co_ci_u32_e32 v14, vcc_lo, v14, v20, vcc_lo
	s_delay_alu instid0(VALU_DEP_4) | instskip(NEXT) | instid1(VALU_DEP_4)
	v_add_co_u32 v8, vcc_lo, v10, v8
	v_add_co_ci_u32_e32 v10, vcc_lo, 0, v12, vcc_lo
	s_delay_alu instid0(VALU_DEP_4) | instskip(NEXT) | instid1(VALU_DEP_3)
	v_xor_b32_e32 v12, v15, v20
	v_add_co_u32 v3, vcc_lo, v3, v8
	s_delay_alu instid0(VALU_DEP_3) | instskip(SKIP_1) | instid1(VALU_DEP_3)
	v_add_co_ci_u32_e32 v5, vcc_lo, v5, v10, vcc_lo
	v_xor_b32_e32 v8, v14, v20
	v_mul_hi_u32 v10, v12, v3
	s_delay_alu instid0(VALU_DEP_3) | instskip(NEXT) | instid1(VALU_DEP_3)
	v_mad_u64_u32 v[14:15], null, v12, v5, 0
	v_mad_u64_u32 v[16:17], null, v8, v3, 0
	;; [unrolled: 1-line block ×3, first 2 shown]
	s_delay_alu instid0(VALU_DEP_3) | instskip(NEXT) | instid1(VALU_DEP_4)
	v_add_co_u32 v3, vcc_lo, v10, v14
	v_add_co_ci_u32_e32 v5, vcc_lo, 0, v15, vcc_lo
	s_delay_alu instid0(VALU_DEP_2) | instskip(NEXT) | instid1(VALU_DEP_2)
	v_add_co_u32 v3, vcc_lo, v3, v16
	v_add_co_ci_u32_e32 v3, vcc_lo, v5, v17, vcc_lo
	v_add_co_ci_u32_e32 v5, vcc_lo, 0, v19, vcc_lo
	s_delay_alu instid0(VALU_DEP_2) | instskip(NEXT) | instid1(VALU_DEP_2)
	v_add_co_u32 v3, vcc_lo, v3, v18
	v_add_co_ci_u32_e32 v5, vcc_lo, 0, v5, vcc_lo
	s_delay_alu instid0(VALU_DEP_2) | instskip(SKIP_1) | instid1(VALU_DEP_3)
	v_mul_lo_u32 v10, s23, v3
	v_mad_u64_u32 v[14:15], null, s22, v3, 0
	v_mul_lo_u32 v16, s22, v5
	s_delay_alu instid0(VALU_DEP_2) | instskip(NEXT) | instid1(VALU_DEP_2)
	v_sub_co_u32 v12, vcc_lo, v12, v14
	v_add3_u32 v10, v15, v16, v10
	s_delay_alu instid0(VALU_DEP_1) | instskip(NEXT) | instid1(VALU_DEP_1)
	v_sub_nc_u32_e32 v15, v8, v10
	v_subrev_co_ci_u32_e64 v14, s0, s23, v15, vcc_lo
	v_add_co_u32 v15, s0, v3, 2
	s_delay_alu instid0(VALU_DEP_1) | instskip(SKIP_3) | instid1(VALU_DEP_3)
	v_add_co_ci_u32_e64 v16, s0, 0, v5, s0
	v_sub_co_u32 v17, s0, v12, s22
	v_sub_co_ci_u32_e32 v8, vcc_lo, v8, v10, vcc_lo
	v_subrev_co_ci_u32_e64 v14, s0, 0, v14, s0
	v_cmp_le_u32_e32 vcc_lo, s22, v17
	s_delay_alu instid0(VALU_DEP_3) | instskip(SKIP_1) | instid1(VALU_DEP_4)
	v_cmp_eq_u32_e64 s0, s23, v8
	v_cndmask_b32_e64 v10, 0, -1, vcc_lo
	v_cmp_le_u32_e32 vcc_lo, s23, v14
	v_cndmask_b32_e64 v17, 0, -1, vcc_lo
	v_cmp_le_u32_e32 vcc_lo, s22, v12
	;; [unrolled: 2-line block ×3, first 2 shown]
	v_cndmask_b32_e64 v18, 0, -1, vcc_lo
	v_cmp_eq_u32_e32 vcc_lo, s23, v14
	s_delay_alu instid0(VALU_DEP_2) | instskip(SKIP_3) | instid1(VALU_DEP_3)
	v_cndmask_b32_e64 v8, v18, v12, s0
	v_cndmask_b32_e32 v10, v17, v10, vcc_lo
	v_add_co_u32 v14, vcc_lo, v3, 1
	v_add_co_ci_u32_e32 v17, vcc_lo, 0, v5, vcc_lo
	v_cmp_ne_u32_e32 vcc_lo, 0, v10
	s_delay_alu instid0(VALU_DEP_2) | instskip(NEXT) | instid1(VALU_DEP_4)
	v_cndmask_b32_e32 v10, v17, v16, vcc_lo
	v_cndmask_b32_e32 v12, v14, v15, vcc_lo
	v_cmp_ne_u32_e32 vcc_lo, 0, v8
	v_xor_b32_e32 v8, s20, v20
	s_delay_alu instid0(VALU_DEP_4) | instskip(NEXT) | instid1(VALU_DEP_4)
	v_cndmask_b32_e32 v5, v5, v10, vcc_lo
	v_cndmask_b32_e32 v3, v3, v12, vcc_lo
	v_xor_b32_e32 v10, s21, v20
	s_delay_alu instid0(VALU_DEP_2) | instskip(NEXT) | instid1(VALU_DEP_2)
	v_xor_b32_e32 v3, v3, v8
	v_xor_b32_e32 v5, v5, v10
	s_delay_alu instid0(VALU_DEP_2) | instskip(NEXT) | instid1(VALU_DEP_2)
	v_sub_co_u32 v15, vcc_lo, v3, v8
	v_sub_co_ci_u32_e32 v16, vcc_lo, v5, v10, vcc_lo
.LBB4_38:                               ;   in Loop: Header=BB4_24 Depth=2
	s_and_not1_saveexec_b32 s0, s14
	s_cbranch_execz .LBB4_40
; %bb.39:                               ;   in Loop: Header=BB4_24 Depth=2
	v_cvt_f32_u32_e32 v3, s47
	s_sub_i32 s14, 0, s47
	v_mov_b32_e32 v16, v2
	s_delay_alu instid0(VALU_DEP_2) | instskip(SKIP_2) | instid1(VALU_DEP_1)
	v_rcp_iflag_f32_e32 v3, v3
	s_waitcnt_depctr 0xfff
	v_mul_f32_e32 v3, 0x4f7ffffe, v3
	v_cvt_u32_f32_e32 v3, v3
	s_delay_alu instid0(VALU_DEP_1) | instskip(NEXT) | instid1(VALU_DEP_1)
	v_mul_lo_u32 v5, s14, v3
	v_mul_hi_u32 v5, v3, v5
	s_delay_alu instid0(VALU_DEP_1) | instskip(NEXT) | instid1(VALU_DEP_1)
	v_add_nc_u32_e32 v3, v3, v5
	v_mul_hi_u32 v3, v13, v3
	s_delay_alu instid0(VALU_DEP_1) | instskip(NEXT) | instid1(VALU_DEP_1)
	v_mul_lo_u32 v5, v3, s47
	v_sub_nc_u32_e32 v5, v13, v5
	s_delay_alu instid0(VALU_DEP_1) | instskip(SKIP_1) | instid1(VALU_DEP_2)
	v_subrev_nc_u32_e32 v10, s47, v5
	v_cmp_le_u32_e32 vcc_lo, s47, v5
	v_dual_cndmask_b32 v5, v5, v10 :: v_dual_add_nc_u32 v8, 1, v3
	s_delay_alu instid0(VALU_DEP_1) | instskip(NEXT) | instid1(VALU_DEP_2)
	v_cndmask_b32_e32 v3, v3, v8, vcc_lo
	v_cmp_le_u32_e32 vcc_lo, s47, v5
	s_delay_alu instid0(VALU_DEP_2) | instskip(NEXT) | instid1(VALU_DEP_1)
	v_add_nc_u32_e32 v8, 1, v3
	v_cndmask_b32_e32 v15, v3, v8, vcc_lo
.LBB4_40:                               ;   in Loop: Header=BB4_24 Depth=2
	s_or_b32 exec_lo, exec_lo, s0
	s_add_u32 s20, s30, s18
	s_addc_u32 s21, s1, s19
	s_add_i32 s14, s16, 3
                                        ; implicit-def: $vgpr17_vgpr18
	s_delay_alu instid0(SALU_CYCLE_1)
	s_lshl_b64 s[18:19], s[14:15], 2
	s_mov_b32 s14, exec_lo
	s_add_u32 s22, s26, s18
	s_addc_u32 s23, s27, s19
	s_clause 0x1
	s_load_b32 s49, s[22:23], 0x0
	s_load_b32 s48, s[20:21], 0x0
	s_waitcnt lgkmcnt(0)
	s_ashr_i32 s0, s49, 31
	s_delay_alu instid0(SALU_CYCLE_1) | instskip(NEXT) | instid1(VALU_DEP_1)
	v_or_b32_e32 v3, s0, v16
	v_cmpx_ne_u64_e32 0, v[2:3]
	s_xor_b32 s14, exec_lo, s14
	s_cbranch_execz .LBB4_42
; %bb.41:                               ;   in Loop: Header=BB4_24 Depth=2
	s_add_u32 s22, s49, s0
	s_mov_b32 s20, s0
	s_mov_b32 s21, s0
	s_addc_u32 s23, s0, s0
	v_ashrrev_i32_e32 v22, 31, v16
	s_xor_b64 s[22:23], s[22:23], s[20:21]
	s_delay_alu instid0(SALU_CYCLE_1) | instskip(SKIP_3) | instid1(VALU_DEP_1)
	v_cvt_f32_u32_e32 v3, s22
	v_cvt_f32_u32_e32 v5, s23
	s_sub_u32 s0, 0, s22
	s_subb_u32 s17, 0, s23
	v_fmac_f32_e32 v3, 0x4f800000, v5
	s_delay_alu instid0(VALU_DEP_1) | instskip(SKIP_2) | instid1(VALU_DEP_1)
	v_rcp_f32_e32 v3, v3
	s_waitcnt_depctr 0xfff
	v_mul_f32_e32 v3, 0x5f7ffffc, v3
	v_mul_f32_e32 v5, 0x2f800000, v3
	s_delay_alu instid0(VALU_DEP_1) | instskip(NEXT) | instid1(VALU_DEP_1)
	v_trunc_f32_e32 v5, v5
	v_fmac_f32_e32 v3, 0xcf800000, v5
	v_cvt_u32_f32_e32 v5, v5
	s_delay_alu instid0(VALU_DEP_2) | instskip(NEXT) | instid1(VALU_DEP_2)
	v_cvt_u32_f32_e32 v3, v3
	v_mul_lo_u32 v8, s0, v5
	s_delay_alu instid0(VALU_DEP_2) | instskip(SKIP_1) | instid1(VALU_DEP_2)
	v_mul_hi_u32 v10, s0, v3
	v_mul_lo_u32 v12, s17, v3
	v_add_nc_u32_e32 v8, v10, v8
	v_mul_lo_u32 v10, s0, v3
	s_delay_alu instid0(VALU_DEP_2) | instskip(NEXT) | instid1(VALU_DEP_2)
	v_add_nc_u32_e32 v8, v8, v12
	v_mul_hi_u32 v12, v3, v10
	s_delay_alu instid0(VALU_DEP_2)
	v_mul_lo_u32 v14, v3, v8
	v_mul_hi_u32 v17, v3, v8
	v_mul_hi_u32 v18, v5, v10
	v_mul_lo_u32 v10, v5, v10
	v_mul_hi_u32 v19, v5, v8
	v_mul_lo_u32 v8, v5, v8
	v_add_co_u32 v12, vcc_lo, v12, v14
	v_add_co_ci_u32_e32 v14, vcc_lo, 0, v17, vcc_lo
	s_delay_alu instid0(VALU_DEP_2) | instskip(NEXT) | instid1(VALU_DEP_2)
	v_add_co_u32 v10, vcc_lo, v12, v10
	v_add_co_ci_u32_e32 v10, vcc_lo, v14, v18, vcc_lo
	v_add_co_ci_u32_e32 v12, vcc_lo, 0, v19, vcc_lo
	s_delay_alu instid0(VALU_DEP_2) | instskip(NEXT) | instid1(VALU_DEP_2)
	v_add_co_u32 v8, vcc_lo, v10, v8
	v_add_co_ci_u32_e32 v10, vcc_lo, 0, v12, vcc_lo
	s_delay_alu instid0(VALU_DEP_2) | instskip(NEXT) | instid1(VALU_DEP_2)
	v_add_co_u32 v3, vcc_lo, v3, v8
	v_add_co_ci_u32_e32 v5, vcc_lo, v5, v10, vcc_lo
	s_delay_alu instid0(VALU_DEP_2) | instskip(SKIP_1) | instid1(VALU_DEP_3)
	v_mul_hi_u32 v8, s0, v3
	v_mul_lo_u32 v12, s17, v3
	v_mul_lo_u32 v10, s0, v5
	s_delay_alu instid0(VALU_DEP_1) | instskip(SKIP_1) | instid1(VALU_DEP_2)
	v_add_nc_u32_e32 v8, v8, v10
	v_mul_lo_u32 v10, s0, v3
	v_add_nc_u32_e32 v8, v8, v12
	s_delay_alu instid0(VALU_DEP_2) | instskip(NEXT) | instid1(VALU_DEP_2)
	v_mul_hi_u32 v12, v3, v10
	v_mul_lo_u32 v14, v3, v8
	v_mul_hi_u32 v17, v3, v8
	v_mul_hi_u32 v18, v5, v10
	v_mul_lo_u32 v10, v5, v10
	v_mul_hi_u32 v19, v5, v8
	v_mul_lo_u32 v8, v5, v8
	v_add_co_u32 v12, vcc_lo, v12, v14
	v_add_co_ci_u32_e32 v14, vcc_lo, 0, v17, vcc_lo
	s_delay_alu instid0(VALU_DEP_2) | instskip(NEXT) | instid1(VALU_DEP_2)
	v_add_co_u32 v10, vcc_lo, v12, v10
	v_add_co_ci_u32_e32 v10, vcc_lo, v14, v18, vcc_lo
	v_add_co_ci_u32_e32 v12, vcc_lo, 0, v19, vcc_lo
	v_add_co_u32 v14, vcc_lo, v15, v22
	v_add_co_ci_u32_e32 v16, vcc_lo, v16, v22, vcc_lo
	s_delay_alu instid0(VALU_DEP_4) | instskip(NEXT) | instid1(VALU_DEP_4)
	v_add_co_u32 v8, vcc_lo, v10, v8
	v_add_co_ci_u32_e32 v10, vcc_lo, 0, v12, vcc_lo
	s_delay_alu instid0(VALU_DEP_4) | instskip(NEXT) | instid1(VALU_DEP_3)
	v_xor_b32_e32 v12, v14, v22
	v_add_co_u32 v3, vcc_lo, v3, v8
	s_delay_alu instid0(VALU_DEP_3) | instskip(SKIP_1) | instid1(VALU_DEP_3)
	v_add_co_ci_u32_e32 v5, vcc_lo, v5, v10, vcc_lo
	v_xor_b32_e32 v8, v16, v22
	v_mul_hi_u32 v10, v12, v3
	s_delay_alu instid0(VALU_DEP_3) | instskip(NEXT) | instid1(VALU_DEP_3)
	v_mad_u64_u32 v[16:17], null, v12, v5, 0
	v_mad_u64_u32 v[18:19], null, v8, v3, 0
	;; [unrolled: 1-line block ×3, first 2 shown]
	s_delay_alu instid0(VALU_DEP_3) | instskip(NEXT) | instid1(VALU_DEP_4)
	v_add_co_u32 v3, vcc_lo, v10, v16
	v_add_co_ci_u32_e32 v5, vcc_lo, 0, v17, vcc_lo
	s_delay_alu instid0(VALU_DEP_2) | instskip(NEXT) | instid1(VALU_DEP_2)
	v_add_co_u32 v3, vcc_lo, v3, v18
	v_add_co_ci_u32_e32 v3, vcc_lo, v5, v19, vcc_lo
	v_add_co_ci_u32_e32 v5, vcc_lo, 0, v21, vcc_lo
	s_delay_alu instid0(VALU_DEP_2) | instskip(NEXT) | instid1(VALU_DEP_2)
	v_add_co_u32 v3, vcc_lo, v3, v20
	v_add_co_ci_u32_e32 v5, vcc_lo, 0, v5, vcc_lo
	s_delay_alu instid0(VALU_DEP_2) | instskip(SKIP_1) | instid1(VALU_DEP_3)
	v_mul_lo_u32 v10, s23, v3
	v_mad_u64_u32 v[16:17], null, s22, v3, 0
	v_mul_lo_u32 v14, s22, v5
	s_delay_alu instid0(VALU_DEP_2) | instskip(NEXT) | instid1(VALU_DEP_2)
	v_sub_co_u32 v12, vcc_lo, v12, v16
	v_add3_u32 v10, v17, v14, v10
	s_delay_alu instid0(VALU_DEP_1) | instskip(NEXT) | instid1(VALU_DEP_1)
	v_sub_nc_u32_e32 v14, v8, v10
	v_subrev_co_ci_u32_e64 v14, s0, s23, v14, vcc_lo
	v_add_co_u32 v16, s0, v3, 2
	s_delay_alu instid0(VALU_DEP_1) | instskip(SKIP_3) | instid1(VALU_DEP_3)
	v_add_co_ci_u32_e64 v17, s0, 0, v5, s0
	v_sub_co_u32 v18, s0, v12, s22
	v_sub_co_ci_u32_e32 v8, vcc_lo, v8, v10, vcc_lo
	v_subrev_co_ci_u32_e64 v14, s0, 0, v14, s0
	v_cmp_le_u32_e32 vcc_lo, s22, v18
	s_delay_alu instid0(VALU_DEP_3) | instskip(SKIP_1) | instid1(VALU_DEP_4)
	v_cmp_eq_u32_e64 s0, s23, v8
	v_cndmask_b32_e64 v10, 0, -1, vcc_lo
	v_cmp_le_u32_e32 vcc_lo, s23, v14
	v_cndmask_b32_e64 v18, 0, -1, vcc_lo
	v_cmp_le_u32_e32 vcc_lo, s22, v12
	;; [unrolled: 2-line block ×3, first 2 shown]
	v_cndmask_b32_e64 v19, 0, -1, vcc_lo
	v_cmp_eq_u32_e32 vcc_lo, s23, v14
	s_delay_alu instid0(VALU_DEP_2) | instskip(SKIP_3) | instid1(VALU_DEP_3)
	v_cndmask_b32_e64 v8, v19, v12, s0
	v_cndmask_b32_e32 v10, v18, v10, vcc_lo
	v_add_co_u32 v14, vcc_lo, v3, 1
	v_add_co_ci_u32_e32 v18, vcc_lo, 0, v5, vcc_lo
	v_cmp_ne_u32_e32 vcc_lo, 0, v10
	s_delay_alu instid0(VALU_DEP_2) | instskip(NEXT) | instid1(VALU_DEP_4)
	v_cndmask_b32_e32 v10, v18, v17, vcc_lo
	v_cndmask_b32_e32 v12, v14, v16, vcc_lo
	v_cmp_ne_u32_e32 vcc_lo, 0, v8
	v_xor_b32_e32 v8, s20, v22
	s_delay_alu instid0(VALU_DEP_4) | instskip(NEXT) | instid1(VALU_DEP_4)
	v_cndmask_b32_e32 v5, v5, v10, vcc_lo
	v_cndmask_b32_e32 v3, v3, v12, vcc_lo
	v_xor_b32_e32 v10, s21, v22
	s_delay_alu instid0(VALU_DEP_2) | instskip(NEXT) | instid1(VALU_DEP_2)
	v_xor_b32_e32 v3, v3, v8
	v_xor_b32_e32 v5, v5, v10
	s_delay_alu instid0(VALU_DEP_2) | instskip(NEXT) | instid1(VALU_DEP_2)
	v_sub_co_u32 v17, vcc_lo, v3, v8
	v_sub_co_ci_u32_e32 v18, vcc_lo, v5, v10, vcc_lo
.LBB4_42:                               ;   in Loop: Header=BB4_24 Depth=2
	s_and_not1_saveexec_b32 s0, s14
	s_cbranch_execz .LBB4_44
; %bb.43:                               ;   in Loop: Header=BB4_24 Depth=2
	v_cvt_f32_u32_e32 v3, s49
	s_sub_i32 s14, 0, s49
	v_mov_b32_e32 v18, v2
	s_delay_alu instid0(VALU_DEP_2) | instskip(SKIP_2) | instid1(VALU_DEP_1)
	v_rcp_iflag_f32_e32 v3, v3
	s_waitcnt_depctr 0xfff
	v_mul_f32_e32 v3, 0x4f7ffffe, v3
	v_cvt_u32_f32_e32 v3, v3
	s_delay_alu instid0(VALU_DEP_1) | instskip(NEXT) | instid1(VALU_DEP_1)
	v_mul_lo_u32 v5, s14, v3
	v_mul_hi_u32 v5, v3, v5
	s_delay_alu instid0(VALU_DEP_1) | instskip(NEXT) | instid1(VALU_DEP_1)
	v_add_nc_u32_e32 v3, v3, v5
	v_mul_hi_u32 v3, v15, v3
	s_delay_alu instid0(VALU_DEP_1) | instskip(NEXT) | instid1(VALU_DEP_1)
	v_mul_lo_u32 v5, v3, s49
	v_sub_nc_u32_e32 v5, v15, v5
	s_delay_alu instid0(VALU_DEP_1) | instskip(SKIP_1) | instid1(VALU_DEP_2)
	v_subrev_nc_u32_e32 v10, s49, v5
	v_cmp_le_u32_e32 vcc_lo, s49, v5
	v_dual_cndmask_b32 v5, v5, v10 :: v_dual_add_nc_u32 v8, 1, v3
	s_delay_alu instid0(VALU_DEP_1) | instskip(NEXT) | instid1(VALU_DEP_2)
	v_cndmask_b32_e32 v3, v3, v8, vcc_lo
	v_cmp_le_u32_e32 vcc_lo, s49, v5
	s_delay_alu instid0(VALU_DEP_2) | instskip(NEXT) | instid1(VALU_DEP_1)
	v_add_nc_u32_e32 v8, 1, v3
	v_cndmask_b32_e32 v17, v3, v8, vcc_lo
.LBB4_44:                               ;   in Loop: Header=BB4_24 Depth=2
	s_or_b32 exec_lo, exec_lo, s0
	s_add_u32 s20, s30, s18
	s_addc_u32 s21, s1, s19
	s_add_i32 s14, s16, 2
                                        ; implicit-def: $vgpr19_vgpr20
	s_delay_alu instid0(SALU_CYCLE_1)
	s_lshl_b64 s[18:19], s[14:15], 2
	s_mov_b32 s14, exec_lo
	s_add_u32 s22, s26, s18
	s_addc_u32 s23, s27, s19
	s_clause 0x1
	s_load_b32 s51, s[22:23], 0x0
	s_load_b32 s50, s[20:21], 0x0
	s_waitcnt lgkmcnt(0)
	s_ashr_i32 s0, s51, 31
	s_delay_alu instid0(SALU_CYCLE_1) | instskip(NEXT) | instid1(VALU_DEP_1)
	v_or_b32_e32 v3, s0, v18
	v_cmpx_ne_u64_e32 0, v[2:3]
	s_xor_b32 s14, exec_lo, s14
	s_cbranch_execz .LBB4_46
; %bb.45:                               ;   in Loop: Header=BB4_24 Depth=2
	s_add_u32 s22, s51, s0
	s_mov_b32 s20, s0
	s_mov_b32 s21, s0
	s_addc_u32 s23, s0, s0
	v_ashrrev_i32_e32 v24, 31, v18
	s_xor_b64 s[22:23], s[22:23], s[20:21]
	s_delay_alu instid0(SALU_CYCLE_1) | instskip(SKIP_3) | instid1(VALU_DEP_1)
	v_cvt_f32_u32_e32 v3, s22
	v_cvt_f32_u32_e32 v5, s23
	s_sub_u32 s0, 0, s22
	s_subb_u32 s17, 0, s23
	v_fmac_f32_e32 v3, 0x4f800000, v5
	s_delay_alu instid0(VALU_DEP_1) | instskip(SKIP_2) | instid1(VALU_DEP_1)
	v_rcp_f32_e32 v3, v3
	s_waitcnt_depctr 0xfff
	v_mul_f32_e32 v3, 0x5f7ffffc, v3
	v_mul_f32_e32 v5, 0x2f800000, v3
	s_delay_alu instid0(VALU_DEP_1) | instskip(NEXT) | instid1(VALU_DEP_1)
	v_trunc_f32_e32 v5, v5
	v_fmac_f32_e32 v3, 0xcf800000, v5
	v_cvt_u32_f32_e32 v5, v5
	s_delay_alu instid0(VALU_DEP_2) | instskip(NEXT) | instid1(VALU_DEP_2)
	v_cvt_u32_f32_e32 v3, v3
	v_mul_lo_u32 v8, s0, v5
	s_delay_alu instid0(VALU_DEP_2) | instskip(SKIP_1) | instid1(VALU_DEP_2)
	v_mul_hi_u32 v10, s0, v3
	v_mul_lo_u32 v12, s17, v3
	v_add_nc_u32_e32 v8, v10, v8
	v_mul_lo_u32 v10, s0, v3
	s_delay_alu instid0(VALU_DEP_2) | instskip(NEXT) | instid1(VALU_DEP_2)
	v_add_nc_u32_e32 v8, v8, v12
	v_mul_hi_u32 v12, v3, v10
	s_delay_alu instid0(VALU_DEP_2)
	v_mul_lo_u32 v14, v3, v8
	v_mul_hi_u32 v16, v3, v8
	v_mul_hi_u32 v19, v5, v10
	v_mul_lo_u32 v10, v5, v10
	v_mul_hi_u32 v20, v5, v8
	v_mul_lo_u32 v8, v5, v8
	v_add_co_u32 v12, vcc_lo, v12, v14
	v_add_co_ci_u32_e32 v14, vcc_lo, 0, v16, vcc_lo
	s_delay_alu instid0(VALU_DEP_2) | instskip(NEXT) | instid1(VALU_DEP_2)
	v_add_co_u32 v10, vcc_lo, v12, v10
	v_add_co_ci_u32_e32 v10, vcc_lo, v14, v19, vcc_lo
	v_add_co_ci_u32_e32 v12, vcc_lo, 0, v20, vcc_lo
	s_delay_alu instid0(VALU_DEP_2) | instskip(NEXT) | instid1(VALU_DEP_2)
	v_add_co_u32 v8, vcc_lo, v10, v8
	v_add_co_ci_u32_e32 v10, vcc_lo, 0, v12, vcc_lo
	s_delay_alu instid0(VALU_DEP_2) | instskip(NEXT) | instid1(VALU_DEP_2)
	v_add_co_u32 v3, vcc_lo, v3, v8
	v_add_co_ci_u32_e32 v5, vcc_lo, v5, v10, vcc_lo
	s_delay_alu instid0(VALU_DEP_2) | instskip(SKIP_1) | instid1(VALU_DEP_3)
	v_mul_hi_u32 v8, s0, v3
	v_mul_lo_u32 v12, s17, v3
	v_mul_lo_u32 v10, s0, v5
	s_delay_alu instid0(VALU_DEP_1) | instskip(SKIP_1) | instid1(VALU_DEP_2)
	v_add_nc_u32_e32 v8, v8, v10
	v_mul_lo_u32 v10, s0, v3
	v_add_nc_u32_e32 v8, v8, v12
	s_delay_alu instid0(VALU_DEP_2) | instskip(NEXT) | instid1(VALU_DEP_2)
	v_mul_hi_u32 v12, v3, v10
	v_mul_lo_u32 v14, v3, v8
	v_mul_hi_u32 v16, v3, v8
	v_mul_hi_u32 v19, v5, v10
	v_mul_lo_u32 v10, v5, v10
	v_mul_hi_u32 v20, v5, v8
	v_mul_lo_u32 v8, v5, v8
	v_add_co_u32 v12, vcc_lo, v12, v14
	v_add_co_ci_u32_e32 v14, vcc_lo, 0, v16, vcc_lo
	s_delay_alu instid0(VALU_DEP_2) | instskip(NEXT) | instid1(VALU_DEP_2)
	v_add_co_u32 v10, vcc_lo, v12, v10
	v_add_co_ci_u32_e32 v10, vcc_lo, v14, v19, vcc_lo
	v_add_co_ci_u32_e32 v12, vcc_lo, 0, v20, vcc_lo
	v_add_co_u32 v14, vcc_lo, v17, v24
	v_add_co_ci_u32_e32 v16, vcc_lo, v18, v24, vcc_lo
	s_delay_alu instid0(VALU_DEP_4) | instskip(NEXT) | instid1(VALU_DEP_4)
	v_add_co_u32 v8, vcc_lo, v10, v8
	v_add_co_ci_u32_e32 v10, vcc_lo, 0, v12, vcc_lo
	s_delay_alu instid0(VALU_DEP_4) | instskip(NEXT) | instid1(VALU_DEP_3)
	v_xor_b32_e32 v12, v14, v24
	v_add_co_u32 v3, vcc_lo, v3, v8
	s_delay_alu instid0(VALU_DEP_3) | instskip(SKIP_1) | instid1(VALU_DEP_3)
	v_add_co_ci_u32_e32 v5, vcc_lo, v5, v10, vcc_lo
	v_xor_b32_e32 v8, v16, v24
	v_mul_hi_u32 v10, v12, v3
	s_delay_alu instid0(VALU_DEP_3) | instskip(NEXT) | instid1(VALU_DEP_3)
	v_mad_u64_u32 v[18:19], null, v12, v5, 0
	v_mad_u64_u32 v[20:21], null, v8, v3, 0
	v_mad_u64_u32 v[22:23], null, v8, v5, 0
	s_delay_alu instid0(VALU_DEP_3) | instskip(NEXT) | instid1(VALU_DEP_4)
	v_add_co_u32 v3, vcc_lo, v10, v18
	v_add_co_ci_u32_e32 v5, vcc_lo, 0, v19, vcc_lo
	s_delay_alu instid0(VALU_DEP_2) | instskip(NEXT) | instid1(VALU_DEP_2)
	v_add_co_u32 v3, vcc_lo, v3, v20
	v_add_co_ci_u32_e32 v3, vcc_lo, v5, v21, vcc_lo
	v_add_co_ci_u32_e32 v5, vcc_lo, 0, v23, vcc_lo
	s_delay_alu instid0(VALU_DEP_2) | instskip(NEXT) | instid1(VALU_DEP_2)
	v_add_co_u32 v3, vcc_lo, v3, v22
	v_add_co_ci_u32_e32 v5, vcc_lo, 0, v5, vcc_lo
	s_delay_alu instid0(VALU_DEP_2) | instskip(SKIP_1) | instid1(VALU_DEP_3)
	v_mul_lo_u32 v10, s23, v3
	v_mad_u64_u32 v[18:19], null, s22, v3, 0
	v_mul_lo_u32 v14, s22, v5
	s_delay_alu instid0(VALU_DEP_2) | instskip(NEXT) | instid1(VALU_DEP_2)
	v_sub_co_u32 v12, vcc_lo, v12, v18
	v_add3_u32 v10, v19, v14, v10
	s_delay_alu instid0(VALU_DEP_1) | instskip(NEXT) | instid1(VALU_DEP_1)
	v_sub_nc_u32_e32 v14, v8, v10
	v_subrev_co_ci_u32_e64 v14, s0, s23, v14, vcc_lo
	v_add_co_u32 v16, s0, v3, 2
	s_delay_alu instid0(VALU_DEP_1) | instskip(SKIP_3) | instid1(VALU_DEP_3)
	v_add_co_ci_u32_e64 v18, s0, 0, v5, s0
	v_sub_co_u32 v19, s0, v12, s22
	v_sub_co_ci_u32_e32 v8, vcc_lo, v8, v10, vcc_lo
	v_subrev_co_ci_u32_e64 v14, s0, 0, v14, s0
	v_cmp_le_u32_e32 vcc_lo, s22, v19
	s_delay_alu instid0(VALU_DEP_3) | instskip(SKIP_1) | instid1(VALU_DEP_4)
	v_cmp_eq_u32_e64 s0, s23, v8
	v_cndmask_b32_e64 v10, 0, -1, vcc_lo
	v_cmp_le_u32_e32 vcc_lo, s23, v14
	v_cndmask_b32_e64 v19, 0, -1, vcc_lo
	v_cmp_le_u32_e32 vcc_lo, s22, v12
	;; [unrolled: 2-line block ×3, first 2 shown]
	v_cndmask_b32_e64 v20, 0, -1, vcc_lo
	v_cmp_eq_u32_e32 vcc_lo, s23, v14
	s_delay_alu instid0(VALU_DEP_2) | instskip(SKIP_3) | instid1(VALU_DEP_3)
	v_cndmask_b32_e64 v8, v20, v12, s0
	v_cndmask_b32_e32 v10, v19, v10, vcc_lo
	v_add_co_u32 v14, vcc_lo, v3, 1
	v_add_co_ci_u32_e32 v19, vcc_lo, 0, v5, vcc_lo
	v_cmp_ne_u32_e32 vcc_lo, 0, v10
	s_delay_alu instid0(VALU_DEP_2) | instskip(NEXT) | instid1(VALU_DEP_4)
	v_cndmask_b32_e32 v10, v19, v18, vcc_lo
	v_cndmask_b32_e32 v12, v14, v16, vcc_lo
	v_cmp_ne_u32_e32 vcc_lo, 0, v8
	v_xor_b32_e32 v8, s20, v24
	s_delay_alu instid0(VALU_DEP_4) | instskip(NEXT) | instid1(VALU_DEP_4)
	v_cndmask_b32_e32 v5, v5, v10, vcc_lo
	v_cndmask_b32_e32 v3, v3, v12, vcc_lo
	v_xor_b32_e32 v10, s21, v24
	s_delay_alu instid0(VALU_DEP_2) | instskip(NEXT) | instid1(VALU_DEP_2)
	v_xor_b32_e32 v3, v3, v8
	v_xor_b32_e32 v5, v5, v10
	s_delay_alu instid0(VALU_DEP_2) | instskip(NEXT) | instid1(VALU_DEP_2)
	v_sub_co_u32 v19, vcc_lo, v3, v8
	v_sub_co_ci_u32_e32 v20, vcc_lo, v5, v10, vcc_lo
.LBB4_46:                               ;   in Loop: Header=BB4_24 Depth=2
	s_and_not1_saveexec_b32 s0, s14
	s_cbranch_execz .LBB4_48
; %bb.47:                               ;   in Loop: Header=BB4_24 Depth=2
	v_cvt_f32_u32_e32 v3, s51
	s_sub_i32 s14, 0, s51
	v_mov_b32_e32 v20, v2
	s_delay_alu instid0(VALU_DEP_2) | instskip(SKIP_2) | instid1(VALU_DEP_1)
	v_rcp_iflag_f32_e32 v3, v3
	s_waitcnt_depctr 0xfff
	v_mul_f32_e32 v3, 0x4f7ffffe, v3
	v_cvt_u32_f32_e32 v3, v3
	s_delay_alu instid0(VALU_DEP_1) | instskip(NEXT) | instid1(VALU_DEP_1)
	v_mul_lo_u32 v5, s14, v3
	v_mul_hi_u32 v5, v3, v5
	s_delay_alu instid0(VALU_DEP_1) | instskip(NEXT) | instid1(VALU_DEP_1)
	v_add_nc_u32_e32 v3, v3, v5
	v_mul_hi_u32 v3, v17, v3
	s_delay_alu instid0(VALU_DEP_1) | instskip(NEXT) | instid1(VALU_DEP_1)
	v_mul_lo_u32 v5, v3, s51
	v_sub_nc_u32_e32 v5, v17, v5
	s_delay_alu instid0(VALU_DEP_1) | instskip(SKIP_1) | instid1(VALU_DEP_2)
	v_subrev_nc_u32_e32 v10, s51, v5
	v_cmp_le_u32_e32 vcc_lo, s51, v5
	v_dual_cndmask_b32 v5, v5, v10 :: v_dual_add_nc_u32 v8, 1, v3
	s_delay_alu instid0(VALU_DEP_1) | instskip(NEXT) | instid1(VALU_DEP_2)
	v_cndmask_b32_e32 v3, v3, v8, vcc_lo
	v_cmp_le_u32_e32 vcc_lo, s51, v5
	s_delay_alu instid0(VALU_DEP_2) | instskip(NEXT) | instid1(VALU_DEP_1)
	v_add_nc_u32_e32 v8, 1, v3
	v_cndmask_b32_e32 v19, v3, v8, vcc_lo
.LBB4_48:                               ;   in Loop: Header=BB4_24 Depth=2
	s_or_b32 exec_lo, exec_lo, s0
	s_add_u32 s20, s30, s18
	s_addc_u32 s21, s1, s19
	s_add_i32 s14, s16, 1
	s_mov_b32 s17, exec_lo
	s_lshl_b64 s[18:19], s[14:15], 2
                                        ; implicit-def: $vgpr21_vgpr22
	s_delay_alu instid0(SALU_CYCLE_1)
	s_add_u32 s22, s26, s18
	s_addc_u32 s23, s27, s19
	s_clause 0x1
	s_load_b32 s52, s[22:23], 0x0
	s_load_b32 s14, s[20:21], 0x0
	s_waitcnt lgkmcnt(0)
	s_ashr_i32 s0, s52, 31
	s_delay_alu instid0(SALU_CYCLE_1) | instskip(NEXT) | instid1(VALU_DEP_1)
	v_or_b32_e32 v3, s0, v20
	v_cmpx_ne_u64_e32 0, v[2:3]
	s_xor_b32 s17, exec_lo, s17
	s_cbranch_execz .LBB4_50
; %bb.49:                               ;   in Loop: Header=BB4_24 Depth=2
	s_add_u32 s22, s52, s0
	s_mov_b32 s20, s0
	s_mov_b32 s21, s0
	s_addc_u32 s23, s0, s0
	s_delay_alu instid0(SALU_CYCLE_1) | instskip(NEXT) | instid1(SALU_CYCLE_1)
	s_xor_b64 s[22:23], s[22:23], s[20:21]
	v_cvt_f32_u32_e32 v3, s22
	v_cvt_f32_u32_e32 v5, s23
	s_sub_u32 s0, 0, s22
	s_subb_u32 s53, 0, s23
	s_delay_alu instid0(VALU_DEP_1) | instskip(NEXT) | instid1(VALU_DEP_1)
	v_fmac_f32_e32 v3, 0x4f800000, v5
	v_rcp_f32_e32 v3, v3
	s_waitcnt_depctr 0xfff
	v_mul_f32_e32 v3, 0x5f7ffffc, v3
	s_delay_alu instid0(VALU_DEP_1) | instskip(NEXT) | instid1(VALU_DEP_1)
	v_mul_f32_e32 v5, 0x2f800000, v3
	v_trunc_f32_e32 v5, v5
	s_delay_alu instid0(VALU_DEP_1) | instskip(SKIP_1) | instid1(VALU_DEP_2)
	v_fmac_f32_e32 v3, 0xcf800000, v5
	v_cvt_u32_f32_e32 v5, v5
	v_cvt_u32_f32_e32 v3, v3
	s_delay_alu instid0(VALU_DEP_2) | instskip(NEXT) | instid1(VALU_DEP_2)
	v_mul_lo_u32 v8, s0, v5
	v_mul_hi_u32 v10, s0, v3
	v_mul_lo_u32 v12, s53, v3
	s_delay_alu instid0(VALU_DEP_2) | instskip(SKIP_1) | instid1(VALU_DEP_2)
	v_add_nc_u32_e32 v8, v10, v8
	v_mul_lo_u32 v10, s0, v3
	v_add_nc_u32_e32 v8, v8, v12
	s_delay_alu instid0(VALU_DEP_2) | instskip(NEXT) | instid1(VALU_DEP_2)
	v_mul_hi_u32 v12, v3, v10
	v_mul_lo_u32 v14, v3, v8
	v_mul_hi_u32 v16, v3, v8
	v_mul_hi_u32 v18, v5, v10
	v_mul_lo_u32 v10, v5, v10
	v_mul_hi_u32 v21, v5, v8
	v_mul_lo_u32 v8, v5, v8
	v_add_co_u32 v12, vcc_lo, v12, v14
	v_add_co_ci_u32_e32 v14, vcc_lo, 0, v16, vcc_lo
	s_delay_alu instid0(VALU_DEP_2) | instskip(NEXT) | instid1(VALU_DEP_2)
	v_add_co_u32 v10, vcc_lo, v12, v10
	v_add_co_ci_u32_e32 v10, vcc_lo, v14, v18, vcc_lo
	v_add_co_ci_u32_e32 v12, vcc_lo, 0, v21, vcc_lo
	v_ashrrev_i32_e32 v18, 31, v20
	s_delay_alu instid0(VALU_DEP_3) | instskip(NEXT) | instid1(VALU_DEP_3)
	v_add_co_u32 v8, vcc_lo, v10, v8
	v_add_co_ci_u32_e32 v10, vcc_lo, 0, v12, vcc_lo
	s_delay_alu instid0(VALU_DEP_2) | instskip(NEXT) | instid1(VALU_DEP_2)
	v_add_co_u32 v3, vcc_lo, v3, v8
	v_add_co_ci_u32_e32 v5, vcc_lo, v5, v10, vcc_lo
	s_delay_alu instid0(VALU_DEP_2) | instskip(SKIP_1) | instid1(VALU_DEP_3)
	v_mul_hi_u32 v8, s0, v3
	v_mul_lo_u32 v12, s53, v3
	v_mul_lo_u32 v10, s0, v5
	s_delay_alu instid0(VALU_DEP_1) | instskip(SKIP_1) | instid1(VALU_DEP_2)
	v_add_nc_u32_e32 v8, v8, v10
	v_mul_lo_u32 v10, s0, v3
	v_add_nc_u32_e32 v8, v8, v12
	s_delay_alu instid0(VALU_DEP_2) | instskip(NEXT) | instid1(VALU_DEP_2)
	v_mul_hi_u32 v12, v3, v10
	v_mul_lo_u32 v14, v3, v8
	v_mul_hi_u32 v16, v3, v8
	v_mul_hi_u32 v21, v5, v10
	v_mul_lo_u32 v10, v5, v10
	v_mul_hi_u32 v22, v5, v8
	v_mul_lo_u32 v8, v5, v8
	v_add_co_u32 v12, vcc_lo, v12, v14
	v_add_co_ci_u32_e32 v14, vcc_lo, 0, v16, vcc_lo
	s_delay_alu instid0(VALU_DEP_2) | instskip(NEXT) | instid1(VALU_DEP_2)
	v_add_co_u32 v10, vcc_lo, v12, v10
	v_add_co_ci_u32_e32 v10, vcc_lo, v14, v21, vcc_lo
	v_add_co_ci_u32_e32 v12, vcc_lo, 0, v22, vcc_lo
	v_add_co_u32 v14, vcc_lo, v19, v18
	v_add_co_ci_u32_e32 v16, vcc_lo, v20, v18, vcc_lo
	s_delay_alu instid0(VALU_DEP_4) | instskip(NEXT) | instid1(VALU_DEP_4)
	v_add_co_u32 v8, vcc_lo, v10, v8
	v_add_co_ci_u32_e32 v10, vcc_lo, 0, v12, vcc_lo
	s_delay_alu instid0(VALU_DEP_4) | instskip(NEXT) | instid1(VALU_DEP_3)
	v_xor_b32_e32 v12, v14, v18
	v_add_co_u32 v3, vcc_lo, v3, v8
	s_delay_alu instid0(VALU_DEP_3) | instskip(SKIP_1) | instid1(VALU_DEP_3)
	v_add_co_ci_u32_e32 v5, vcc_lo, v5, v10, vcc_lo
	v_xor_b32_e32 v8, v16, v18
	v_mul_hi_u32 v10, v12, v3
	s_delay_alu instid0(VALU_DEP_3) | instskip(NEXT) | instid1(VALU_DEP_3)
	v_mad_u64_u32 v[20:21], null, v12, v5, 0
	v_mad_u64_u32 v[22:23], null, v8, v3, 0
	;; [unrolled: 1-line block ×3, first 2 shown]
	s_delay_alu instid0(VALU_DEP_3) | instskip(NEXT) | instid1(VALU_DEP_4)
	v_add_co_u32 v3, vcc_lo, v10, v20
	v_add_co_ci_u32_e32 v5, vcc_lo, 0, v21, vcc_lo
	s_delay_alu instid0(VALU_DEP_2) | instskip(NEXT) | instid1(VALU_DEP_2)
	v_add_co_u32 v3, vcc_lo, v3, v22
	v_add_co_ci_u32_e32 v3, vcc_lo, v5, v23, vcc_lo
	v_add_co_ci_u32_e32 v5, vcc_lo, 0, v29, vcc_lo
	s_delay_alu instid0(VALU_DEP_2) | instskip(NEXT) | instid1(VALU_DEP_2)
	v_add_co_u32 v3, vcc_lo, v3, v28
	v_add_co_ci_u32_e32 v5, vcc_lo, 0, v5, vcc_lo
	s_delay_alu instid0(VALU_DEP_2) | instskip(SKIP_1) | instid1(VALU_DEP_3)
	v_mul_lo_u32 v10, s23, v3
	v_mad_u64_u32 v[20:21], null, s22, v3, 0
	v_mul_lo_u32 v14, s22, v5
	s_delay_alu instid0(VALU_DEP_2) | instskip(NEXT) | instid1(VALU_DEP_2)
	v_sub_co_u32 v12, vcc_lo, v12, v20
	v_add3_u32 v10, v21, v14, v10
	s_delay_alu instid0(VALU_DEP_1) | instskip(NEXT) | instid1(VALU_DEP_1)
	v_sub_nc_u32_e32 v14, v8, v10
	v_subrev_co_ci_u32_e64 v14, s0, s23, v14, vcc_lo
	v_add_co_u32 v16, s0, v3, 2
	s_delay_alu instid0(VALU_DEP_1) | instskip(SKIP_3) | instid1(VALU_DEP_3)
	v_add_co_ci_u32_e64 v20, s0, 0, v5, s0
	v_sub_co_u32 v21, s0, v12, s22
	v_sub_co_ci_u32_e32 v8, vcc_lo, v8, v10, vcc_lo
	v_subrev_co_ci_u32_e64 v14, s0, 0, v14, s0
	v_cmp_le_u32_e32 vcc_lo, s22, v21
	s_delay_alu instid0(VALU_DEP_3) | instskip(SKIP_1) | instid1(VALU_DEP_4)
	v_cmp_eq_u32_e64 s0, s23, v8
	v_cndmask_b32_e64 v10, 0, -1, vcc_lo
	v_cmp_le_u32_e32 vcc_lo, s23, v14
	v_cndmask_b32_e64 v21, 0, -1, vcc_lo
	v_cmp_le_u32_e32 vcc_lo, s22, v12
	;; [unrolled: 2-line block ×3, first 2 shown]
	v_cndmask_b32_e64 v22, 0, -1, vcc_lo
	v_cmp_eq_u32_e32 vcc_lo, s23, v14
	s_delay_alu instid0(VALU_DEP_2) | instskip(SKIP_3) | instid1(VALU_DEP_3)
	v_cndmask_b32_e64 v8, v22, v12, s0
	v_cndmask_b32_e32 v10, v21, v10, vcc_lo
	v_add_co_u32 v14, vcc_lo, v3, 1
	v_add_co_ci_u32_e32 v21, vcc_lo, 0, v5, vcc_lo
	v_cmp_ne_u32_e32 vcc_lo, 0, v10
	s_delay_alu instid0(VALU_DEP_2) | instskip(NEXT) | instid1(VALU_DEP_4)
	v_cndmask_b32_e32 v10, v21, v20, vcc_lo
	v_cndmask_b32_e32 v12, v14, v16, vcc_lo
	v_cmp_ne_u32_e32 vcc_lo, 0, v8
	v_xor_b32_e32 v8, s20, v18
	s_delay_alu instid0(VALU_DEP_4) | instskip(NEXT) | instid1(VALU_DEP_4)
	v_cndmask_b32_e32 v5, v5, v10, vcc_lo
	v_cndmask_b32_e32 v3, v3, v12, vcc_lo
	v_xor_b32_e32 v10, s21, v18
	s_delay_alu instid0(VALU_DEP_2) | instskip(NEXT) | instid1(VALU_DEP_2)
	v_xor_b32_e32 v3, v3, v8
	v_xor_b32_e32 v5, v5, v10
	s_delay_alu instid0(VALU_DEP_2) | instskip(NEXT) | instid1(VALU_DEP_2)
	v_sub_co_u32 v21, vcc_lo, v3, v8
	v_sub_co_ci_u32_e32 v22, vcc_lo, v5, v10, vcc_lo
.LBB4_50:                               ;   in Loop: Header=BB4_24 Depth=2
	s_and_not1_saveexec_b32 s0, s17
	s_cbranch_execz .LBB4_52
; %bb.51:                               ;   in Loop: Header=BB4_24 Depth=2
	v_cvt_f32_u32_e32 v3, s52
	s_sub_i32 s17, 0, s52
	v_mov_b32_e32 v22, v2
	s_delay_alu instid0(VALU_DEP_2) | instskip(SKIP_2) | instid1(VALU_DEP_1)
	v_rcp_iflag_f32_e32 v3, v3
	s_waitcnt_depctr 0xfff
	v_mul_f32_e32 v3, 0x4f7ffffe, v3
	v_cvt_u32_f32_e32 v3, v3
	s_delay_alu instid0(VALU_DEP_1) | instskip(NEXT) | instid1(VALU_DEP_1)
	v_mul_lo_u32 v5, s17, v3
	v_mul_hi_u32 v5, v3, v5
	s_delay_alu instid0(VALU_DEP_1) | instskip(NEXT) | instid1(VALU_DEP_1)
	v_add_nc_u32_e32 v3, v3, v5
	v_mul_hi_u32 v3, v19, v3
	s_delay_alu instid0(VALU_DEP_1) | instskip(NEXT) | instid1(VALU_DEP_1)
	v_mul_lo_u32 v5, v3, s52
	v_sub_nc_u32_e32 v5, v19, v5
	s_delay_alu instid0(VALU_DEP_1) | instskip(SKIP_1) | instid1(VALU_DEP_2)
	v_subrev_nc_u32_e32 v10, s52, v5
	v_cmp_le_u32_e32 vcc_lo, s52, v5
	v_dual_cndmask_b32 v5, v5, v10 :: v_dual_add_nc_u32 v8, 1, v3
	s_delay_alu instid0(VALU_DEP_1) | instskip(NEXT) | instid1(VALU_DEP_2)
	v_cndmask_b32_e32 v3, v3, v8, vcc_lo
	v_cmp_le_u32_e32 vcc_lo, s52, v5
	s_delay_alu instid0(VALU_DEP_2) | instskip(NEXT) | instid1(VALU_DEP_1)
	v_add_nc_u32_e32 v8, 1, v3
	v_cndmask_b32_e32 v21, v3, v8, vcc_lo
.LBB4_52:                               ;   in Loop: Header=BB4_24 Depth=2
	s_or_b32 exec_lo, exec_lo, s0
	s_mov_b32 s17, s15
	s_add_u32 s20, s30, s18
	s_addc_u32 s21, s1, s19
	s_lshl_b64 s[18:19], s[16:17], 2
                                        ; implicit-def: $vgpr23_vgpr24
	s_delay_alu instid0(SALU_CYCLE_1)
	s_add_u32 s22, s26, s18
	s_addc_u32 s23, s27, s19
	s_clause 0x1
	s_load_b32 s53, s[22:23], 0x0
	s_load_b32 s17, s[20:21], 0x0
	s_mov_b32 s20, exec_lo
	s_waitcnt lgkmcnt(0)
	s_ashr_i32 s0, s53, 31
	s_delay_alu instid0(SALU_CYCLE_1) | instskip(NEXT) | instid1(VALU_DEP_1)
	v_or_b32_e32 v3, s0, v22
	v_cmpx_ne_u64_e32 0, v[2:3]
	s_xor_b32 s54, exec_lo, s20
	s_cbranch_execz .LBB4_54
; %bb.53:                               ;   in Loop: Header=BB4_24 Depth=2
	s_add_u32 s22, s53, s0
	s_mov_b32 s20, s0
	s_mov_b32 s21, s0
	s_addc_u32 s23, s0, s0
	s_delay_alu instid0(SALU_CYCLE_1) | instskip(NEXT) | instid1(SALU_CYCLE_1)
	s_xor_b64 s[22:23], s[22:23], s[20:21]
	v_cvt_f32_u32_e32 v3, s22
	v_cvt_f32_u32_e32 v5, s23
	s_sub_u32 s0, 0, s22
	s_subb_u32 s55, 0, s23
	s_delay_alu instid0(VALU_DEP_1) | instskip(NEXT) | instid1(VALU_DEP_1)
	v_fmac_f32_e32 v3, 0x4f800000, v5
	v_rcp_f32_e32 v3, v3
	s_waitcnt_depctr 0xfff
	v_mul_f32_e32 v3, 0x5f7ffffc, v3
	s_delay_alu instid0(VALU_DEP_1) | instskip(NEXT) | instid1(VALU_DEP_1)
	v_mul_f32_e32 v5, 0x2f800000, v3
	v_trunc_f32_e32 v5, v5
	s_delay_alu instid0(VALU_DEP_1) | instskip(SKIP_1) | instid1(VALU_DEP_2)
	v_fmac_f32_e32 v3, 0xcf800000, v5
	v_cvt_u32_f32_e32 v5, v5
	v_cvt_u32_f32_e32 v3, v3
	s_delay_alu instid0(VALU_DEP_2) | instskip(NEXT) | instid1(VALU_DEP_2)
	v_mul_lo_u32 v8, s0, v5
	v_mul_hi_u32 v10, s0, v3
	v_mul_lo_u32 v12, s55, v3
	s_delay_alu instid0(VALU_DEP_2) | instskip(SKIP_1) | instid1(VALU_DEP_2)
	v_add_nc_u32_e32 v8, v10, v8
	v_mul_lo_u32 v10, s0, v3
	v_add_nc_u32_e32 v8, v8, v12
	s_delay_alu instid0(VALU_DEP_2) | instskip(NEXT) | instid1(VALU_DEP_2)
	v_mul_hi_u32 v12, v3, v10
	v_mul_lo_u32 v14, v3, v8
	v_mul_hi_u32 v16, v3, v8
	v_mul_hi_u32 v18, v5, v10
	v_mul_lo_u32 v10, v5, v10
	v_mul_hi_u32 v20, v5, v8
	v_mul_lo_u32 v8, v5, v8
	v_add_co_u32 v12, vcc_lo, v12, v14
	v_add_co_ci_u32_e32 v14, vcc_lo, 0, v16, vcc_lo
	s_delay_alu instid0(VALU_DEP_2) | instskip(NEXT) | instid1(VALU_DEP_2)
	v_add_co_u32 v10, vcc_lo, v12, v10
	v_add_co_ci_u32_e32 v10, vcc_lo, v14, v18, vcc_lo
	v_add_co_ci_u32_e32 v12, vcc_lo, 0, v20, vcc_lo
	v_ashrrev_i32_e32 v18, 31, v22
	s_delay_alu instid0(VALU_DEP_3) | instskip(NEXT) | instid1(VALU_DEP_3)
	v_add_co_u32 v8, vcc_lo, v10, v8
	v_add_co_ci_u32_e32 v10, vcc_lo, 0, v12, vcc_lo
	s_delay_alu instid0(VALU_DEP_2) | instskip(NEXT) | instid1(VALU_DEP_2)
	v_add_co_u32 v3, vcc_lo, v3, v8
	v_add_co_ci_u32_e32 v5, vcc_lo, v5, v10, vcc_lo
	s_delay_alu instid0(VALU_DEP_2) | instskip(SKIP_1) | instid1(VALU_DEP_3)
	v_mul_hi_u32 v8, s0, v3
	v_mul_lo_u32 v12, s55, v3
	v_mul_lo_u32 v10, s0, v5
	s_delay_alu instid0(VALU_DEP_1) | instskip(SKIP_1) | instid1(VALU_DEP_2)
	v_add_nc_u32_e32 v8, v8, v10
	v_mul_lo_u32 v10, s0, v3
	v_add_nc_u32_e32 v8, v8, v12
	s_delay_alu instid0(VALU_DEP_2) | instskip(NEXT) | instid1(VALU_DEP_2)
	v_mul_hi_u32 v12, v3, v10
	v_mul_lo_u32 v14, v3, v8
	v_mul_hi_u32 v16, v3, v8
	v_mul_hi_u32 v20, v5, v10
	v_mul_lo_u32 v10, v5, v10
	v_mul_hi_u32 v23, v5, v8
	v_mul_lo_u32 v8, v5, v8
	v_add_co_u32 v12, vcc_lo, v12, v14
	v_add_co_ci_u32_e32 v14, vcc_lo, 0, v16, vcc_lo
	s_delay_alu instid0(VALU_DEP_2) | instskip(NEXT) | instid1(VALU_DEP_2)
	v_add_co_u32 v10, vcc_lo, v12, v10
	v_add_co_ci_u32_e32 v10, vcc_lo, v14, v20, vcc_lo
	v_add_co_ci_u32_e32 v12, vcc_lo, 0, v23, vcc_lo
	v_add_co_u32 v14, vcc_lo, v21, v18
	v_add_co_ci_u32_e32 v16, vcc_lo, v22, v18, vcc_lo
	s_delay_alu instid0(VALU_DEP_4) | instskip(NEXT) | instid1(VALU_DEP_4)
	v_add_co_u32 v8, vcc_lo, v10, v8
	v_add_co_ci_u32_e32 v10, vcc_lo, 0, v12, vcc_lo
	s_delay_alu instid0(VALU_DEP_4) | instskip(NEXT) | instid1(VALU_DEP_3)
	v_xor_b32_e32 v12, v14, v18
	v_add_co_u32 v3, vcc_lo, v3, v8
	s_delay_alu instid0(VALU_DEP_3) | instskip(SKIP_1) | instid1(VALU_DEP_3)
	v_add_co_ci_u32_e32 v5, vcc_lo, v5, v10, vcc_lo
	v_xor_b32_e32 v8, v16, v18
	v_mul_hi_u32 v10, v12, v3
	s_delay_alu instid0(VALU_DEP_3) | instskip(NEXT) | instid1(VALU_DEP_3)
	v_mad_u64_u32 v[22:23], null, v12, v5, 0
	v_mad_u64_u32 v[28:29], null, v8, v3, 0
	;; [unrolled: 1-line block ×3, first 2 shown]
	s_delay_alu instid0(VALU_DEP_3) | instskip(NEXT) | instid1(VALU_DEP_4)
	v_add_co_u32 v3, vcc_lo, v10, v22
	v_add_co_ci_u32_e32 v5, vcc_lo, 0, v23, vcc_lo
	s_delay_alu instid0(VALU_DEP_2) | instskip(NEXT) | instid1(VALU_DEP_2)
	v_add_co_u32 v3, vcc_lo, v3, v28
	v_add_co_ci_u32_e32 v3, vcc_lo, v5, v29, vcc_lo
	v_add_co_ci_u32_e32 v5, vcc_lo, 0, v31, vcc_lo
	s_delay_alu instid0(VALU_DEP_2) | instskip(NEXT) | instid1(VALU_DEP_2)
	v_add_co_u32 v3, vcc_lo, v3, v30
	v_add_co_ci_u32_e32 v5, vcc_lo, 0, v5, vcc_lo
	s_delay_alu instid0(VALU_DEP_2) | instskip(SKIP_1) | instid1(VALU_DEP_3)
	v_mul_lo_u32 v10, s23, v3
	v_mad_u64_u32 v[22:23], null, s22, v3, 0
	v_mul_lo_u32 v14, s22, v5
	s_delay_alu instid0(VALU_DEP_2) | instskip(NEXT) | instid1(VALU_DEP_2)
	v_sub_co_u32 v12, vcc_lo, v12, v22
	v_add3_u32 v10, v23, v14, v10
	s_delay_alu instid0(VALU_DEP_1) | instskip(NEXT) | instid1(VALU_DEP_1)
	v_sub_nc_u32_e32 v14, v8, v10
	v_subrev_co_ci_u32_e64 v14, s0, s23, v14, vcc_lo
	v_add_co_u32 v16, s0, v3, 2
	s_delay_alu instid0(VALU_DEP_1) | instskip(SKIP_3) | instid1(VALU_DEP_3)
	v_add_co_ci_u32_e64 v20, s0, 0, v5, s0
	v_sub_co_u32 v22, s0, v12, s22
	v_sub_co_ci_u32_e32 v8, vcc_lo, v8, v10, vcc_lo
	v_subrev_co_ci_u32_e64 v14, s0, 0, v14, s0
	v_cmp_le_u32_e32 vcc_lo, s22, v22
	s_delay_alu instid0(VALU_DEP_3) | instskip(SKIP_1) | instid1(VALU_DEP_4)
	v_cmp_eq_u32_e64 s0, s23, v8
	v_cndmask_b32_e64 v10, 0, -1, vcc_lo
	v_cmp_le_u32_e32 vcc_lo, s23, v14
	v_cndmask_b32_e64 v22, 0, -1, vcc_lo
	v_cmp_le_u32_e32 vcc_lo, s22, v12
	;; [unrolled: 2-line block ×3, first 2 shown]
	v_cndmask_b32_e64 v23, 0, -1, vcc_lo
	v_cmp_eq_u32_e32 vcc_lo, s23, v14
	s_delay_alu instid0(VALU_DEP_2) | instskip(SKIP_3) | instid1(VALU_DEP_3)
	v_cndmask_b32_e64 v8, v23, v12, s0
	v_cndmask_b32_e32 v10, v22, v10, vcc_lo
	v_add_co_u32 v14, vcc_lo, v3, 1
	v_add_co_ci_u32_e32 v22, vcc_lo, 0, v5, vcc_lo
	v_cmp_ne_u32_e32 vcc_lo, 0, v10
	s_delay_alu instid0(VALU_DEP_2) | instskip(NEXT) | instid1(VALU_DEP_4)
	v_cndmask_b32_e32 v10, v22, v20, vcc_lo
	v_cndmask_b32_e32 v12, v14, v16, vcc_lo
	v_cmp_ne_u32_e32 vcc_lo, 0, v8
	v_xor_b32_e32 v8, s20, v18
	s_delay_alu instid0(VALU_DEP_4) | instskip(NEXT) | instid1(VALU_DEP_4)
	v_cndmask_b32_e32 v5, v5, v10, vcc_lo
	v_cndmask_b32_e32 v3, v3, v12, vcc_lo
	v_xor_b32_e32 v10, s21, v18
	s_delay_alu instid0(VALU_DEP_2) | instskip(NEXT) | instid1(VALU_DEP_2)
	v_xor_b32_e32 v3, v3, v8
	v_xor_b32_e32 v5, v5, v10
	s_delay_alu instid0(VALU_DEP_2) | instskip(NEXT) | instid1(VALU_DEP_2)
	v_sub_co_u32 v23, vcc_lo, v3, v8
	v_sub_co_ci_u32_e32 v24, vcc_lo, v5, v10, vcc_lo
.LBB4_54:                               ;   in Loop: Header=BB4_24 Depth=2
	s_and_not1_saveexec_b32 s0, s54
	s_cbranch_execz .LBB4_56
; %bb.55:                               ;   in Loop: Header=BB4_24 Depth=2
	v_cvt_f32_u32_e32 v3, s53
	s_sub_i32 s20, 0, s53
	v_mov_b32_e32 v24, v2
	s_delay_alu instid0(VALU_DEP_2) | instskip(SKIP_2) | instid1(VALU_DEP_1)
	v_rcp_iflag_f32_e32 v3, v3
	s_waitcnt_depctr 0xfff
	v_mul_f32_e32 v3, 0x4f7ffffe, v3
	v_cvt_u32_f32_e32 v3, v3
	s_delay_alu instid0(VALU_DEP_1) | instskip(NEXT) | instid1(VALU_DEP_1)
	v_mul_lo_u32 v5, s20, v3
	v_mul_hi_u32 v5, v3, v5
	s_delay_alu instid0(VALU_DEP_1) | instskip(NEXT) | instid1(VALU_DEP_1)
	v_add_nc_u32_e32 v3, v3, v5
	v_mul_hi_u32 v3, v21, v3
	s_delay_alu instid0(VALU_DEP_1) | instskip(NEXT) | instid1(VALU_DEP_1)
	v_mul_lo_u32 v5, v3, s53
	v_sub_nc_u32_e32 v5, v21, v5
	s_delay_alu instid0(VALU_DEP_1) | instskip(SKIP_1) | instid1(VALU_DEP_2)
	v_subrev_nc_u32_e32 v10, s53, v5
	v_cmp_le_u32_e32 vcc_lo, s53, v5
	v_dual_cndmask_b32 v5, v5, v10 :: v_dual_add_nc_u32 v8, 1, v3
	s_delay_alu instid0(VALU_DEP_1) | instskip(NEXT) | instid1(VALU_DEP_2)
	v_cndmask_b32_e32 v3, v3, v8, vcc_lo
	v_cmp_le_u32_e32 vcc_lo, s53, v5
	s_delay_alu instid0(VALU_DEP_2) | instskip(NEXT) | instid1(VALU_DEP_1)
	v_add_nc_u32_e32 v8, 1, v3
	v_cndmask_b32_e32 v23, v3, v8, vcc_lo
.LBB4_56:                               ;   in Loop: Header=BB4_24 Depth=2
	s_or_b32 exec_lo, exec_lo, s0
	v_mul_lo_u32 v3, v9, s41
	v_mul_lo_u32 v5, v11, s43
	;; [unrolled: 1-line block ×4, first 2 shown]
	s_add_u32 s18, s30, s18
	s_addc_u32 s19, s1, s19
	v_mul_lo_u32 v12, v17, s49
	s_load_b32 s0, s[18:19], 0x0
	v_sub_nc_u32_e32 v3, v7, v3
	v_sub_nc_u32_e32 v5, v9, v5
	v_mul_lo_u32 v7, v19, s51
	v_sub_nc_u32_e32 v8, v11, v8
	v_sub_nc_u32_e32 v10, v13, v10
	v_mul_lo_u32 v3, s42, v3
	v_mul_lo_u32 v5, s44, v5
	;; [unrolled: 1-line block ×4, first 2 shown]
	v_sub_nc_u32_e32 v12, v15, v12
	v_sub_nc_u32_e32 v7, v17, v7
	v_mul_lo_u32 v8, s46, v8
	v_mul_lo_u32 v10, s48, v10
	s_add_i32 s16, s16, -8
	v_add3_u32 v3, v3, v4, v5
	v_mul_lo_u32 v4, s50, v12
	v_sub_nc_u32_e32 v5, v19, v9
	v_sub_nc_u32_e32 v9, v21, v11
	v_mul_lo_u32 v7, s14, v7
	s_cmp_eq_u32 s16, -8
	v_add3_u32 v3, v8, v3, v10
	v_mul_lo_u32 v5, s17, v5
	s_waitcnt lgkmcnt(0)
	v_mul_lo_u32 v8, s0, v9
	s_delay_alu instid0(VALU_DEP_3) | instskip(NEXT) | instid1(VALU_DEP_1)
	v_add3_u32 v3, v4, v3, v7
	v_add3_u32 v4, v5, v3, v8
	s_cbranch_scc1 .LBB4_58
; %bb.57:                               ;   in Loop: Header=BB4_24 Depth=2
	v_dual_mov_b32 v7, v23 :: v_dual_mov_b32 v8, v24
	s_branch .LBB4_24
.LBB4_58:                               ;   in Loop: Header=BB4_3 Depth=1
	s_load_b32 s0, s[12:13], 0x0
	s_waitcnt lgkmcnt(0)
	v_cmp_gt_i32_e32 vcc_lo, s0, v27
	s_and_b32 exec_lo, exec_lo, vcc_lo
	s_cbranch_execz .LBB4_2
; %bb.59:                               ;   in Loop: Header=BB4_3 Depth=1
	v_ashrrev_i32_e32 v7, 31, v6
	s_mov_b32 s14, exec_lo
	s_delay_alu instid0(VALU_DEP_1)
	v_cmpx_lt_i64_e64 s[4:5], v[6:7]
	s_cbranch_execz .LBB4_61
; %bb.60:                               ;   in Loop: Header=BB4_3 Depth=1
	v_ashrrev_i32_e32 v3, 31, v4
	v_add_co_u32 v5, vcc_lo, s2, v4
	s_delay_alu instid0(VALU_DEP_2)
	v_add_co_ci_u32_e32 v6, vcc_lo, s3, v3, vcc_lo
	global_store_b8 v[5:6], v2, off
.LBB4_61:                               ;   in Loop: Header=BB4_3 Depth=1
	s_or_b32 exec_lo, exec_lo, s14
	v_add_nc_u32_e32 v3, 1, v27
	s_delay_alu instid0(VALU_DEP_1)
	v_cmp_gt_i32_e32 vcc_lo, s0, v3
	s_and_b32 exec_lo, exec_lo, vcc_lo
	s_cbranch_execz .LBB4_2
; %bb.62:                               ;   in Loop: Header=BB4_3 Depth=1
	v_sub_nc_u32_e32 v5, v3, v26
	s_mov_b32 s14, exec_lo
	s_delay_alu instid0(VALU_DEP_1) | instskip(NEXT) | instid1(VALU_DEP_1)
	v_ashrrev_i32_e32 v6, 31, v5
	v_cmpx_lt_i64_e64 s[4:5], v[5:6]
	s_cbranch_execz .LBB4_64
; %bb.63:                               ;   in Loop: Header=BB4_3 Depth=1
	v_add_nc_u32_e32 v3, s40, v4
	s_delay_alu instid0(VALU_DEP_1) | instskip(SKIP_1) | instid1(VALU_DEP_2)
	v_ashrrev_i32_e32 v6, 31, v3
	v_add_co_u32 v5, vcc_lo, s2, v3
	v_add_co_ci_u32_e32 v6, vcc_lo, s3, v6, vcc_lo
	global_store_b8 v[5:6], v2, off
.LBB4_64:                               ;   in Loop: Header=BB4_3 Depth=1
	s_or_b32 exec_lo, exec_lo, s14
	v_add_nc_u32_e32 v3, 2, v27
	s_delay_alu instid0(VALU_DEP_1)
	v_cmp_gt_i32_e32 vcc_lo, s0, v3
	s_and_b32 exec_lo, exec_lo, vcc_lo
	s_cbranch_execz .LBB4_2
; %bb.65:                               ;   in Loop: Header=BB4_3 Depth=1
	v_sub_nc_u32_e32 v5, v3, v26
	s_mov_b32 s14, exec_lo
	s_delay_alu instid0(VALU_DEP_1) | instskip(NEXT) | instid1(VALU_DEP_1)
	v_ashrrev_i32_e32 v6, 31, v5
	v_cmpx_lt_i64_e64 s[4:5], v[5:6]
	s_cbranch_execz .LBB4_67
; %bb.66:                               ;   in Loop: Header=BB4_3 Depth=1
	v_lshl_add_u32 v3, s40, 1, v4
	s_delay_alu instid0(VALU_DEP_1) | instskip(SKIP_1) | instid1(VALU_DEP_2)
	v_ashrrev_i32_e32 v6, 31, v3
	v_add_co_u32 v5, vcc_lo, s2, v3
	v_add_co_ci_u32_e32 v6, vcc_lo, s3, v6, vcc_lo
	global_store_b8 v[5:6], v2, off
.LBB4_67:                               ;   in Loop: Header=BB4_3 Depth=1
	s_or_b32 exec_lo, exec_lo, s14
	v_add_nc_u32_e32 v3, 3, v27
	s_delay_alu instid0(VALU_DEP_1)
	v_cmp_gt_i32_e32 vcc_lo, s0, v3
	s_and_b32 exec_lo, exec_lo, vcc_lo
	s_cbranch_execz .LBB4_2
; %bb.68:                               ;   in Loop: Header=BB4_3 Depth=1
	v_sub_nc_u32_e32 v5, v3, v26
	s_delay_alu instid0(VALU_DEP_1) | instskip(NEXT) | instid1(VALU_DEP_1)
	v_ashrrev_i32_e32 v6, 31, v5
	v_cmp_lt_i64_e32 vcc_lo, s[4:5], v[5:6]
	s_and_b32 exec_lo, exec_lo, vcc_lo
	s_cbranch_execz .LBB4_2
; %bb.69:                               ;   in Loop: Header=BB4_3 Depth=1
	v_mad_u64_u32 v[5:6], null, s40, 3, v[4:5]
	s_delay_alu instid0(VALU_DEP_1) | instskip(SKIP_1) | instid1(VALU_DEP_2)
	v_ashrrev_i32_e32 v4, 31, v5
	v_add_co_u32 v3, vcc_lo, s2, v5
	v_add_co_ci_u32_e32 v4, vcc_lo, s3, v4, vcc_lo
	global_store_b8 v[3:4], v2, off
	s_branch .LBB4_2
.LBB4_70:
	s_nop 0
	s_sendmsg sendmsg(MSG_DEALLOC_VGPRS)
	s_endpgm
	.section	.rodata,"a",@progbits
	.p2align	6, 0x0
	.amdhsa_kernel _ZN2at6native16triu_tril_kernelIaiLb0ELi4ELb1EEEvNS_4cuda6detail10TensorInfoIT_T0_EENS4_IKS5_S6_EEllS6_
		.amdhsa_group_segment_fixed_size 0
		.amdhsa_private_segment_fixed_size 0
		.amdhsa_kernarg_size 712
		.amdhsa_user_sgpr_count 15
		.amdhsa_user_sgpr_dispatch_ptr 0
		.amdhsa_user_sgpr_queue_ptr 0
		.amdhsa_user_sgpr_kernarg_segment_ptr 1
		.amdhsa_user_sgpr_dispatch_id 0
		.amdhsa_user_sgpr_private_segment_size 0
		.amdhsa_wavefront_size32 1
		.amdhsa_uses_dynamic_stack 0
		.amdhsa_enable_private_segment 0
		.amdhsa_system_sgpr_workgroup_id_x 1
		.amdhsa_system_sgpr_workgroup_id_y 0
		.amdhsa_system_sgpr_workgroup_id_z 0
		.amdhsa_system_sgpr_workgroup_info 0
		.amdhsa_system_vgpr_workitem_id 0
		.amdhsa_next_free_vgpr 32
		.amdhsa_next_free_sgpr 56
		.amdhsa_reserve_vcc 1
		.amdhsa_float_round_mode_32 0
		.amdhsa_float_round_mode_16_64 0
		.amdhsa_float_denorm_mode_32 3
		.amdhsa_float_denorm_mode_16_64 3
		.amdhsa_dx10_clamp 1
		.amdhsa_ieee_mode 1
		.amdhsa_fp16_overflow 0
		.amdhsa_workgroup_processor_mode 1
		.amdhsa_memory_ordered 1
		.amdhsa_forward_progress 0
		.amdhsa_shared_vgpr_count 0
		.amdhsa_exception_fp_ieee_invalid_op 0
		.amdhsa_exception_fp_denorm_src 0
		.amdhsa_exception_fp_ieee_div_zero 0
		.amdhsa_exception_fp_ieee_overflow 0
		.amdhsa_exception_fp_ieee_underflow 0
		.amdhsa_exception_fp_ieee_inexact 0
		.amdhsa_exception_int_div_zero 0
	.end_amdhsa_kernel
	.section	.text._ZN2at6native16triu_tril_kernelIaiLb0ELi4ELb1EEEvNS_4cuda6detail10TensorInfoIT_T0_EENS4_IKS5_S6_EEllS6_,"axG",@progbits,_ZN2at6native16triu_tril_kernelIaiLb0ELi4ELb1EEEvNS_4cuda6detail10TensorInfoIT_T0_EENS4_IKS5_S6_EEllS6_,comdat
.Lfunc_end4:
	.size	_ZN2at6native16triu_tril_kernelIaiLb0ELi4ELb1EEEvNS_4cuda6detail10TensorInfoIT_T0_EENS4_IKS5_S6_EEllS6_, .Lfunc_end4-_ZN2at6native16triu_tril_kernelIaiLb0ELi4ELb1EEEvNS_4cuda6detail10TensorInfoIT_T0_EENS4_IKS5_S6_EEllS6_
                                        ; -- End function
	.section	.AMDGPU.csdata,"",@progbits
; Kernel info:
; codeLenInByte = 12568
; NumSgprs: 58
; NumVgprs: 32
; ScratchSize: 0
; MemoryBound: 0
; FloatMode: 240
; IeeeMode: 1
; LDSByteSize: 0 bytes/workgroup (compile time only)
; SGPRBlocks: 7
; VGPRBlocks: 3
; NumSGPRsForWavesPerEU: 58
; NumVGPRsForWavesPerEU: 32
; Occupancy: 16
; WaveLimiterHint : 0
; COMPUTE_PGM_RSRC2:SCRATCH_EN: 0
; COMPUTE_PGM_RSRC2:USER_SGPR: 15
; COMPUTE_PGM_RSRC2:TRAP_HANDLER: 0
; COMPUTE_PGM_RSRC2:TGID_X_EN: 1
; COMPUTE_PGM_RSRC2:TGID_Y_EN: 0
; COMPUTE_PGM_RSRC2:TGID_Z_EN: 0
; COMPUTE_PGM_RSRC2:TIDIG_COMP_CNT: 0
	.section	.text._ZN2at6native16triu_tril_kernelIaiLb0ELi4ELb0EEEvNS_4cuda6detail10TensorInfoIT_T0_EENS4_IKS5_S6_EEllS6_,"axG",@progbits,_ZN2at6native16triu_tril_kernelIaiLb0ELi4ELb0EEEvNS_4cuda6detail10TensorInfoIT_T0_EENS4_IKS5_S6_EEllS6_,comdat
	.protected	_ZN2at6native16triu_tril_kernelIaiLb0ELi4ELb0EEEvNS_4cuda6detail10TensorInfoIT_T0_EENS4_IKS5_S6_EEllS6_ ; -- Begin function _ZN2at6native16triu_tril_kernelIaiLb0ELi4ELb0EEEvNS_4cuda6detail10TensorInfoIT_T0_EENS4_IKS5_S6_EEllS6_
	.globl	_ZN2at6native16triu_tril_kernelIaiLb0ELi4ELb0EEEvNS_4cuda6detail10TensorInfoIT_T0_EENS4_IKS5_S6_EEllS6_
	.p2align	8
	.type	_ZN2at6native16triu_tril_kernelIaiLb0ELi4ELb0EEEvNS_4cuda6detail10TensorInfoIT_T0_EENS4_IKS5_S6_EEllS6_,@function
_ZN2at6native16triu_tril_kernelIaiLb0ELi4ELb0EEEvNS_4cuda6detail10TensorInfoIT_T0_EENS4_IKS5_S6_EEllS6_: ; @_ZN2at6native16triu_tril_kernelIaiLb0ELi4ELb0EEEvNS_4cuda6detail10TensorInfoIT_T0_EENS4_IKS5_S6_EEllS6_
; %bb.0:
	s_clause 0x1
	s_load_b32 s2, s[0:1], 0x1d4
	s_load_b128 s[4:7], s[0:1], 0x1b0
	v_mov_b32_e32 v2, 0
	s_add_u32 s8, s0, 0x1c8
	s_addc_u32 s9, s1, 0
	s_delay_alu instid0(VALU_DEP_1) | instskip(SKIP_3) | instid1(VALU_DEP_1)
	v_mov_b32_e32 v1, v2
	s_waitcnt lgkmcnt(0)
	s_and_b32 s10, s2, 0xffff
	s_mov_b32 s2, exec_lo
	v_mad_u64_u32 v[3:4], null, s10, s15, v[0:1]
	s_delay_alu instid0(VALU_DEP_1) | instskip(NEXT) | instid1(VALU_DEP_1)
	v_lshlrev_b64 v[0:1], 2, v[3:4]
	v_cmpx_gt_i64_e64 s[6:7], v[0:1]
	s_cbranch_execz .LBB5_55
; %bb.1:
	s_clause 0x1
	s_load_b32 s16, s[0:1], 0x1a8
	s_load_b32 s26, s[0:1], 0x1c0
	s_add_u32 s27, s0, 0xd8
	s_addc_u32 s28, s1, 0
	s_load_b32 s11, s[8:9], 0x0
	s_load_b64 s[2:3], s[0:1], 0xd8
	s_mov_b32 s41, 0
	s_waitcnt lgkmcnt(0)
	s_ashr_i32 s17, s16, 31
	s_ashr_i32 s29, s26, 31
	s_lshl_b64 s[8:9], s[16:17], 2
	v_cvt_f32_u32_e32 v3, s26
	s_add_u32 s14, s8, -8
	s_addc_u32 s15, s9, -1
	s_add_u32 s12, s27, s14
	s_addc_u32 s13, s28, s15
	v_rcp_iflag_f32_e32 v3, v3
	s_load_b64 s[8:9], s[12:13], 0x8
	s_mul_i32 s18, s11, s10
	s_load_b64 s[10:11], s[12:13], 0x6c
	s_waitcnt_depctr 0xfff
	v_mul_f32_e32 v3, 0x4f7ffffe, v3
	s_delay_alu instid0(VALU_DEP_1)
	v_cvt_u32_f32_e32 v3, v3
	s_waitcnt lgkmcnt(0)
	s_ashr_i32 s30, s8, 31
	s_add_u32 s31, s0, 0x6c
	s_addc_u32 s33, s1, 0
	s_add_u32 s12, s31, s14
	s_addc_u32 s13, s33, s15
	s_and_b32 s35, s16, 3
	s_add_i32 s34, s16, -3
	s_lshl_b32 s36, s18, 2
	s_cmp_lg_u32 s35, 2
	s_load_b64 s[12:13], s[12:13], 0x0
	s_cselect_b32 s37, -1, 0
	s_cmp_gt_u32 s34, 2
	s_cselect_b32 s38, -1, 0
	s_sub_i32 s14, 0, s26
	s_ashr_i32 s39, s11, 31
	v_mul_lo_u32 v4, s14, v3
	s_load_b64 s[14:15], s[0:1], 0x0
	v_cmp_gt_i64_e64 s1, s[16:17], 2
	s_mov_b32 s17, 0
	s_delay_alu instid0(VALU_DEP_2) | instskip(SKIP_2) | instid1(VALU_DEP_1)
	v_mul_hi_u32 v4, v3, v4
	s_waitcnt lgkmcnt(0)
	s_ashr_i32 s40, s13, 31
	v_add_nc_u32_e32 v18, v3, v4
	s_branch .LBB5_3
.LBB5_2:                                ;   in Loop: Header=BB5_3 Depth=1
	s_or_b32 exec_lo, exec_lo, s0
	v_add_co_u32 v0, vcc_lo, v0, s36
	v_add_co_ci_u32_e32 v1, vcc_lo, 0, v1, vcc_lo
	s_delay_alu instid0(VALU_DEP_1) | instskip(SKIP_1) | instid1(SALU_CYCLE_1)
	v_cmp_le_i64_e32 vcc_lo, s[6:7], v[0:1]
	s_or_b32 s41, vcc_lo, s41
	s_and_not1_b32 exec_lo, exec_lo, s41
	s_cbranch_execz .LBB5_55
.LBB5_3:                                ; =>This Loop Header: Depth=1
                                        ;     Child Loop BB5_14 Depth 2
                                        ;     Child Loop BB5_22 Depth 2
	v_or_b32_e32 v3, s29, v1
                                        ; implicit-def: $vgpr4_vgpr5
	s_mov_b32 s0, exec_lo
	s_delay_alu instid0(VALU_DEP_1)
	v_cmpx_ne_u64_e32 0, v[2:3]
	s_xor_b32 s16, exec_lo, s0
	s_cbranch_execz .LBB5_5
; %bb.4:                                ;   in Loop: Header=BB5_3 Depth=1
	s_add_u32 s20, s26, s29
	s_mov_b32 s18, s29
	s_mov_b32 s19, s29
	s_addc_u32 s21, s29, s29
	s_delay_alu instid0(SALU_CYCLE_1) | instskip(NEXT) | instid1(SALU_CYCLE_1)
	s_xor_b64 s[20:21], s[20:21], s[18:19]
	v_cvt_f32_u32_e32 v3, s20
	v_cvt_f32_u32_e32 v4, s21
	s_sub_u32 s0, 0, s20
	s_subb_u32 s22, 0, s21
	s_delay_alu instid0(VALU_DEP_1) | instskip(NEXT) | instid1(VALU_DEP_1)
	v_fmac_f32_e32 v3, 0x4f800000, v4
	v_rcp_f32_e32 v3, v3
	s_waitcnt_depctr 0xfff
	v_mul_f32_e32 v3, 0x5f7ffffc, v3
	s_delay_alu instid0(VALU_DEP_1) | instskip(NEXT) | instid1(VALU_DEP_1)
	v_mul_f32_e32 v4, 0x2f800000, v3
	v_trunc_f32_e32 v4, v4
	s_delay_alu instid0(VALU_DEP_1) | instskip(SKIP_1) | instid1(VALU_DEP_2)
	v_fmac_f32_e32 v3, 0xcf800000, v4
	v_cvt_u32_f32_e32 v4, v4
	v_cvt_u32_f32_e32 v3, v3
	s_delay_alu instid0(VALU_DEP_2) | instskip(NEXT) | instid1(VALU_DEP_2)
	v_mul_lo_u32 v5, s0, v4
	v_mul_hi_u32 v6, s0, v3
	v_mul_lo_u32 v7, s22, v3
	s_delay_alu instid0(VALU_DEP_2) | instskip(SKIP_1) | instid1(VALU_DEP_2)
	v_add_nc_u32_e32 v5, v6, v5
	v_mul_lo_u32 v6, s0, v3
	v_add_nc_u32_e32 v5, v5, v7
	s_delay_alu instid0(VALU_DEP_2) | instskip(NEXT) | instid1(VALU_DEP_2)
	v_mul_hi_u32 v7, v3, v6
	v_mul_lo_u32 v8, v3, v5
	v_mul_hi_u32 v9, v3, v5
	v_mul_hi_u32 v10, v4, v6
	v_mul_lo_u32 v6, v4, v6
	v_mul_hi_u32 v11, v4, v5
	v_mul_lo_u32 v5, v4, v5
	v_add_co_u32 v7, vcc_lo, v7, v8
	v_add_co_ci_u32_e32 v8, vcc_lo, 0, v9, vcc_lo
	s_delay_alu instid0(VALU_DEP_2) | instskip(NEXT) | instid1(VALU_DEP_2)
	v_add_co_u32 v6, vcc_lo, v7, v6
	v_add_co_ci_u32_e32 v6, vcc_lo, v8, v10, vcc_lo
	v_add_co_ci_u32_e32 v7, vcc_lo, 0, v11, vcc_lo
	v_ashrrev_i32_e32 v10, 31, v1
	s_delay_alu instid0(VALU_DEP_3) | instskip(NEXT) | instid1(VALU_DEP_3)
	v_add_co_u32 v5, vcc_lo, v6, v5
	v_add_co_ci_u32_e32 v6, vcc_lo, 0, v7, vcc_lo
	s_delay_alu instid0(VALU_DEP_2) | instskip(NEXT) | instid1(VALU_DEP_2)
	v_add_co_u32 v3, vcc_lo, v3, v5
	v_add_co_ci_u32_e32 v4, vcc_lo, v4, v6, vcc_lo
	s_delay_alu instid0(VALU_DEP_2) | instskip(SKIP_1) | instid1(VALU_DEP_3)
	v_mul_hi_u32 v5, s0, v3
	v_mul_lo_u32 v7, s22, v3
	v_mul_lo_u32 v6, s0, v4
	s_delay_alu instid0(VALU_DEP_1) | instskip(SKIP_1) | instid1(VALU_DEP_2)
	v_add_nc_u32_e32 v5, v5, v6
	v_mul_lo_u32 v6, s0, v3
	v_add_nc_u32_e32 v5, v5, v7
	s_delay_alu instid0(VALU_DEP_2) | instskip(NEXT) | instid1(VALU_DEP_2)
	v_mul_hi_u32 v7, v3, v6
	v_mul_lo_u32 v8, v3, v5
	v_mul_hi_u32 v9, v3, v5
	v_mul_hi_u32 v11, v4, v6
	v_mul_lo_u32 v6, v4, v6
	v_mul_hi_u32 v12, v4, v5
	v_mul_lo_u32 v5, v4, v5
	v_add_co_u32 v7, vcc_lo, v7, v8
	v_add_co_ci_u32_e32 v8, vcc_lo, 0, v9, vcc_lo
	s_delay_alu instid0(VALU_DEP_2) | instskip(NEXT) | instid1(VALU_DEP_2)
	v_add_co_u32 v6, vcc_lo, v7, v6
	v_add_co_ci_u32_e32 v6, vcc_lo, v8, v11, vcc_lo
	v_add_co_ci_u32_e32 v7, vcc_lo, 0, v12, vcc_lo
	v_add_co_u32 v8, vcc_lo, v0, v10
	v_add_co_ci_u32_e32 v9, vcc_lo, v1, v10, vcc_lo
	s_delay_alu instid0(VALU_DEP_4) | instskip(NEXT) | instid1(VALU_DEP_4)
	v_add_co_u32 v5, vcc_lo, v6, v5
	v_add_co_ci_u32_e32 v6, vcc_lo, 0, v7, vcc_lo
	s_delay_alu instid0(VALU_DEP_4) | instskip(NEXT) | instid1(VALU_DEP_3)
	v_xor_b32_e32 v11, v8, v10
	v_add_co_u32 v7, vcc_lo, v3, v5
	s_delay_alu instid0(VALU_DEP_3) | instskip(SKIP_1) | instid1(VALU_DEP_3)
	v_add_co_ci_u32_e32 v12, vcc_lo, v4, v6, vcc_lo
	v_xor_b32_e32 v9, v9, v10
	v_mul_hi_u32 v13, v11, v7
	s_delay_alu instid0(VALU_DEP_3) | instskip(NEXT) | instid1(VALU_DEP_3)
	v_mad_u64_u32 v[3:4], null, v11, v12, 0
	v_mad_u64_u32 v[5:6], null, v9, v7, 0
	v_mad_u64_u32 v[7:8], null, v9, v12, 0
	s_delay_alu instid0(VALU_DEP_3) | instskip(NEXT) | instid1(VALU_DEP_4)
	v_add_co_u32 v3, vcc_lo, v13, v3
	v_add_co_ci_u32_e32 v4, vcc_lo, 0, v4, vcc_lo
	s_delay_alu instid0(VALU_DEP_2) | instskip(NEXT) | instid1(VALU_DEP_2)
	v_add_co_u32 v3, vcc_lo, v3, v5
	v_add_co_ci_u32_e32 v3, vcc_lo, v4, v6, vcc_lo
	v_add_co_ci_u32_e32 v4, vcc_lo, 0, v8, vcc_lo
	s_delay_alu instid0(VALU_DEP_2) | instskip(NEXT) | instid1(VALU_DEP_2)
	v_add_co_u32 v5, vcc_lo, v3, v7
	v_add_co_ci_u32_e32 v6, vcc_lo, 0, v4, vcc_lo
	s_delay_alu instid0(VALU_DEP_2) | instskip(SKIP_1) | instid1(VALU_DEP_3)
	v_mul_lo_u32 v7, s21, v5
	v_mad_u64_u32 v[3:4], null, s20, v5, 0
	v_mul_lo_u32 v8, s20, v6
	s_delay_alu instid0(VALU_DEP_2) | instskip(NEXT) | instid1(VALU_DEP_2)
	v_sub_co_u32 v3, vcc_lo, v11, v3
	v_add3_u32 v4, v4, v8, v7
	s_delay_alu instid0(VALU_DEP_1) | instskip(NEXT) | instid1(VALU_DEP_1)
	v_sub_nc_u32_e32 v7, v9, v4
	v_subrev_co_ci_u32_e64 v7, s0, s21, v7, vcc_lo
	v_add_co_u32 v8, s0, v5, 2
	s_delay_alu instid0(VALU_DEP_1) | instskip(SKIP_3) | instid1(VALU_DEP_3)
	v_add_co_ci_u32_e64 v11, s0, 0, v6, s0
	v_sub_co_u32 v12, s0, v3, s20
	v_sub_co_ci_u32_e32 v4, vcc_lo, v9, v4, vcc_lo
	v_subrev_co_ci_u32_e64 v7, s0, 0, v7, s0
	v_cmp_le_u32_e32 vcc_lo, s20, v12
	s_delay_alu instid0(VALU_DEP_3) | instskip(SKIP_1) | instid1(VALU_DEP_4)
	v_cmp_eq_u32_e64 s0, s21, v4
	v_cndmask_b32_e64 v9, 0, -1, vcc_lo
	v_cmp_le_u32_e32 vcc_lo, s21, v7
	v_cndmask_b32_e64 v12, 0, -1, vcc_lo
	v_cmp_le_u32_e32 vcc_lo, s20, v3
	v_cndmask_b32_e64 v3, 0, -1, vcc_lo
	v_cmp_le_u32_e32 vcc_lo, s21, v4
	v_cndmask_b32_e64 v13, 0, -1, vcc_lo
	v_cmp_eq_u32_e32 vcc_lo, s21, v7
	s_delay_alu instid0(VALU_DEP_2) | instskip(SKIP_3) | instid1(VALU_DEP_3)
	v_cndmask_b32_e64 v3, v13, v3, s0
	v_cndmask_b32_e32 v7, v12, v9, vcc_lo
	v_add_co_u32 v9, vcc_lo, v5, 1
	v_add_co_ci_u32_e32 v12, vcc_lo, 0, v6, vcc_lo
	v_cmp_ne_u32_e32 vcc_lo, 0, v7
	s_delay_alu instid0(VALU_DEP_2) | instskip(SKIP_2) | instid1(VALU_DEP_3)
	v_dual_cndmask_b32 v4, v12, v11 :: v_dual_cndmask_b32 v7, v9, v8
	v_cmp_ne_u32_e32 vcc_lo, 0, v3
	v_xor_b32_e32 v3, s18, v10
	v_dual_cndmask_b32 v5, v5, v7 :: v_dual_cndmask_b32 v4, v6, v4
	v_xor_b32_e32 v6, s19, v10
	s_delay_alu instid0(VALU_DEP_2) | instskip(NEXT) | instid1(VALU_DEP_2)
	v_xor_b32_e32 v5, v5, v3
	v_xor_b32_e32 v7, v4, v6
	s_delay_alu instid0(VALU_DEP_2) | instskip(NEXT) | instid1(VALU_DEP_2)
	v_sub_co_u32 v4, vcc_lo, v5, v3
	v_sub_co_ci_u32_e32 v5, vcc_lo, v7, v6, vcc_lo
.LBB5_5:                                ;   in Loop: Header=BB5_3 Depth=1
	s_and_not1_saveexec_b32 s0, s16
; %bb.6:                                ;   in Loop: Header=BB5_3 Depth=1
	v_mul_hi_u32 v3, v0, v18
	s_delay_alu instid0(VALU_DEP_1) | instskip(NEXT) | instid1(VALU_DEP_1)
	v_mul_lo_u32 v4, v3, s26
	v_sub_nc_u32_e32 v4, v0, v4
	s_delay_alu instid0(VALU_DEP_1) | instskip(SKIP_1) | instid1(VALU_DEP_2)
	v_subrev_nc_u32_e32 v6, s26, v4
	v_cmp_le_u32_e32 vcc_lo, s26, v4
	v_dual_cndmask_b32 v4, v4, v6 :: v_dual_add_nc_u32 v5, 1, v3
	s_delay_alu instid0(VALU_DEP_1) | instskip(NEXT) | instid1(VALU_DEP_2)
	v_cndmask_b32_e32 v3, v3, v5, vcc_lo
	v_cmp_le_u32_e32 vcc_lo, s26, v4
	s_delay_alu instid0(VALU_DEP_2) | instskip(NEXT) | instid1(VALU_DEP_1)
	v_add_nc_u32_e32 v5, 1, v3
	v_dual_cndmask_b32 v4, v3, v5 :: v_dual_mov_b32 v5, v2
; %bb.7:                                ;   in Loop: Header=BB5_3 Depth=1
	s_or_b32 exec_lo, exec_lo, s0
	s_delay_alu instid0(VALU_DEP_1) | instskip(SKIP_1) | instid1(VALU_DEP_1)
	v_or_b32_e32 v3, s30, v5
                                        ; implicit-def: $vgpr8_vgpr9
	s_mov_b32 s0, exec_lo
	v_cmpx_ne_u64_e32 0, v[2:3]
	s_xor_b32 s16, exec_lo, s0
	s_cbranch_execz .LBB5_9
; %bb.8:                                ;   in Loop: Header=BB5_3 Depth=1
	s_add_u32 s20, s8, s30
	s_mov_b32 s18, s30
	s_mov_b32 s19, s30
	s_addc_u32 s21, s30, s30
	s_delay_alu instid0(SALU_CYCLE_1) | instskip(NEXT) | instid1(SALU_CYCLE_1)
	s_xor_b64 s[20:21], s[20:21], s[18:19]
	v_cvt_f32_u32_e32 v3, s20
	v_cvt_f32_u32_e32 v6, s21
	s_sub_u32 s0, 0, s20
	s_subb_u32 s22, 0, s21
	s_delay_alu instid0(VALU_DEP_1) | instskip(NEXT) | instid1(VALU_DEP_1)
	v_fmac_f32_e32 v3, 0x4f800000, v6
	v_rcp_f32_e32 v3, v3
	s_waitcnt_depctr 0xfff
	v_mul_f32_e32 v3, 0x5f7ffffc, v3
	s_delay_alu instid0(VALU_DEP_1) | instskip(NEXT) | instid1(VALU_DEP_1)
	v_mul_f32_e32 v6, 0x2f800000, v3
	v_trunc_f32_e32 v6, v6
	s_delay_alu instid0(VALU_DEP_1) | instskip(SKIP_1) | instid1(VALU_DEP_2)
	v_fmac_f32_e32 v3, 0xcf800000, v6
	v_cvt_u32_f32_e32 v6, v6
	v_cvt_u32_f32_e32 v3, v3
	s_delay_alu instid0(VALU_DEP_2) | instskip(NEXT) | instid1(VALU_DEP_2)
	v_mul_lo_u32 v7, s0, v6
	v_mul_hi_u32 v8, s0, v3
	v_mul_lo_u32 v9, s22, v3
	s_delay_alu instid0(VALU_DEP_2) | instskip(SKIP_1) | instid1(VALU_DEP_2)
	v_add_nc_u32_e32 v7, v8, v7
	v_mul_lo_u32 v8, s0, v3
	v_add_nc_u32_e32 v7, v7, v9
	s_delay_alu instid0(VALU_DEP_2) | instskip(NEXT) | instid1(VALU_DEP_2)
	v_mul_hi_u32 v9, v3, v8
	v_mul_lo_u32 v10, v3, v7
	v_mul_hi_u32 v11, v3, v7
	v_mul_hi_u32 v12, v6, v8
	v_mul_lo_u32 v8, v6, v8
	v_mul_hi_u32 v13, v6, v7
	v_mul_lo_u32 v7, v6, v7
	v_add_co_u32 v9, vcc_lo, v9, v10
	v_add_co_ci_u32_e32 v10, vcc_lo, 0, v11, vcc_lo
	s_delay_alu instid0(VALU_DEP_2) | instskip(NEXT) | instid1(VALU_DEP_2)
	v_add_co_u32 v8, vcc_lo, v9, v8
	v_add_co_ci_u32_e32 v8, vcc_lo, v10, v12, vcc_lo
	v_add_co_ci_u32_e32 v9, vcc_lo, 0, v13, vcc_lo
	v_ashrrev_i32_e32 v12, 31, v5
	s_delay_alu instid0(VALU_DEP_3) | instskip(NEXT) | instid1(VALU_DEP_3)
	v_add_co_u32 v7, vcc_lo, v8, v7
	v_add_co_ci_u32_e32 v8, vcc_lo, 0, v9, vcc_lo
	s_delay_alu instid0(VALU_DEP_2) | instskip(NEXT) | instid1(VALU_DEP_2)
	v_add_co_u32 v3, vcc_lo, v3, v7
	v_add_co_ci_u32_e32 v6, vcc_lo, v6, v8, vcc_lo
	s_delay_alu instid0(VALU_DEP_2) | instskip(SKIP_1) | instid1(VALU_DEP_3)
	v_mul_hi_u32 v7, s0, v3
	v_mul_lo_u32 v9, s22, v3
	v_mul_lo_u32 v8, s0, v6
	s_delay_alu instid0(VALU_DEP_1) | instskip(SKIP_1) | instid1(VALU_DEP_2)
	v_add_nc_u32_e32 v7, v7, v8
	v_mul_lo_u32 v8, s0, v3
	v_add_nc_u32_e32 v7, v7, v9
	s_delay_alu instid0(VALU_DEP_2) | instskip(NEXT) | instid1(VALU_DEP_2)
	v_mul_hi_u32 v9, v3, v8
	v_mul_lo_u32 v10, v3, v7
	v_mul_hi_u32 v11, v3, v7
	v_mul_hi_u32 v13, v6, v8
	v_mul_lo_u32 v8, v6, v8
	v_mul_hi_u32 v14, v6, v7
	v_mul_lo_u32 v7, v6, v7
	v_add_co_u32 v9, vcc_lo, v9, v10
	v_add_co_ci_u32_e32 v10, vcc_lo, 0, v11, vcc_lo
	s_delay_alu instid0(VALU_DEP_2) | instskip(NEXT) | instid1(VALU_DEP_2)
	v_add_co_u32 v8, vcc_lo, v9, v8
	v_add_co_ci_u32_e32 v8, vcc_lo, v10, v13, vcc_lo
	v_add_co_ci_u32_e32 v9, vcc_lo, 0, v14, vcc_lo
	v_add_co_u32 v10, vcc_lo, v4, v12
	v_add_co_ci_u32_e32 v5, vcc_lo, v5, v12, vcc_lo
	s_delay_alu instid0(VALU_DEP_4) | instskip(NEXT) | instid1(VALU_DEP_4)
	v_add_co_u32 v7, vcc_lo, v8, v7
	v_add_co_ci_u32_e32 v8, vcc_lo, 0, v9, vcc_lo
	s_delay_alu instid0(VALU_DEP_4) | instskip(NEXT) | instid1(VALU_DEP_3)
	v_xor_b32_e32 v11, v10, v12
	v_add_co_u32 v3, vcc_lo, v3, v7
	s_delay_alu instid0(VALU_DEP_3) | instskip(SKIP_1) | instid1(VALU_DEP_3)
	v_add_co_ci_u32_e32 v13, vcc_lo, v6, v8, vcc_lo
	v_xor_b32_e32 v14, v5, v12
	v_mul_hi_u32 v15, v11, v3
	s_delay_alu instid0(VALU_DEP_3) | instskip(NEXT) | instid1(VALU_DEP_3)
	v_mad_u64_u32 v[5:6], null, v11, v13, 0
	v_mad_u64_u32 v[7:8], null, v14, v3, 0
	;; [unrolled: 1-line block ×3, first 2 shown]
	s_delay_alu instid0(VALU_DEP_3) | instskip(NEXT) | instid1(VALU_DEP_4)
	v_add_co_u32 v3, vcc_lo, v15, v5
	v_add_co_ci_u32_e32 v5, vcc_lo, 0, v6, vcc_lo
	s_delay_alu instid0(VALU_DEP_2) | instskip(NEXT) | instid1(VALU_DEP_2)
	v_add_co_u32 v3, vcc_lo, v3, v7
	v_add_co_ci_u32_e32 v3, vcc_lo, v5, v8, vcc_lo
	v_add_co_ci_u32_e32 v5, vcc_lo, 0, v10, vcc_lo
	s_delay_alu instid0(VALU_DEP_2) | instskip(NEXT) | instid1(VALU_DEP_2)
	v_add_co_u32 v3, vcc_lo, v3, v9
	v_add_co_ci_u32_e32 v7, vcc_lo, 0, v5, vcc_lo
	s_delay_alu instid0(VALU_DEP_2) | instskip(SKIP_1) | instid1(VALU_DEP_3)
	v_mul_lo_u32 v8, s21, v3
	v_mad_u64_u32 v[5:6], null, s20, v3, 0
	v_mul_lo_u32 v9, s20, v7
	s_delay_alu instid0(VALU_DEP_2) | instskip(NEXT) | instid1(VALU_DEP_2)
	v_sub_co_u32 v5, vcc_lo, v11, v5
	v_add3_u32 v6, v6, v9, v8
	s_delay_alu instid0(VALU_DEP_1) | instskip(NEXT) | instid1(VALU_DEP_1)
	v_sub_nc_u32_e32 v8, v14, v6
	v_subrev_co_ci_u32_e64 v8, s0, s21, v8, vcc_lo
	v_add_co_u32 v9, s0, v3, 2
	s_delay_alu instid0(VALU_DEP_1) | instskip(SKIP_3) | instid1(VALU_DEP_3)
	v_add_co_ci_u32_e64 v10, s0, 0, v7, s0
	v_sub_co_u32 v11, s0, v5, s20
	v_sub_co_ci_u32_e32 v6, vcc_lo, v14, v6, vcc_lo
	v_subrev_co_ci_u32_e64 v8, s0, 0, v8, s0
	v_cmp_le_u32_e32 vcc_lo, s20, v11
	s_delay_alu instid0(VALU_DEP_3) | instskip(SKIP_1) | instid1(VALU_DEP_4)
	v_cmp_eq_u32_e64 s0, s21, v6
	v_cndmask_b32_e64 v11, 0, -1, vcc_lo
	v_cmp_le_u32_e32 vcc_lo, s21, v8
	v_cndmask_b32_e64 v13, 0, -1, vcc_lo
	v_cmp_le_u32_e32 vcc_lo, s20, v5
	;; [unrolled: 2-line block ×3, first 2 shown]
	v_cndmask_b32_e64 v14, 0, -1, vcc_lo
	v_cmp_eq_u32_e32 vcc_lo, s21, v8
	s_delay_alu instid0(VALU_DEP_2) | instskip(SKIP_3) | instid1(VALU_DEP_3)
	v_cndmask_b32_e64 v5, v14, v5, s0
	v_cndmask_b32_e32 v8, v13, v11, vcc_lo
	v_add_co_u32 v11, vcc_lo, v3, 1
	v_add_co_ci_u32_e32 v13, vcc_lo, 0, v7, vcc_lo
	v_cmp_ne_u32_e32 vcc_lo, 0, v8
	s_delay_alu instid0(VALU_DEP_3) | instskip(NEXT) | instid1(VALU_DEP_3)
	v_cndmask_b32_e32 v8, v11, v9, vcc_lo
	v_cndmask_b32_e32 v6, v13, v10, vcc_lo
	v_cmp_ne_u32_e32 vcc_lo, 0, v5
	v_xor_b32_e32 v5, s18, v12
	s_delay_alu instid0(VALU_DEP_4) | instskip(NEXT) | instid1(VALU_DEP_4)
	v_cndmask_b32_e32 v3, v3, v8, vcc_lo
	v_cndmask_b32_e32 v6, v7, v6, vcc_lo
	v_xor_b32_e32 v7, s19, v12
	s_delay_alu instid0(VALU_DEP_3) | instskip(NEXT) | instid1(VALU_DEP_2)
	v_xor_b32_e32 v3, v3, v5
	v_xor_b32_e32 v6, v6, v7
	s_delay_alu instid0(VALU_DEP_2) | instskip(NEXT) | instid1(VALU_DEP_2)
	v_sub_co_u32 v8, vcc_lo, v3, v5
	v_sub_co_ci_u32_e32 v9, vcc_lo, v6, v7, vcc_lo
.LBB5_9:                                ;   in Loop: Header=BB5_3 Depth=1
	s_and_not1_saveexec_b32 s0, s16
	s_cbranch_execz .LBB5_11
; %bb.10:                               ;   in Loop: Header=BB5_3 Depth=1
	v_cvt_f32_u32_e32 v3, s8
	s_sub_i32 s16, 0, s8
	v_mov_b32_e32 v9, v2
	s_delay_alu instid0(VALU_DEP_2) | instskip(SKIP_2) | instid1(VALU_DEP_1)
	v_rcp_iflag_f32_e32 v3, v3
	s_waitcnt_depctr 0xfff
	v_mul_f32_e32 v3, 0x4f7ffffe, v3
	v_cvt_u32_f32_e32 v3, v3
	s_delay_alu instid0(VALU_DEP_1) | instskip(NEXT) | instid1(VALU_DEP_1)
	v_mul_lo_u32 v5, s16, v3
	v_mul_hi_u32 v5, v3, v5
	s_delay_alu instid0(VALU_DEP_1) | instskip(NEXT) | instid1(VALU_DEP_1)
	v_add_nc_u32_e32 v3, v3, v5
	v_mul_hi_u32 v3, v4, v3
	s_delay_alu instid0(VALU_DEP_1) | instskip(SKIP_1) | instid1(VALU_DEP_2)
	v_mul_lo_u32 v5, v3, s8
	v_add_nc_u32_e32 v6, 1, v3
	v_sub_nc_u32_e32 v5, v4, v5
	s_delay_alu instid0(VALU_DEP_1) | instskip(SKIP_1) | instid1(VALU_DEP_4)
	v_cmp_le_u32_e32 vcc_lo, s8, v5
	v_subrev_nc_u32_e32 v7, s8, v5
	v_cndmask_b32_e32 v3, v3, v6, vcc_lo
	s_delay_alu instid0(VALU_DEP_1) | instskip(NEXT) | instid1(VALU_DEP_3)
	v_add_nc_u32_e32 v6, 1, v3
	v_cndmask_b32_e32 v5, v5, v7, vcc_lo
	s_delay_alu instid0(VALU_DEP_1) | instskip(NEXT) | instid1(VALU_DEP_3)
	v_cmp_le_u32_e32 vcc_lo, s8, v5
	v_cndmask_b32_e32 v8, v3, v6, vcc_lo
.LBB5_11:                               ;   in Loop: Header=BB5_3 Depth=1
	s_or_b32 exec_lo, exec_lo, s0
	v_mad_u64_u32 v[5:6], null, v4, s26, 0
	s_delay_alu instid0(VALU_DEP_2) | instskip(SKIP_1) | instid1(VALU_DEP_2)
	v_mad_u64_u32 v[6:7], null, v8, s8, 0
	s_and_not1_b32 vcc_lo, exec_lo, s1
	v_sub_co_u32 v19, null, v0, v5
	s_delay_alu instid0(VALU_DEP_2) | instskip(NEXT) | instid1(VALU_DEP_2)
	v_sub_co_u32 v20, null, v4, v6
	v_mul_lo_u32 v3, s11, v19
	v_mul_lo_u32 v10, s13, v19
	s_delay_alu instid0(VALU_DEP_2) | instskip(NEXT) | instid1(VALU_DEP_2)
	v_mad_u64_u32 v[6:7], null, s10, v20, v[3:4]
	v_mad_u64_u32 v[4:5], null, s12, v20, v[10:11]
	s_cbranch_vccnz .LBB5_40
; %bb.12:                               ;   in Loop: Header=BB5_3 Depth=1
	s_and_not1_b32 vcc_lo, exec_lo, s37
	s_mov_b32 s42, 1
	s_cbranch_vccnz .LBB5_20
; %bb.13:                               ;   in Loop: Header=BB5_3 Depth=1
	v_dual_mov_b32 v11, v9 :: v_dual_mov_b32 v10, v8
	s_mov_b32 s16, s34
.LBB5_14:                               ;   Parent Loop BB5_3 Depth=1
                                        ; =>  This Inner Loop Header: Depth=2
	s_delay_alu instid0(SALU_CYCLE_1)
	s_lshl_b64 s[20:21], s[16:17], 2
                                        ; implicit-def: $vgpr8_vgpr9
	s_mov_b32 s22, exec_lo
	s_add_u32 s18, s27, s20
	s_addc_u32 s19, s28, s21
	s_load_b32 s43, s[18:19], 0x8
	s_waitcnt lgkmcnt(0)
	s_ashr_i32 s0, s43, 31
	s_delay_alu instid0(SALU_CYCLE_1) | instskip(NEXT) | instid1(VALU_DEP_1)
	v_or_b32_e32 v3, s0, v11
	v_cmpx_ne_u64_e32 0, v[2:3]
	s_xor_b32 s44, exec_lo, s22
	s_cbranch_execz .LBB5_16
; %bb.15:                               ;   in Loop: Header=BB5_14 Depth=2
	s_add_u32 s24, s43, s0
	s_mov_b32 s22, s0
	s_mov_b32 s23, s0
	s_addc_u32 s25, s0, s0
	s_delay_alu instid0(SALU_CYCLE_1) | instskip(NEXT) | instid1(SALU_CYCLE_1)
	s_xor_b64 s[24:25], s[24:25], s[22:23]
	v_cvt_f32_u32_e32 v3, s24
	v_cvt_f32_u32_e32 v5, s25
	s_sub_u32 s0, 0, s24
	s_subb_u32 s45, 0, s25
	s_delay_alu instid0(VALU_DEP_1) | instskip(NEXT) | instid1(VALU_DEP_1)
	v_fmac_f32_e32 v3, 0x4f800000, v5
	v_rcp_f32_e32 v3, v3
	s_waitcnt_depctr 0xfff
	v_mul_f32_e32 v3, 0x5f7ffffc, v3
	s_delay_alu instid0(VALU_DEP_1) | instskip(NEXT) | instid1(VALU_DEP_1)
	v_mul_f32_e32 v5, 0x2f800000, v3
	v_trunc_f32_e32 v5, v5
	s_delay_alu instid0(VALU_DEP_1) | instskip(SKIP_1) | instid1(VALU_DEP_2)
	v_fmac_f32_e32 v3, 0xcf800000, v5
	v_cvt_u32_f32_e32 v5, v5
	v_cvt_u32_f32_e32 v3, v3
	s_delay_alu instid0(VALU_DEP_2) | instskip(NEXT) | instid1(VALU_DEP_2)
	v_mul_lo_u32 v7, s0, v5
	v_mul_hi_u32 v8, s0, v3
	v_mul_lo_u32 v9, s45, v3
	s_delay_alu instid0(VALU_DEP_2) | instskip(SKIP_1) | instid1(VALU_DEP_2)
	v_add_nc_u32_e32 v7, v8, v7
	v_mul_lo_u32 v8, s0, v3
	v_add_nc_u32_e32 v7, v7, v9
	s_delay_alu instid0(VALU_DEP_2) | instskip(NEXT) | instid1(VALU_DEP_2)
	v_mul_hi_u32 v9, v3, v8
	v_mul_lo_u32 v12, v3, v7
	v_mul_hi_u32 v13, v3, v7
	v_mul_hi_u32 v14, v5, v8
	v_mul_lo_u32 v8, v5, v8
	v_mul_hi_u32 v15, v5, v7
	v_mul_lo_u32 v7, v5, v7
	v_add_co_u32 v9, vcc_lo, v9, v12
	v_add_co_ci_u32_e32 v12, vcc_lo, 0, v13, vcc_lo
	s_delay_alu instid0(VALU_DEP_2) | instskip(NEXT) | instid1(VALU_DEP_2)
	v_add_co_u32 v8, vcc_lo, v9, v8
	v_add_co_ci_u32_e32 v8, vcc_lo, v12, v14, vcc_lo
	v_add_co_ci_u32_e32 v9, vcc_lo, 0, v15, vcc_lo
	v_ashrrev_i32_e32 v15, 31, v11
	s_delay_alu instid0(VALU_DEP_3) | instskip(NEXT) | instid1(VALU_DEP_3)
	v_add_co_u32 v7, vcc_lo, v8, v7
	v_add_co_ci_u32_e32 v8, vcc_lo, 0, v9, vcc_lo
	s_delay_alu instid0(VALU_DEP_2) | instskip(NEXT) | instid1(VALU_DEP_2)
	v_add_co_u32 v3, vcc_lo, v3, v7
	v_add_co_ci_u32_e32 v5, vcc_lo, v5, v8, vcc_lo
	s_delay_alu instid0(VALU_DEP_2) | instskip(SKIP_1) | instid1(VALU_DEP_3)
	v_mul_hi_u32 v7, s0, v3
	v_mul_lo_u32 v9, s45, v3
	v_mul_lo_u32 v8, s0, v5
	s_delay_alu instid0(VALU_DEP_1) | instskip(SKIP_1) | instid1(VALU_DEP_2)
	v_add_nc_u32_e32 v7, v7, v8
	v_mul_lo_u32 v8, s0, v3
	v_add_nc_u32_e32 v7, v7, v9
	s_delay_alu instid0(VALU_DEP_2) | instskip(NEXT) | instid1(VALU_DEP_2)
	v_mul_hi_u32 v9, v3, v8
	v_mul_lo_u32 v12, v3, v7
	v_mul_hi_u32 v13, v3, v7
	v_mul_hi_u32 v14, v5, v8
	v_mul_lo_u32 v8, v5, v8
	v_mul_hi_u32 v16, v5, v7
	v_mul_lo_u32 v7, v5, v7
	v_add_co_u32 v9, vcc_lo, v9, v12
	v_add_co_ci_u32_e32 v12, vcc_lo, 0, v13, vcc_lo
	s_delay_alu instid0(VALU_DEP_2) | instskip(NEXT) | instid1(VALU_DEP_2)
	v_add_co_u32 v8, vcc_lo, v9, v8
	v_add_co_ci_u32_e32 v8, vcc_lo, v12, v14, vcc_lo
	v_add_co_ci_u32_e32 v9, vcc_lo, 0, v16, vcc_lo
	v_add_co_u32 v12, vcc_lo, v10, v15
	v_add_co_ci_u32_e32 v11, vcc_lo, v11, v15, vcc_lo
	s_delay_alu instid0(VALU_DEP_4) | instskip(NEXT) | instid1(VALU_DEP_4)
	v_add_co_u32 v7, vcc_lo, v8, v7
	v_add_co_ci_u32_e32 v8, vcc_lo, 0, v9, vcc_lo
	s_delay_alu instid0(VALU_DEP_4) | instskip(NEXT) | instid1(VALU_DEP_3)
	v_xor_b32_e32 v9, v12, v15
	v_add_co_u32 v3, vcc_lo, v3, v7
	s_delay_alu instid0(VALU_DEP_3) | instskip(SKIP_1) | instid1(VALU_DEP_3)
	v_add_co_ci_u32_e32 v5, vcc_lo, v5, v8, vcc_lo
	v_xor_b32_e32 v16, v11, v15
	v_mul_hi_u32 v17, v9, v3
	s_delay_alu instid0(VALU_DEP_3) | instskip(NEXT) | instid1(VALU_DEP_3)
	v_mad_u64_u32 v[7:8], null, v9, v5, 0
	v_mad_u64_u32 v[11:12], null, v16, v3, 0
	;; [unrolled: 1-line block ×3, first 2 shown]
	s_delay_alu instid0(VALU_DEP_3) | instskip(NEXT) | instid1(VALU_DEP_4)
	v_add_co_u32 v3, vcc_lo, v17, v7
	v_add_co_ci_u32_e32 v5, vcc_lo, 0, v8, vcc_lo
	s_delay_alu instid0(VALU_DEP_2) | instskip(NEXT) | instid1(VALU_DEP_2)
	v_add_co_u32 v3, vcc_lo, v3, v11
	v_add_co_ci_u32_e32 v3, vcc_lo, v5, v12, vcc_lo
	v_add_co_ci_u32_e32 v5, vcc_lo, 0, v14, vcc_lo
	s_delay_alu instid0(VALU_DEP_2) | instskip(NEXT) | instid1(VALU_DEP_2)
	v_add_co_u32 v3, vcc_lo, v3, v13
	v_add_co_ci_u32_e32 v5, vcc_lo, 0, v5, vcc_lo
	s_delay_alu instid0(VALU_DEP_2) | instskip(SKIP_1) | instid1(VALU_DEP_3)
	v_mul_lo_u32 v11, s25, v3
	v_mad_u64_u32 v[7:8], null, s24, v3, 0
	v_mul_lo_u32 v12, s24, v5
	s_delay_alu instid0(VALU_DEP_2) | instskip(NEXT) | instid1(VALU_DEP_2)
	v_sub_co_u32 v7, vcc_lo, v9, v7
	v_add3_u32 v8, v8, v12, v11
	s_delay_alu instid0(VALU_DEP_1) | instskip(NEXT) | instid1(VALU_DEP_1)
	v_sub_nc_u32_e32 v11, v16, v8
	v_subrev_co_ci_u32_e64 v9, s0, s25, v11, vcc_lo
	v_add_co_u32 v11, s0, v3, 2
	s_delay_alu instid0(VALU_DEP_1) | instskip(SKIP_3) | instid1(VALU_DEP_3)
	v_add_co_ci_u32_e64 v12, s0, 0, v5, s0
	v_sub_co_u32 v13, s0, v7, s24
	v_sub_co_ci_u32_e32 v8, vcc_lo, v16, v8, vcc_lo
	v_subrev_co_ci_u32_e64 v9, s0, 0, v9, s0
	v_cmp_le_u32_e32 vcc_lo, s24, v13
	s_delay_alu instid0(VALU_DEP_3) | instskip(SKIP_1) | instid1(VALU_DEP_4)
	v_cmp_eq_u32_e64 s0, s25, v8
	v_cndmask_b32_e64 v13, 0, -1, vcc_lo
	v_cmp_le_u32_e32 vcc_lo, s25, v9
	v_cndmask_b32_e64 v14, 0, -1, vcc_lo
	v_cmp_le_u32_e32 vcc_lo, s24, v7
	;; [unrolled: 2-line block ×3, first 2 shown]
	v_cndmask_b32_e64 v16, 0, -1, vcc_lo
	v_cmp_eq_u32_e32 vcc_lo, s25, v9
	s_delay_alu instid0(VALU_DEP_2) | instskip(SKIP_3) | instid1(VALU_DEP_3)
	v_cndmask_b32_e64 v7, v16, v7, s0
	v_cndmask_b32_e32 v9, v14, v13, vcc_lo
	v_add_co_u32 v13, vcc_lo, v3, 1
	v_add_co_ci_u32_e32 v14, vcc_lo, 0, v5, vcc_lo
	v_cmp_ne_u32_e32 vcc_lo, 0, v9
	s_delay_alu instid0(VALU_DEP_2) | instskip(SKIP_2) | instid1(VALU_DEP_3)
	v_dual_cndmask_b32 v8, v14, v12 :: v_dual_cndmask_b32 v9, v13, v11
	v_cmp_ne_u32_e32 vcc_lo, 0, v7
	v_xor_b32_e32 v7, s22, v15
	v_cndmask_b32_e32 v3, v3, v9, vcc_lo
	s_delay_alu instid0(VALU_DEP_4) | instskip(SKIP_1) | instid1(VALU_DEP_3)
	v_cndmask_b32_e32 v5, v5, v8, vcc_lo
	v_xor_b32_e32 v9, s23, v15
	v_xor_b32_e32 v3, v3, v7
	s_delay_alu instid0(VALU_DEP_2) | instskip(NEXT) | instid1(VALU_DEP_2)
	v_xor_b32_e32 v5, v5, v9
	v_sub_co_u32 v8, vcc_lo, v3, v7
	s_delay_alu instid0(VALU_DEP_2)
	v_sub_co_ci_u32_e32 v9, vcc_lo, v5, v9, vcc_lo
.LBB5_16:                               ;   in Loop: Header=BB5_14 Depth=2
	s_and_not1_saveexec_b32 s0, s44
	s_cbranch_execz .LBB5_18
; %bb.17:                               ;   in Loop: Header=BB5_14 Depth=2
	v_cvt_f32_u32_e32 v3, s43
	s_sub_i32 s22, 0, s43
	v_mov_b32_e32 v9, v2
	s_delay_alu instid0(VALU_DEP_2) | instskip(SKIP_2) | instid1(VALU_DEP_1)
	v_rcp_iflag_f32_e32 v3, v3
	s_waitcnt_depctr 0xfff
	v_mul_f32_e32 v3, 0x4f7ffffe, v3
	v_cvt_u32_f32_e32 v3, v3
	s_delay_alu instid0(VALU_DEP_1) | instskip(NEXT) | instid1(VALU_DEP_1)
	v_mul_lo_u32 v5, s22, v3
	v_mul_hi_u32 v5, v3, v5
	s_delay_alu instid0(VALU_DEP_1) | instskip(NEXT) | instid1(VALU_DEP_1)
	v_add_nc_u32_e32 v3, v3, v5
	v_mul_hi_u32 v3, v10, v3
	s_delay_alu instid0(VALU_DEP_1) | instskip(SKIP_1) | instid1(VALU_DEP_2)
	v_mul_lo_u32 v5, v3, s43
	v_add_nc_u32_e32 v7, 1, v3
	v_sub_nc_u32_e32 v5, v10, v5
	s_delay_alu instid0(VALU_DEP_1) | instskip(SKIP_1) | instid1(VALU_DEP_4)
	v_cmp_le_u32_e32 vcc_lo, s43, v5
	v_subrev_nc_u32_e32 v8, s43, v5
	v_cndmask_b32_e32 v3, v3, v7, vcc_lo
	s_delay_alu instid0(VALU_DEP_1) | instskip(NEXT) | instid1(VALU_DEP_3)
	v_add_nc_u32_e32 v7, 1, v3
	v_cndmask_b32_e32 v5, v5, v8, vcc_lo
	s_delay_alu instid0(VALU_DEP_1) | instskip(NEXT) | instid1(VALU_DEP_3)
	v_cmp_le_u32_e32 vcc_lo, s43, v5
	v_cndmask_b32_e32 v8, v3, v7, vcc_lo
.LBB5_18:                               ;   in Loop: Header=BB5_14 Depth=2
	s_or_b32 exec_lo, exec_lo, s0
	s_add_u32 s20, s31, s20
	s_addc_u32 s21, s33, s21
	s_clause 0x1
	s_load_b32 s0, s[18:19], 0x6c
	s_load_b32 s18, s[20:21], 0x0
	v_mul_lo_u32 v3, v8, s43
	s_add_i32 s16, s16, -1
	s_delay_alu instid0(VALU_DEP_1) | instskip(SKIP_1) | instid1(VALU_DEP_1)
	v_sub_nc_u32_e32 v3, v10, v3
	s_waitcnt lgkmcnt(0)
	v_mad_u64_u32 v[10:11], null, s0, v3, v[6:7]
	v_mad_u64_u32 v[5:6], null, s18, v3, v[4:5]
	s_xor_b32 s0, s35, s42
	s_add_i32 s42, s42, 1
	s_cmp_lg_u32 s0, 2
	s_delay_alu instid0(VALU_DEP_2) | instskip(NEXT) | instid1(VALU_DEP_2)
	v_mov_b32_e32 v6, v10
	v_mov_b32_e32 v4, v5
	s_cbranch_scc0 .LBB5_21
; %bb.19:                               ;   in Loop: Header=BB5_14 Depth=2
	v_dual_mov_b32 v11, v9 :: v_dual_mov_b32 v10, v8
	s_branch .LBB5_14
.LBB5_20:                               ;   in Loop: Header=BB5_3 Depth=1
	s_mov_b32 s16, s34
.LBB5_21:                               ;   in Loop: Header=BB5_3 Depth=1
	s_and_b32 vcc_lo, exec_lo, s38
	s_cbranch_vccz .LBB5_40
.LBB5_22:                               ;   Parent Loop BB5_3 Depth=1
                                        ; =>  This Inner Loop Header: Depth=2
	s_lshl_b64 s[18:19], s[16:17], 2
                                        ; implicit-def: $vgpr10_vgpr11
	s_mov_b32 s22, exec_lo
	s_add_u32 s20, s27, s18
	s_addc_u32 s21, s28, s19
	s_load_b32 s42, s[20:21], 0x8
	s_waitcnt lgkmcnt(0)
	s_ashr_i32 s0, s42, 31
	s_delay_alu instid0(SALU_CYCLE_1) | instskip(NEXT) | instid1(VALU_DEP_1)
	v_or_b32_e32 v3, s0, v9
	v_cmpx_ne_u64_e32 0, v[2:3]
	s_xor_b32 s43, exec_lo, s22
	s_cbranch_execz .LBB5_24
; %bb.23:                               ;   in Loop: Header=BB5_22 Depth=2
	s_add_u32 s24, s42, s0
	s_mov_b32 s22, s0
	s_mov_b32 s23, s0
	s_addc_u32 s25, s0, s0
	s_delay_alu instid0(SALU_CYCLE_1) | instskip(NEXT) | instid1(SALU_CYCLE_1)
	s_xor_b64 s[24:25], s[24:25], s[22:23]
	v_cvt_f32_u32_e32 v3, s24
	v_cvt_f32_u32_e32 v5, s25
	s_sub_u32 s0, 0, s24
	s_subb_u32 s44, 0, s25
	s_delay_alu instid0(VALU_DEP_1) | instskip(NEXT) | instid1(VALU_DEP_1)
	v_fmac_f32_e32 v3, 0x4f800000, v5
	v_rcp_f32_e32 v3, v3
	s_waitcnt_depctr 0xfff
	v_mul_f32_e32 v3, 0x5f7ffffc, v3
	s_delay_alu instid0(VALU_DEP_1) | instskip(NEXT) | instid1(VALU_DEP_1)
	v_mul_f32_e32 v5, 0x2f800000, v3
	v_trunc_f32_e32 v5, v5
	s_delay_alu instid0(VALU_DEP_1) | instskip(SKIP_1) | instid1(VALU_DEP_2)
	v_fmac_f32_e32 v3, 0xcf800000, v5
	v_cvt_u32_f32_e32 v5, v5
	v_cvt_u32_f32_e32 v3, v3
	s_delay_alu instid0(VALU_DEP_2) | instskip(NEXT) | instid1(VALU_DEP_2)
	v_mul_lo_u32 v7, s0, v5
	v_mul_hi_u32 v10, s0, v3
	v_mul_lo_u32 v11, s44, v3
	s_delay_alu instid0(VALU_DEP_2) | instskip(SKIP_1) | instid1(VALU_DEP_2)
	v_add_nc_u32_e32 v7, v10, v7
	v_mul_lo_u32 v10, s0, v3
	v_add_nc_u32_e32 v7, v7, v11
	s_delay_alu instid0(VALU_DEP_2) | instskip(NEXT) | instid1(VALU_DEP_2)
	v_mul_hi_u32 v11, v3, v10
	v_mul_lo_u32 v12, v3, v7
	v_mul_hi_u32 v13, v3, v7
	v_mul_hi_u32 v14, v5, v10
	v_mul_lo_u32 v10, v5, v10
	v_mul_hi_u32 v15, v5, v7
	v_mul_lo_u32 v7, v5, v7
	v_add_co_u32 v11, vcc_lo, v11, v12
	v_add_co_ci_u32_e32 v12, vcc_lo, 0, v13, vcc_lo
	s_delay_alu instid0(VALU_DEP_2) | instskip(NEXT) | instid1(VALU_DEP_2)
	v_add_co_u32 v10, vcc_lo, v11, v10
	v_add_co_ci_u32_e32 v10, vcc_lo, v12, v14, vcc_lo
	v_add_co_ci_u32_e32 v11, vcc_lo, 0, v15, vcc_lo
	v_ashrrev_i32_e32 v15, 31, v9
	s_delay_alu instid0(VALU_DEP_3) | instskip(NEXT) | instid1(VALU_DEP_3)
	v_add_co_u32 v7, vcc_lo, v10, v7
	v_add_co_ci_u32_e32 v10, vcc_lo, 0, v11, vcc_lo
	s_delay_alu instid0(VALU_DEP_2) | instskip(NEXT) | instid1(VALU_DEP_2)
	v_add_co_u32 v3, vcc_lo, v3, v7
	v_add_co_ci_u32_e32 v5, vcc_lo, v5, v10, vcc_lo
	s_delay_alu instid0(VALU_DEP_2) | instskip(SKIP_1) | instid1(VALU_DEP_3)
	v_mul_hi_u32 v7, s0, v3
	v_mul_lo_u32 v11, s44, v3
	v_mul_lo_u32 v10, s0, v5
	s_delay_alu instid0(VALU_DEP_1) | instskip(SKIP_1) | instid1(VALU_DEP_2)
	v_add_nc_u32_e32 v7, v7, v10
	v_mul_lo_u32 v10, s0, v3
	v_add_nc_u32_e32 v7, v7, v11
	s_delay_alu instid0(VALU_DEP_2) | instskip(NEXT) | instid1(VALU_DEP_2)
	v_mul_hi_u32 v11, v3, v10
	v_mul_lo_u32 v12, v3, v7
	v_mul_hi_u32 v13, v3, v7
	v_mul_hi_u32 v14, v5, v10
	v_mul_lo_u32 v10, v5, v10
	v_mul_hi_u32 v16, v5, v7
	v_mul_lo_u32 v7, v5, v7
	v_add_co_u32 v11, vcc_lo, v11, v12
	v_add_co_ci_u32_e32 v12, vcc_lo, 0, v13, vcc_lo
	s_delay_alu instid0(VALU_DEP_2) | instskip(NEXT) | instid1(VALU_DEP_2)
	v_add_co_u32 v10, vcc_lo, v11, v10
	v_add_co_ci_u32_e32 v10, vcc_lo, v12, v14, vcc_lo
	v_add_co_ci_u32_e32 v11, vcc_lo, 0, v16, vcc_lo
	v_add_co_u32 v12, vcc_lo, v8, v15
	v_add_co_ci_u32_e32 v9, vcc_lo, v9, v15, vcc_lo
	s_delay_alu instid0(VALU_DEP_4) | instskip(NEXT) | instid1(VALU_DEP_4)
	v_add_co_u32 v7, vcc_lo, v10, v7
	v_add_co_ci_u32_e32 v10, vcc_lo, 0, v11, vcc_lo
	s_delay_alu instid0(VALU_DEP_4) | instskip(NEXT) | instid1(VALU_DEP_3)
	v_xor_b32_e32 v16, v12, v15
	v_add_co_u32 v3, vcc_lo, v3, v7
	s_delay_alu instid0(VALU_DEP_3) | instskip(SKIP_1) | instid1(VALU_DEP_3)
	v_add_co_ci_u32_e32 v5, vcc_lo, v5, v10, vcc_lo
	v_xor_b32_e32 v7, v9, v15
	v_mul_hi_u32 v17, v16, v3
	s_delay_alu instid0(VALU_DEP_3) | instskip(NEXT) | instid1(VALU_DEP_3)
	v_mad_u64_u32 v[9:10], null, v16, v5, 0
	v_mad_u64_u32 v[11:12], null, v7, v3, 0
	;; [unrolled: 1-line block ×3, first 2 shown]
	s_delay_alu instid0(VALU_DEP_3) | instskip(NEXT) | instid1(VALU_DEP_4)
	v_add_co_u32 v3, vcc_lo, v17, v9
	v_add_co_ci_u32_e32 v5, vcc_lo, 0, v10, vcc_lo
	s_delay_alu instid0(VALU_DEP_2) | instskip(NEXT) | instid1(VALU_DEP_2)
	v_add_co_u32 v3, vcc_lo, v3, v11
	v_add_co_ci_u32_e32 v3, vcc_lo, v5, v12, vcc_lo
	v_add_co_ci_u32_e32 v5, vcc_lo, 0, v14, vcc_lo
	s_delay_alu instid0(VALU_DEP_2) | instskip(NEXT) | instid1(VALU_DEP_2)
	v_add_co_u32 v3, vcc_lo, v3, v13
	v_add_co_ci_u32_e32 v5, vcc_lo, 0, v5, vcc_lo
	s_delay_alu instid0(VALU_DEP_2) | instskip(SKIP_1) | instid1(VALU_DEP_3)
	v_mul_lo_u32 v11, s25, v3
	v_mad_u64_u32 v[9:10], null, s24, v3, 0
	v_mul_lo_u32 v12, s24, v5
	s_delay_alu instid0(VALU_DEP_2) | instskip(NEXT) | instid1(VALU_DEP_2)
	v_sub_co_u32 v9, vcc_lo, v16, v9
	v_add3_u32 v10, v10, v12, v11
	s_delay_alu instid0(VALU_DEP_1) | instskip(NEXT) | instid1(VALU_DEP_1)
	v_sub_nc_u32_e32 v11, v7, v10
	v_subrev_co_ci_u32_e64 v11, s0, s25, v11, vcc_lo
	v_add_co_u32 v12, s0, v3, 2
	s_delay_alu instid0(VALU_DEP_1) | instskip(SKIP_3) | instid1(VALU_DEP_3)
	v_add_co_ci_u32_e64 v13, s0, 0, v5, s0
	v_sub_co_u32 v14, s0, v9, s24
	v_sub_co_ci_u32_e32 v7, vcc_lo, v7, v10, vcc_lo
	v_subrev_co_ci_u32_e64 v11, s0, 0, v11, s0
	v_cmp_le_u32_e32 vcc_lo, s24, v14
	s_delay_alu instid0(VALU_DEP_3) | instskip(SKIP_1) | instid1(VALU_DEP_4)
	v_cmp_eq_u32_e64 s0, s25, v7
	v_cndmask_b32_e64 v10, 0, -1, vcc_lo
	v_cmp_le_u32_e32 vcc_lo, s25, v11
	v_cndmask_b32_e64 v14, 0, -1, vcc_lo
	v_cmp_le_u32_e32 vcc_lo, s24, v9
	;; [unrolled: 2-line block ×3, first 2 shown]
	v_cndmask_b32_e64 v16, 0, -1, vcc_lo
	v_cmp_eq_u32_e32 vcc_lo, s25, v11
	s_delay_alu instid0(VALU_DEP_2) | instskip(SKIP_3) | instid1(VALU_DEP_3)
	v_cndmask_b32_e64 v7, v16, v9, s0
	v_cndmask_b32_e32 v10, v14, v10, vcc_lo
	v_add_co_u32 v11, vcc_lo, v3, 1
	v_add_co_ci_u32_e32 v14, vcc_lo, 0, v5, vcc_lo
	v_cmp_ne_u32_e32 vcc_lo, 0, v10
	s_delay_alu instid0(VALU_DEP_2) | instskip(SKIP_2) | instid1(VALU_DEP_3)
	v_dual_cndmask_b32 v10, v11, v12 :: v_dual_cndmask_b32 v9, v14, v13
	v_cmp_ne_u32_e32 vcc_lo, 0, v7
	v_xor_b32_e32 v7, s22, v15
	v_cndmask_b32_e32 v3, v3, v10, vcc_lo
	s_delay_alu instid0(VALU_DEP_4) | instskip(SKIP_1) | instid1(VALU_DEP_3)
	v_cndmask_b32_e32 v5, v5, v9, vcc_lo
	v_xor_b32_e32 v9, s23, v15
	v_xor_b32_e32 v3, v3, v7
	s_delay_alu instid0(VALU_DEP_2) | instskip(NEXT) | instid1(VALU_DEP_2)
	v_xor_b32_e32 v5, v5, v9
	v_sub_co_u32 v10, vcc_lo, v3, v7
	s_delay_alu instid0(VALU_DEP_2)
	v_sub_co_ci_u32_e32 v11, vcc_lo, v5, v9, vcc_lo
.LBB5_24:                               ;   in Loop: Header=BB5_22 Depth=2
	s_and_not1_saveexec_b32 s0, s43
	s_cbranch_execz .LBB5_26
; %bb.25:                               ;   in Loop: Header=BB5_22 Depth=2
	v_cvt_f32_u32_e32 v3, s42
	s_sub_i32 s22, 0, s42
	v_mov_b32_e32 v11, v2
	s_delay_alu instid0(VALU_DEP_2) | instskip(SKIP_2) | instid1(VALU_DEP_1)
	v_rcp_iflag_f32_e32 v3, v3
	s_waitcnt_depctr 0xfff
	v_mul_f32_e32 v3, 0x4f7ffffe, v3
	v_cvt_u32_f32_e32 v3, v3
	s_delay_alu instid0(VALU_DEP_1) | instskip(NEXT) | instid1(VALU_DEP_1)
	v_mul_lo_u32 v5, s22, v3
	v_mul_hi_u32 v5, v3, v5
	s_delay_alu instid0(VALU_DEP_1) | instskip(NEXT) | instid1(VALU_DEP_1)
	v_add_nc_u32_e32 v3, v3, v5
	v_mul_hi_u32 v3, v8, v3
	s_delay_alu instid0(VALU_DEP_1) | instskip(SKIP_1) | instid1(VALU_DEP_2)
	v_mul_lo_u32 v5, v3, s42
	v_add_nc_u32_e32 v7, 1, v3
	v_sub_nc_u32_e32 v5, v8, v5
	s_delay_alu instid0(VALU_DEP_1) | instskip(SKIP_1) | instid1(VALU_DEP_4)
	v_cmp_le_u32_e32 vcc_lo, s42, v5
	v_subrev_nc_u32_e32 v9, s42, v5
	v_cndmask_b32_e32 v3, v3, v7, vcc_lo
	s_delay_alu instid0(VALU_DEP_1) | instskip(NEXT) | instid1(VALU_DEP_3)
	v_add_nc_u32_e32 v7, 1, v3
	v_cndmask_b32_e32 v5, v5, v9, vcc_lo
	s_delay_alu instid0(VALU_DEP_1) | instskip(NEXT) | instid1(VALU_DEP_3)
	v_cmp_le_u32_e32 vcc_lo, s42, v5
	v_cndmask_b32_e32 v10, v3, v7, vcc_lo
.LBB5_26:                               ;   in Loop: Header=BB5_22 Depth=2
	s_or_b32 exec_lo, exec_lo, s0
	s_add_u32 s24, s31, s18
	s_addc_u32 s25, s33, s19
	s_add_i32 s18, s16, -1
	s_mov_b32 s19, s17
                                        ; implicit-def: $vgpr12_vgpr13
	s_delay_alu instid0(SALU_CYCLE_1) | instskip(NEXT) | instid1(SALU_CYCLE_1)
	s_lshl_b64 s[22:23], s[18:19], 2
	s_add_u32 s18, s27, s22
	s_addc_u32 s19, s28, s23
	s_clause 0x2
	s_load_b32 s45, s[18:19], 0x8
	s_load_b32 s43, s[20:21], 0x6c
	;; [unrolled: 1-line block ×3, first 2 shown]
	s_mov_b32 s20, exec_lo
	s_waitcnt lgkmcnt(0)
	s_ashr_i32 s0, s45, 31
	s_delay_alu instid0(SALU_CYCLE_1) | instskip(NEXT) | instid1(VALU_DEP_1)
	v_or_b32_e32 v3, s0, v11
	v_cmpx_ne_u64_e32 0, v[2:3]
	s_xor_b32 s46, exec_lo, s20
	s_cbranch_execz .LBB5_28
; %bb.27:                               ;   in Loop: Header=BB5_22 Depth=2
	s_add_u32 s24, s45, s0
	s_mov_b32 s20, s0
	s_mov_b32 s21, s0
	s_addc_u32 s25, s0, s0
	v_ashrrev_i32_e32 v17, 31, v11
	s_xor_b64 s[24:25], s[24:25], s[20:21]
	s_delay_alu instid0(SALU_CYCLE_1) | instskip(SKIP_3) | instid1(VALU_DEP_1)
	v_cvt_f32_u32_e32 v3, s24
	v_cvt_f32_u32_e32 v5, s25
	s_sub_u32 s0, 0, s24
	s_subb_u32 s47, 0, s25
	v_fmac_f32_e32 v3, 0x4f800000, v5
	s_delay_alu instid0(VALU_DEP_1) | instskip(SKIP_2) | instid1(VALU_DEP_1)
	v_rcp_f32_e32 v3, v3
	s_waitcnt_depctr 0xfff
	v_mul_f32_e32 v3, 0x5f7ffffc, v3
	v_mul_f32_e32 v5, 0x2f800000, v3
	s_delay_alu instid0(VALU_DEP_1) | instskip(NEXT) | instid1(VALU_DEP_1)
	v_trunc_f32_e32 v5, v5
	v_fmac_f32_e32 v3, 0xcf800000, v5
	v_cvt_u32_f32_e32 v5, v5
	s_delay_alu instid0(VALU_DEP_2) | instskip(NEXT) | instid1(VALU_DEP_2)
	v_cvt_u32_f32_e32 v3, v3
	v_mul_lo_u32 v7, s0, v5
	s_delay_alu instid0(VALU_DEP_2) | instskip(SKIP_1) | instid1(VALU_DEP_2)
	v_mul_hi_u32 v9, s0, v3
	v_mul_lo_u32 v12, s47, v3
	v_add_nc_u32_e32 v7, v9, v7
	v_mul_lo_u32 v9, s0, v3
	s_delay_alu instid0(VALU_DEP_2) | instskip(NEXT) | instid1(VALU_DEP_2)
	v_add_nc_u32_e32 v7, v7, v12
	v_mul_hi_u32 v12, v3, v9
	s_delay_alu instid0(VALU_DEP_2)
	v_mul_lo_u32 v13, v3, v7
	v_mul_hi_u32 v14, v3, v7
	v_mul_hi_u32 v15, v5, v9
	v_mul_lo_u32 v9, v5, v9
	v_mul_hi_u32 v16, v5, v7
	v_mul_lo_u32 v7, v5, v7
	v_add_co_u32 v12, vcc_lo, v12, v13
	v_add_co_ci_u32_e32 v13, vcc_lo, 0, v14, vcc_lo
	s_delay_alu instid0(VALU_DEP_2) | instskip(NEXT) | instid1(VALU_DEP_2)
	v_add_co_u32 v9, vcc_lo, v12, v9
	v_add_co_ci_u32_e32 v9, vcc_lo, v13, v15, vcc_lo
	v_add_co_ci_u32_e32 v12, vcc_lo, 0, v16, vcc_lo
	s_delay_alu instid0(VALU_DEP_2) | instskip(NEXT) | instid1(VALU_DEP_2)
	v_add_co_u32 v7, vcc_lo, v9, v7
	v_add_co_ci_u32_e32 v9, vcc_lo, 0, v12, vcc_lo
	s_delay_alu instid0(VALU_DEP_2) | instskip(NEXT) | instid1(VALU_DEP_2)
	v_add_co_u32 v3, vcc_lo, v3, v7
	v_add_co_ci_u32_e32 v5, vcc_lo, v5, v9, vcc_lo
	s_delay_alu instid0(VALU_DEP_2) | instskip(SKIP_1) | instid1(VALU_DEP_3)
	v_mul_hi_u32 v7, s0, v3
	v_mul_lo_u32 v12, s47, v3
	v_mul_lo_u32 v9, s0, v5
	s_delay_alu instid0(VALU_DEP_1) | instskip(SKIP_1) | instid1(VALU_DEP_2)
	v_add_nc_u32_e32 v7, v7, v9
	v_mul_lo_u32 v9, s0, v3
	v_add_nc_u32_e32 v7, v7, v12
	s_delay_alu instid0(VALU_DEP_2) | instskip(NEXT) | instid1(VALU_DEP_2)
	v_mul_hi_u32 v12, v3, v9
	v_mul_lo_u32 v13, v3, v7
	v_mul_hi_u32 v14, v3, v7
	v_mul_hi_u32 v15, v5, v9
	v_mul_lo_u32 v9, v5, v9
	v_mul_hi_u32 v16, v5, v7
	v_mul_lo_u32 v7, v5, v7
	v_add_co_u32 v12, vcc_lo, v12, v13
	v_add_co_ci_u32_e32 v13, vcc_lo, 0, v14, vcc_lo
	s_delay_alu instid0(VALU_DEP_2) | instskip(NEXT) | instid1(VALU_DEP_2)
	v_add_co_u32 v9, vcc_lo, v12, v9
	v_add_co_ci_u32_e32 v9, vcc_lo, v13, v15, vcc_lo
	v_add_co_ci_u32_e32 v12, vcc_lo, 0, v16, vcc_lo
	v_add_co_u32 v13, vcc_lo, v10, v17
	v_add_co_ci_u32_e32 v11, vcc_lo, v11, v17, vcc_lo
	s_delay_alu instid0(VALU_DEP_4) | instskip(NEXT) | instid1(VALU_DEP_4)
	v_add_co_u32 v7, vcc_lo, v9, v7
	v_add_co_ci_u32_e32 v9, vcc_lo, 0, v12, vcc_lo
	s_delay_alu instid0(VALU_DEP_4) | instskip(NEXT) | instid1(VALU_DEP_3)
	v_xor_b32_e32 v21, v13, v17
	v_add_co_u32 v3, vcc_lo, v3, v7
	s_delay_alu instid0(VALU_DEP_3) | instskip(SKIP_1) | instid1(VALU_DEP_3)
	v_add_co_ci_u32_e32 v5, vcc_lo, v5, v9, vcc_lo
	v_xor_b32_e32 v7, v11, v17
	v_mul_hi_u32 v9, v21, v3
	s_delay_alu instid0(VALU_DEP_3) | instskip(NEXT) | instid1(VALU_DEP_3)
	v_mad_u64_u32 v[11:12], null, v21, v5, 0
	v_mad_u64_u32 v[13:14], null, v7, v3, 0
	;; [unrolled: 1-line block ×3, first 2 shown]
	s_delay_alu instid0(VALU_DEP_3) | instskip(NEXT) | instid1(VALU_DEP_4)
	v_add_co_u32 v3, vcc_lo, v9, v11
	v_add_co_ci_u32_e32 v5, vcc_lo, 0, v12, vcc_lo
	s_delay_alu instid0(VALU_DEP_2) | instskip(NEXT) | instid1(VALU_DEP_2)
	v_add_co_u32 v3, vcc_lo, v3, v13
	v_add_co_ci_u32_e32 v3, vcc_lo, v5, v14, vcc_lo
	v_add_co_ci_u32_e32 v5, vcc_lo, 0, v16, vcc_lo
	s_delay_alu instid0(VALU_DEP_2) | instskip(NEXT) | instid1(VALU_DEP_2)
	v_add_co_u32 v3, vcc_lo, v3, v15
	v_add_co_ci_u32_e32 v5, vcc_lo, 0, v5, vcc_lo
	s_delay_alu instid0(VALU_DEP_2) | instskip(SKIP_1) | instid1(VALU_DEP_3)
	v_mul_lo_u32 v9, s25, v3
	v_mad_u64_u32 v[11:12], null, s24, v3, 0
	v_mul_lo_u32 v13, s24, v5
	s_delay_alu instid0(VALU_DEP_2) | instskip(NEXT) | instid1(VALU_DEP_2)
	v_sub_co_u32 v11, vcc_lo, v21, v11
	v_add3_u32 v9, v12, v13, v9
	s_delay_alu instid0(VALU_DEP_1) | instskip(NEXT) | instid1(VALU_DEP_1)
	v_sub_nc_u32_e32 v12, v7, v9
	v_subrev_co_ci_u32_e64 v12, s0, s25, v12, vcc_lo
	v_add_co_u32 v13, s0, v3, 2
	s_delay_alu instid0(VALU_DEP_1) | instskip(SKIP_3) | instid1(VALU_DEP_3)
	v_add_co_ci_u32_e64 v14, s0, 0, v5, s0
	v_sub_co_u32 v15, s0, v11, s24
	v_sub_co_ci_u32_e32 v7, vcc_lo, v7, v9, vcc_lo
	v_subrev_co_ci_u32_e64 v12, s0, 0, v12, s0
	v_cmp_le_u32_e32 vcc_lo, s24, v15
	s_delay_alu instid0(VALU_DEP_3) | instskip(SKIP_1) | instid1(VALU_DEP_4)
	v_cmp_eq_u32_e64 s0, s25, v7
	v_cndmask_b32_e64 v9, 0, -1, vcc_lo
	v_cmp_le_u32_e32 vcc_lo, s25, v12
	v_cndmask_b32_e64 v15, 0, -1, vcc_lo
	v_cmp_le_u32_e32 vcc_lo, s24, v11
	;; [unrolled: 2-line block ×3, first 2 shown]
	v_cndmask_b32_e64 v16, 0, -1, vcc_lo
	v_cmp_eq_u32_e32 vcc_lo, s25, v12
	s_delay_alu instid0(VALU_DEP_2) | instskip(SKIP_3) | instid1(VALU_DEP_3)
	v_cndmask_b32_e64 v7, v16, v11, s0
	v_cndmask_b32_e32 v9, v15, v9, vcc_lo
	v_add_co_u32 v12, vcc_lo, v3, 1
	v_add_co_ci_u32_e32 v15, vcc_lo, 0, v5, vcc_lo
	v_cmp_ne_u32_e32 vcc_lo, 0, v9
	s_delay_alu instid0(VALU_DEP_2) | instskip(NEXT) | instid1(VALU_DEP_4)
	v_cndmask_b32_e32 v9, v15, v14, vcc_lo
	v_cndmask_b32_e32 v11, v12, v13, vcc_lo
	v_cmp_ne_u32_e32 vcc_lo, 0, v7
	v_xor_b32_e32 v7, s20, v17
	s_delay_alu instid0(VALU_DEP_3) | instskip(SKIP_2) | instid1(VALU_DEP_3)
	v_cndmask_b32_e32 v3, v3, v11, vcc_lo
	v_cndmask_b32_e32 v5, v5, v9, vcc_lo
	v_xor_b32_e32 v9, s21, v17
	v_xor_b32_e32 v3, v3, v7
	s_delay_alu instid0(VALU_DEP_2) | instskip(NEXT) | instid1(VALU_DEP_2)
	v_xor_b32_e32 v5, v5, v9
	v_sub_co_u32 v12, vcc_lo, v3, v7
	s_delay_alu instid0(VALU_DEP_2)
	v_sub_co_ci_u32_e32 v13, vcc_lo, v5, v9, vcc_lo
.LBB5_28:                               ;   in Loop: Header=BB5_22 Depth=2
	s_and_not1_saveexec_b32 s0, s46
	s_cbranch_execz .LBB5_30
; %bb.29:                               ;   in Loop: Header=BB5_22 Depth=2
	v_cvt_f32_u32_e32 v3, s45
	s_sub_i32 s20, 0, s45
	v_mov_b32_e32 v13, v2
	s_delay_alu instid0(VALU_DEP_2) | instskip(SKIP_2) | instid1(VALU_DEP_1)
	v_rcp_iflag_f32_e32 v3, v3
	s_waitcnt_depctr 0xfff
	v_mul_f32_e32 v3, 0x4f7ffffe, v3
	v_cvt_u32_f32_e32 v3, v3
	s_delay_alu instid0(VALU_DEP_1) | instskip(NEXT) | instid1(VALU_DEP_1)
	v_mul_lo_u32 v5, s20, v3
	v_mul_hi_u32 v5, v3, v5
	s_delay_alu instid0(VALU_DEP_1) | instskip(NEXT) | instid1(VALU_DEP_1)
	v_add_nc_u32_e32 v3, v3, v5
	v_mul_hi_u32 v3, v10, v3
	s_delay_alu instid0(VALU_DEP_1) | instskip(SKIP_1) | instid1(VALU_DEP_2)
	v_mul_lo_u32 v5, v3, s45
	v_add_nc_u32_e32 v7, 1, v3
	v_sub_nc_u32_e32 v5, v10, v5
	s_delay_alu instid0(VALU_DEP_1) | instskip(SKIP_1) | instid1(VALU_DEP_4)
	v_cmp_le_u32_e32 vcc_lo, s45, v5
	v_subrev_nc_u32_e32 v9, s45, v5
	v_cndmask_b32_e32 v3, v3, v7, vcc_lo
	s_delay_alu instid0(VALU_DEP_1) | instskip(NEXT) | instid1(VALU_DEP_3)
	v_add_nc_u32_e32 v7, 1, v3
	v_cndmask_b32_e32 v5, v5, v9, vcc_lo
	s_delay_alu instid0(VALU_DEP_1) | instskip(NEXT) | instid1(VALU_DEP_3)
	v_cmp_le_u32_e32 vcc_lo, s45, v5
	v_cndmask_b32_e32 v12, v3, v7, vcc_lo
.LBB5_30:                               ;   in Loop: Header=BB5_22 Depth=2
	s_or_b32 exec_lo, exec_lo, s0
	s_add_u32 s24, s31, s22
	s_addc_u32 s25, s33, s23
	s_add_i32 s20, s16, -2
	s_mov_b32 s21, s17
                                        ; implicit-def: $vgpr14_vgpr15
	s_delay_alu instid0(SALU_CYCLE_1) | instskip(NEXT) | instid1(SALU_CYCLE_1)
	s_lshl_b64 s[20:21], s[20:21], 2
	s_add_u32 s22, s27, s20
	s_addc_u32 s23, s28, s21
	s_clause 0x2
	s_load_b32 s48, s[22:23], 0x8
	s_load_b32 s46, s[18:19], 0x6c
	;; [unrolled: 1-line block ×3, first 2 shown]
	s_mov_b32 s18, exec_lo
	s_waitcnt lgkmcnt(0)
	s_ashr_i32 s0, s48, 31
	s_delay_alu instid0(SALU_CYCLE_1) | instskip(NEXT) | instid1(VALU_DEP_1)
	v_or_b32_e32 v3, s0, v13
	v_cmpx_ne_u64_e32 0, v[2:3]
	s_xor_b32 s49, exec_lo, s18
	s_cbranch_execz .LBB5_32
; %bb.31:                               ;   in Loop: Header=BB5_22 Depth=2
	s_add_u32 s24, s48, s0
	s_mov_b32 s18, s0
	s_mov_b32 s19, s0
	s_addc_u32 s25, s0, s0
	s_delay_alu instid0(SALU_CYCLE_1) | instskip(NEXT) | instid1(SALU_CYCLE_1)
	s_xor_b64 s[24:25], s[24:25], s[18:19]
	v_cvt_f32_u32_e32 v3, s24
	v_cvt_f32_u32_e32 v5, s25
	s_sub_u32 s0, 0, s24
	s_subb_u32 s50, 0, s25
	s_delay_alu instid0(VALU_DEP_1) | instskip(NEXT) | instid1(VALU_DEP_1)
	v_fmac_f32_e32 v3, 0x4f800000, v5
	v_rcp_f32_e32 v3, v3
	s_waitcnt_depctr 0xfff
	v_mul_f32_e32 v3, 0x5f7ffffc, v3
	s_delay_alu instid0(VALU_DEP_1) | instskip(NEXT) | instid1(VALU_DEP_1)
	v_mul_f32_e32 v5, 0x2f800000, v3
	v_trunc_f32_e32 v5, v5
	s_delay_alu instid0(VALU_DEP_1) | instskip(SKIP_1) | instid1(VALU_DEP_2)
	v_fmac_f32_e32 v3, 0xcf800000, v5
	v_cvt_u32_f32_e32 v5, v5
	v_cvt_u32_f32_e32 v3, v3
	s_delay_alu instid0(VALU_DEP_2) | instskip(NEXT) | instid1(VALU_DEP_2)
	v_mul_lo_u32 v7, s0, v5
	v_mul_hi_u32 v9, s0, v3
	v_mul_lo_u32 v11, s50, v3
	s_delay_alu instid0(VALU_DEP_2) | instskip(SKIP_1) | instid1(VALU_DEP_2)
	v_add_nc_u32_e32 v7, v9, v7
	v_mul_lo_u32 v9, s0, v3
	v_add_nc_u32_e32 v7, v7, v11
	s_delay_alu instid0(VALU_DEP_2) | instskip(NEXT) | instid1(VALU_DEP_2)
	v_mul_hi_u32 v11, v3, v9
	v_mul_lo_u32 v14, v3, v7
	v_mul_hi_u32 v15, v3, v7
	v_mul_hi_u32 v16, v5, v9
	v_mul_lo_u32 v9, v5, v9
	v_mul_hi_u32 v17, v5, v7
	v_mul_lo_u32 v7, v5, v7
	v_add_co_u32 v11, vcc_lo, v11, v14
	v_add_co_ci_u32_e32 v14, vcc_lo, 0, v15, vcc_lo
	s_delay_alu instid0(VALU_DEP_2) | instskip(NEXT) | instid1(VALU_DEP_2)
	v_add_co_u32 v9, vcc_lo, v11, v9
	v_add_co_ci_u32_e32 v9, vcc_lo, v14, v16, vcc_lo
	v_add_co_ci_u32_e32 v11, vcc_lo, 0, v17, vcc_lo
	v_ashrrev_i32_e32 v17, 31, v13
	s_delay_alu instid0(VALU_DEP_3) | instskip(NEXT) | instid1(VALU_DEP_3)
	v_add_co_u32 v7, vcc_lo, v9, v7
	v_add_co_ci_u32_e32 v9, vcc_lo, 0, v11, vcc_lo
	s_delay_alu instid0(VALU_DEP_2) | instskip(NEXT) | instid1(VALU_DEP_2)
	v_add_co_u32 v3, vcc_lo, v3, v7
	v_add_co_ci_u32_e32 v5, vcc_lo, v5, v9, vcc_lo
	s_delay_alu instid0(VALU_DEP_2) | instskip(SKIP_1) | instid1(VALU_DEP_3)
	v_mul_hi_u32 v7, s0, v3
	v_mul_lo_u32 v11, s50, v3
	v_mul_lo_u32 v9, s0, v5
	s_delay_alu instid0(VALU_DEP_1) | instskip(SKIP_1) | instid1(VALU_DEP_2)
	v_add_nc_u32_e32 v7, v7, v9
	v_mul_lo_u32 v9, s0, v3
	v_add_nc_u32_e32 v7, v7, v11
	s_delay_alu instid0(VALU_DEP_2) | instskip(NEXT) | instid1(VALU_DEP_2)
	v_mul_hi_u32 v11, v3, v9
	v_mul_lo_u32 v14, v3, v7
	v_mul_hi_u32 v15, v3, v7
	v_mul_hi_u32 v16, v5, v9
	v_mul_lo_u32 v9, v5, v9
	v_mul_hi_u32 v21, v5, v7
	v_mul_lo_u32 v7, v5, v7
	v_add_co_u32 v11, vcc_lo, v11, v14
	v_add_co_ci_u32_e32 v14, vcc_lo, 0, v15, vcc_lo
	s_delay_alu instid0(VALU_DEP_2) | instskip(NEXT) | instid1(VALU_DEP_2)
	v_add_co_u32 v9, vcc_lo, v11, v9
	v_add_co_ci_u32_e32 v9, vcc_lo, v14, v16, vcc_lo
	v_add_co_ci_u32_e32 v11, vcc_lo, 0, v21, vcc_lo
	v_add_co_u32 v14, vcc_lo, v12, v17
	v_add_co_ci_u32_e32 v13, vcc_lo, v13, v17, vcc_lo
	s_delay_alu instid0(VALU_DEP_4) | instskip(NEXT) | instid1(VALU_DEP_4)
	v_add_co_u32 v7, vcc_lo, v9, v7
	v_add_co_ci_u32_e32 v9, vcc_lo, 0, v11, vcc_lo
	s_delay_alu instid0(VALU_DEP_4) | instskip(NEXT) | instid1(VALU_DEP_3)
	v_xor_b32_e32 v11, v14, v17
	v_add_co_u32 v3, vcc_lo, v3, v7
	s_delay_alu instid0(VALU_DEP_3) | instskip(SKIP_1) | instid1(VALU_DEP_3)
	v_add_co_ci_u32_e32 v5, vcc_lo, v5, v9, vcc_lo
	v_xor_b32_e32 v7, v13, v17
	v_mul_hi_u32 v9, v11, v3
	s_delay_alu instid0(VALU_DEP_3) | instskip(NEXT) | instid1(VALU_DEP_3)
	v_mad_u64_u32 v[13:14], null, v11, v5, 0
	v_mad_u64_u32 v[15:16], null, v7, v3, 0
	;; [unrolled: 1-line block ×3, first 2 shown]
	s_delay_alu instid0(VALU_DEP_3) | instskip(NEXT) | instid1(VALU_DEP_4)
	v_add_co_u32 v3, vcc_lo, v9, v13
	v_add_co_ci_u32_e32 v5, vcc_lo, 0, v14, vcc_lo
	s_delay_alu instid0(VALU_DEP_2) | instskip(NEXT) | instid1(VALU_DEP_2)
	v_add_co_u32 v3, vcc_lo, v3, v15
	v_add_co_ci_u32_e32 v3, vcc_lo, v5, v16, vcc_lo
	v_add_co_ci_u32_e32 v5, vcc_lo, 0, v22, vcc_lo
	s_delay_alu instid0(VALU_DEP_2) | instskip(NEXT) | instid1(VALU_DEP_2)
	v_add_co_u32 v3, vcc_lo, v3, v21
	v_add_co_ci_u32_e32 v5, vcc_lo, 0, v5, vcc_lo
	s_delay_alu instid0(VALU_DEP_2) | instskip(SKIP_1) | instid1(VALU_DEP_3)
	v_mul_lo_u32 v9, s25, v3
	v_mad_u64_u32 v[13:14], null, s24, v3, 0
	v_mul_lo_u32 v15, s24, v5
	s_delay_alu instid0(VALU_DEP_2) | instskip(NEXT) | instid1(VALU_DEP_2)
	v_sub_co_u32 v11, vcc_lo, v11, v13
	v_add3_u32 v9, v14, v15, v9
	s_delay_alu instid0(VALU_DEP_1) | instskip(NEXT) | instid1(VALU_DEP_1)
	v_sub_nc_u32_e32 v14, v7, v9
	v_subrev_co_ci_u32_e64 v13, s0, s25, v14, vcc_lo
	v_add_co_u32 v14, s0, v3, 2
	s_delay_alu instid0(VALU_DEP_1) | instskip(SKIP_3) | instid1(VALU_DEP_3)
	v_add_co_ci_u32_e64 v15, s0, 0, v5, s0
	v_sub_co_u32 v16, s0, v11, s24
	v_sub_co_ci_u32_e32 v7, vcc_lo, v7, v9, vcc_lo
	v_subrev_co_ci_u32_e64 v13, s0, 0, v13, s0
	v_cmp_le_u32_e32 vcc_lo, s24, v16
	s_delay_alu instid0(VALU_DEP_3) | instskip(SKIP_1) | instid1(VALU_DEP_4)
	v_cmp_eq_u32_e64 s0, s25, v7
	v_cndmask_b32_e64 v9, 0, -1, vcc_lo
	v_cmp_le_u32_e32 vcc_lo, s25, v13
	v_cndmask_b32_e64 v16, 0, -1, vcc_lo
	v_cmp_le_u32_e32 vcc_lo, s24, v11
	;; [unrolled: 2-line block ×3, first 2 shown]
	v_cndmask_b32_e64 v21, 0, -1, vcc_lo
	v_cmp_eq_u32_e32 vcc_lo, s25, v13
	s_delay_alu instid0(VALU_DEP_2) | instskip(SKIP_3) | instid1(VALU_DEP_3)
	v_cndmask_b32_e64 v7, v21, v11, s0
	v_cndmask_b32_e32 v9, v16, v9, vcc_lo
	v_add_co_u32 v13, vcc_lo, v3, 1
	v_add_co_ci_u32_e32 v16, vcc_lo, 0, v5, vcc_lo
	v_cmp_ne_u32_e32 vcc_lo, 0, v9
	s_delay_alu instid0(VALU_DEP_2) | instskip(NEXT) | instid1(VALU_DEP_4)
	v_cndmask_b32_e32 v9, v16, v15, vcc_lo
	v_cndmask_b32_e32 v11, v13, v14, vcc_lo
	v_cmp_ne_u32_e32 vcc_lo, 0, v7
	v_xor_b32_e32 v7, s18, v17
	s_delay_alu instid0(VALU_DEP_3) | instskip(SKIP_2) | instid1(VALU_DEP_3)
	v_cndmask_b32_e32 v3, v3, v11, vcc_lo
	v_cndmask_b32_e32 v5, v5, v9, vcc_lo
	v_xor_b32_e32 v9, s19, v17
	v_xor_b32_e32 v3, v3, v7
	s_delay_alu instid0(VALU_DEP_2) | instskip(NEXT) | instid1(VALU_DEP_2)
	v_xor_b32_e32 v5, v5, v9
	v_sub_co_u32 v14, vcc_lo, v3, v7
	s_delay_alu instid0(VALU_DEP_2)
	v_sub_co_ci_u32_e32 v15, vcc_lo, v5, v9, vcc_lo
.LBB5_32:                               ;   in Loop: Header=BB5_22 Depth=2
	s_and_not1_saveexec_b32 s0, s49
	s_cbranch_execz .LBB5_34
; %bb.33:                               ;   in Loop: Header=BB5_22 Depth=2
	v_cvt_f32_u32_e32 v3, s48
	s_sub_i32 s18, 0, s48
	v_mov_b32_e32 v15, v2
	s_delay_alu instid0(VALU_DEP_2) | instskip(SKIP_2) | instid1(VALU_DEP_1)
	v_rcp_iflag_f32_e32 v3, v3
	s_waitcnt_depctr 0xfff
	v_mul_f32_e32 v3, 0x4f7ffffe, v3
	v_cvt_u32_f32_e32 v3, v3
	s_delay_alu instid0(VALU_DEP_1) | instskip(NEXT) | instid1(VALU_DEP_1)
	v_mul_lo_u32 v5, s18, v3
	v_mul_hi_u32 v5, v3, v5
	s_delay_alu instid0(VALU_DEP_1) | instskip(NEXT) | instid1(VALU_DEP_1)
	v_add_nc_u32_e32 v3, v3, v5
	v_mul_hi_u32 v3, v12, v3
	s_delay_alu instid0(VALU_DEP_1) | instskip(SKIP_1) | instid1(VALU_DEP_2)
	v_mul_lo_u32 v5, v3, s48
	v_add_nc_u32_e32 v7, 1, v3
	v_sub_nc_u32_e32 v5, v12, v5
	s_delay_alu instid0(VALU_DEP_1) | instskip(SKIP_1) | instid1(VALU_DEP_4)
	v_cmp_le_u32_e32 vcc_lo, s48, v5
	v_subrev_nc_u32_e32 v9, s48, v5
	v_cndmask_b32_e32 v3, v3, v7, vcc_lo
	s_delay_alu instid0(VALU_DEP_1) | instskip(NEXT) | instid1(VALU_DEP_3)
	v_add_nc_u32_e32 v7, 1, v3
	v_cndmask_b32_e32 v5, v5, v9, vcc_lo
	s_delay_alu instid0(VALU_DEP_1) | instskip(NEXT) | instid1(VALU_DEP_3)
	v_cmp_le_u32_e32 vcc_lo, s48, v5
	v_cndmask_b32_e32 v14, v3, v7, vcc_lo
.LBB5_34:                               ;   in Loop: Header=BB5_22 Depth=2
	s_or_b32 exec_lo, exec_lo, s0
	s_add_u32 s24, s31, s20
	s_addc_u32 s25, s33, s21
	s_add_i32 s18, s16, -3
	s_mov_b32 s19, s17
                                        ; implicit-def: $vgpr16_vgpr17
	s_delay_alu instid0(SALU_CYCLE_1) | instskip(NEXT) | instid1(SALU_CYCLE_1)
	s_lshl_b64 s[20:21], s[18:19], 2
	s_add_u32 s18, s27, s20
	s_addc_u32 s19, s28, s21
	s_clause 0x2
	s_load_b32 s51, s[18:19], 0x8
	s_load_b32 s49, s[22:23], 0x6c
	;; [unrolled: 1-line block ×3, first 2 shown]
	s_mov_b32 s22, exec_lo
	s_waitcnt lgkmcnt(0)
	s_ashr_i32 s0, s51, 31
	s_delay_alu instid0(SALU_CYCLE_1) | instskip(NEXT) | instid1(VALU_DEP_1)
	v_or_b32_e32 v3, s0, v15
	v_cmpx_ne_u64_e32 0, v[2:3]
	s_xor_b32 s52, exec_lo, s22
	s_cbranch_execz .LBB5_36
; %bb.35:                               ;   in Loop: Header=BB5_22 Depth=2
	s_add_u32 s24, s51, s0
	s_mov_b32 s22, s0
	s_mov_b32 s23, s0
	s_addc_u32 s25, s0, s0
	s_delay_alu instid0(SALU_CYCLE_1) | instskip(NEXT) | instid1(SALU_CYCLE_1)
	s_xor_b64 s[24:25], s[24:25], s[22:23]
	v_cvt_f32_u32_e32 v3, s24
	v_cvt_f32_u32_e32 v5, s25
	s_sub_u32 s0, 0, s24
	s_subb_u32 s53, 0, s25
	s_delay_alu instid0(VALU_DEP_1) | instskip(NEXT) | instid1(VALU_DEP_1)
	v_fmac_f32_e32 v3, 0x4f800000, v5
	v_rcp_f32_e32 v3, v3
	s_waitcnt_depctr 0xfff
	v_mul_f32_e32 v3, 0x5f7ffffc, v3
	s_delay_alu instid0(VALU_DEP_1) | instskip(NEXT) | instid1(VALU_DEP_1)
	v_mul_f32_e32 v5, 0x2f800000, v3
	v_trunc_f32_e32 v5, v5
	s_delay_alu instid0(VALU_DEP_1) | instskip(SKIP_1) | instid1(VALU_DEP_2)
	v_fmac_f32_e32 v3, 0xcf800000, v5
	v_cvt_u32_f32_e32 v5, v5
	v_cvt_u32_f32_e32 v3, v3
	s_delay_alu instid0(VALU_DEP_2) | instskip(NEXT) | instid1(VALU_DEP_2)
	v_mul_lo_u32 v7, s0, v5
	v_mul_hi_u32 v9, s0, v3
	v_mul_lo_u32 v11, s53, v3
	s_delay_alu instid0(VALU_DEP_2) | instskip(SKIP_1) | instid1(VALU_DEP_2)
	v_add_nc_u32_e32 v7, v9, v7
	v_mul_lo_u32 v9, s0, v3
	v_add_nc_u32_e32 v7, v7, v11
	s_delay_alu instid0(VALU_DEP_2) | instskip(NEXT) | instid1(VALU_DEP_2)
	v_mul_hi_u32 v11, v3, v9
	v_mul_lo_u32 v13, v3, v7
	v_mul_hi_u32 v16, v3, v7
	v_mul_hi_u32 v17, v5, v9
	v_mul_lo_u32 v9, v5, v9
	v_mul_hi_u32 v21, v5, v7
	v_mul_lo_u32 v7, v5, v7
	v_add_co_u32 v11, vcc_lo, v11, v13
	v_add_co_ci_u32_e32 v13, vcc_lo, 0, v16, vcc_lo
	s_delay_alu instid0(VALU_DEP_2) | instskip(NEXT) | instid1(VALU_DEP_2)
	v_add_co_u32 v9, vcc_lo, v11, v9
	v_add_co_ci_u32_e32 v9, vcc_lo, v13, v17, vcc_lo
	v_add_co_ci_u32_e32 v11, vcc_lo, 0, v21, vcc_lo
	v_ashrrev_i32_e32 v17, 31, v15
	s_delay_alu instid0(VALU_DEP_3) | instskip(NEXT) | instid1(VALU_DEP_3)
	v_add_co_u32 v7, vcc_lo, v9, v7
	v_add_co_ci_u32_e32 v9, vcc_lo, 0, v11, vcc_lo
	s_delay_alu instid0(VALU_DEP_2) | instskip(NEXT) | instid1(VALU_DEP_2)
	v_add_co_u32 v3, vcc_lo, v3, v7
	v_add_co_ci_u32_e32 v5, vcc_lo, v5, v9, vcc_lo
	s_delay_alu instid0(VALU_DEP_2) | instskip(SKIP_1) | instid1(VALU_DEP_3)
	v_mul_hi_u32 v7, s0, v3
	v_mul_lo_u32 v11, s53, v3
	v_mul_lo_u32 v9, s0, v5
	s_delay_alu instid0(VALU_DEP_1) | instskip(SKIP_1) | instid1(VALU_DEP_2)
	v_add_nc_u32_e32 v7, v7, v9
	v_mul_lo_u32 v9, s0, v3
	v_add_nc_u32_e32 v7, v7, v11
	s_delay_alu instid0(VALU_DEP_2) | instskip(NEXT) | instid1(VALU_DEP_2)
	v_mul_hi_u32 v11, v3, v9
	v_mul_lo_u32 v13, v3, v7
	v_mul_hi_u32 v16, v3, v7
	v_mul_hi_u32 v21, v5, v9
	v_mul_lo_u32 v9, v5, v9
	v_mul_hi_u32 v22, v5, v7
	v_mul_lo_u32 v7, v5, v7
	v_add_co_u32 v11, vcc_lo, v11, v13
	v_add_co_ci_u32_e32 v13, vcc_lo, 0, v16, vcc_lo
	s_delay_alu instid0(VALU_DEP_2) | instskip(NEXT) | instid1(VALU_DEP_2)
	v_add_co_u32 v9, vcc_lo, v11, v9
	v_add_co_ci_u32_e32 v9, vcc_lo, v13, v21, vcc_lo
	v_add_co_ci_u32_e32 v11, vcc_lo, 0, v22, vcc_lo
	v_add_co_u32 v13, vcc_lo, v14, v17
	v_add_co_ci_u32_e32 v15, vcc_lo, v15, v17, vcc_lo
	s_delay_alu instid0(VALU_DEP_4) | instskip(NEXT) | instid1(VALU_DEP_4)
	v_add_co_u32 v7, vcc_lo, v9, v7
	v_add_co_ci_u32_e32 v9, vcc_lo, 0, v11, vcc_lo
	s_delay_alu instid0(VALU_DEP_4) | instskip(NEXT) | instid1(VALU_DEP_3)
	v_xor_b32_e32 v11, v13, v17
	v_add_co_u32 v3, vcc_lo, v3, v7
	s_delay_alu instid0(VALU_DEP_3) | instskip(SKIP_1) | instid1(VALU_DEP_3)
	v_add_co_ci_u32_e32 v5, vcc_lo, v5, v9, vcc_lo
	v_xor_b32_e32 v7, v15, v17
	v_mul_hi_u32 v9, v11, v3
	s_delay_alu instid0(VALU_DEP_3) | instskip(NEXT) | instid1(VALU_DEP_3)
	v_mad_u64_u32 v[15:16], null, v11, v5, 0
	v_mad_u64_u32 v[21:22], null, v7, v3, 0
	;; [unrolled: 1-line block ×3, first 2 shown]
	s_delay_alu instid0(VALU_DEP_3) | instskip(NEXT) | instid1(VALU_DEP_4)
	v_add_co_u32 v3, vcc_lo, v9, v15
	v_add_co_ci_u32_e32 v5, vcc_lo, 0, v16, vcc_lo
	s_delay_alu instid0(VALU_DEP_2) | instskip(NEXT) | instid1(VALU_DEP_2)
	v_add_co_u32 v3, vcc_lo, v3, v21
	v_add_co_ci_u32_e32 v3, vcc_lo, v5, v22, vcc_lo
	v_add_co_ci_u32_e32 v5, vcc_lo, 0, v24, vcc_lo
	s_delay_alu instid0(VALU_DEP_2) | instskip(NEXT) | instid1(VALU_DEP_2)
	v_add_co_u32 v3, vcc_lo, v3, v23
	v_add_co_ci_u32_e32 v5, vcc_lo, 0, v5, vcc_lo
	s_delay_alu instid0(VALU_DEP_2) | instskip(SKIP_1) | instid1(VALU_DEP_3)
	v_mul_lo_u32 v9, s25, v3
	v_mad_u64_u32 v[15:16], null, s24, v3, 0
	v_mul_lo_u32 v13, s24, v5
	s_delay_alu instid0(VALU_DEP_2) | instskip(NEXT) | instid1(VALU_DEP_2)
	v_sub_co_u32 v11, vcc_lo, v11, v15
	v_add3_u32 v9, v16, v13, v9
	s_delay_alu instid0(VALU_DEP_1) | instskip(NEXT) | instid1(VALU_DEP_1)
	v_sub_nc_u32_e32 v13, v7, v9
	v_subrev_co_ci_u32_e64 v13, s0, s25, v13, vcc_lo
	v_add_co_u32 v15, s0, v3, 2
	s_delay_alu instid0(VALU_DEP_1) | instskip(SKIP_3) | instid1(VALU_DEP_3)
	v_add_co_ci_u32_e64 v16, s0, 0, v5, s0
	v_sub_co_u32 v21, s0, v11, s24
	v_sub_co_ci_u32_e32 v7, vcc_lo, v7, v9, vcc_lo
	v_subrev_co_ci_u32_e64 v13, s0, 0, v13, s0
	v_cmp_le_u32_e32 vcc_lo, s24, v21
	s_delay_alu instid0(VALU_DEP_3) | instskip(SKIP_1) | instid1(VALU_DEP_4)
	v_cmp_eq_u32_e64 s0, s25, v7
	v_cndmask_b32_e64 v9, 0, -1, vcc_lo
	v_cmp_le_u32_e32 vcc_lo, s25, v13
	v_cndmask_b32_e64 v21, 0, -1, vcc_lo
	v_cmp_le_u32_e32 vcc_lo, s24, v11
	;; [unrolled: 2-line block ×3, first 2 shown]
	v_cndmask_b32_e64 v22, 0, -1, vcc_lo
	v_cmp_eq_u32_e32 vcc_lo, s25, v13
	s_delay_alu instid0(VALU_DEP_2) | instskip(SKIP_3) | instid1(VALU_DEP_3)
	v_cndmask_b32_e64 v7, v22, v11, s0
	v_cndmask_b32_e32 v9, v21, v9, vcc_lo
	v_add_co_u32 v13, vcc_lo, v3, 1
	v_add_co_ci_u32_e32 v21, vcc_lo, 0, v5, vcc_lo
	v_cmp_ne_u32_e32 vcc_lo, 0, v9
	s_delay_alu instid0(VALU_DEP_2) | instskip(NEXT) | instid1(VALU_DEP_4)
	v_cndmask_b32_e32 v9, v21, v16, vcc_lo
	v_cndmask_b32_e32 v11, v13, v15, vcc_lo
	v_cmp_ne_u32_e32 vcc_lo, 0, v7
	v_xor_b32_e32 v7, s22, v17
	s_delay_alu instid0(VALU_DEP_3) | instskip(SKIP_2) | instid1(VALU_DEP_3)
	v_cndmask_b32_e32 v3, v3, v11, vcc_lo
	v_cndmask_b32_e32 v5, v5, v9, vcc_lo
	v_xor_b32_e32 v9, s23, v17
	v_xor_b32_e32 v3, v3, v7
	s_delay_alu instid0(VALU_DEP_2) | instskip(NEXT) | instid1(VALU_DEP_2)
	v_xor_b32_e32 v5, v5, v9
	v_sub_co_u32 v16, vcc_lo, v3, v7
	s_delay_alu instid0(VALU_DEP_2)
	v_sub_co_ci_u32_e32 v17, vcc_lo, v5, v9, vcc_lo
.LBB5_36:                               ;   in Loop: Header=BB5_22 Depth=2
	s_and_not1_saveexec_b32 s0, s52
	s_cbranch_execz .LBB5_38
; %bb.37:                               ;   in Loop: Header=BB5_22 Depth=2
	v_cvt_f32_u32_e32 v3, s51
	s_sub_i32 s22, 0, s51
	v_mov_b32_e32 v17, v2
	s_delay_alu instid0(VALU_DEP_2) | instskip(SKIP_2) | instid1(VALU_DEP_1)
	v_rcp_iflag_f32_e32 v3, v3
	s_waitcnt_depctr 0xfff
	v_mul_f32_e32 v3, 0x4f7ffffe, v3
	v_cvt_u32_f32_e32 v3, v3
	s_delay_alu instid0(VALU_DEP_1) | instskip(NEXT) | instid1(VALU_DEP_1)
	v_mul_lo_u32 v5, s22, v3
	v_mul_hi_u32 v5, v3, v5
	s_delay_alu instid0(VALU_DEP_1) | instskip(NEXT) | instid1(VALU_DEP_1)
	v_add_nc_u32_e32 v3, v3, v5
	v_mul_hi_u32 v3, v14, v3
	s_delay_alu instid0(VALU_DEP_1) | instskip(SKIP_1) | instid1(VALU_DEP_2)
	v_mul_lo_u32 v5, v3, s51
	v_add_nc_u32_e32 v7, 1, v3
	v_sub_nc_u32_e32 v5, v14, v5
	s_delay_alu instid0(VALU_DEP_1) | instskip(SKIP_1) | instid1(VALU_DEP_4)
	v_cmp_le_u32_e32 vcc_lo, s51, v5
	v_subrev_nc_u32_e32 v9, s51, v5
	v_cndmask_b32_e32 v3, v3, v7, vcc_lo
	s_delay_alu instid0(VALU_DEP_1) | instskip(NEXT) | instid1(VALU_DEP_3)
	v_add_nc_u32_e32 v7, 1, v3
	v_cndmask_b32_e32 v5, v5, v9, vcc_lo
	s_delay_alu instid0(VALU_DEP_1) | instskip(NEXT) | instid1(VALU_DEP_3)
	v_cmp_le_u32_e32 vcc_lo, s51, v5
	v_cndmask_b32_e32 v16, v3, v7, vcc_lo
.LBB5_38:                               ;   in Loop: Header=BB5_22 Depth=2
	s_or_b32 exec_lo, exec_lo, s0
	s_add_u32 s20, s31, s20
	s_addc_u32 s21, s33, s21
	s_clause 0x1
	s_load_b32 s0, s[18:19], 0x6c
	s_load_b32 s18, s[20:21], 0x0
	v_mul_lo_u32 v3, v10, s42
	v_mul_lo_u32 v5, v12, s45
	;; [unrolled: 1-line block ×4, first 2 shown]
	s_add_i32 s16, s16, -4
	s_delay_alu instid0(SALU_CYCLE_1) | instskip(NEXT) | instid1(VALU_DEP_4)
	s_cmp_eq_u32 s16, -1
	v_sub_nc_u32_e32 v3, v8, v3
	s_delay_alu instid0(VALU_DEP_4) | instskip(NEXT) | instid1(VALU_DEP_4)
	v_sub_nc_u32_e32 v5, v10, v5
	v_sub_nc_u32_e32 v7, v12, v7
	s_delay_alu instid0(VALU_DEP_4) | instskip(NEXT) | instid1(VALU_DEP_4)
	v_sub_nc_u32_e32 v8, v14, v9
	v_mul_lo_u32 v9, s43, v3
	v_mul_lo_u32 v3, s44, v3
	;; [unrolled: 1-line block ×6, first 2 shown]
	s_waitcnt lgkmcnt(0)
	v_mul_lo_u32 v12, s0, v8
	v_mul_lo_u32 v8, s18, v8
	v_add3_u32 v6, v9, v6, v10
	v_add3_u32 v3, v3, v4, v5
	s_delay_alu instid0(VALU_DEP_2) | instskip(NEXT) | instid1(VALU_DEP_2)
	v_add3_u32 v6, v11, v6, v12
	v_add3_u32 v4, v7, v3, v8
	s_cbranch_scc1 .LBB5_40
; %bb.39:                               ;   in Loop: Header=BB5_22 Depth=2
	v_dual_mov_b32 v8, v16 :: v_dual_mov_b32 v9, v17
	s_branch .LBB5_22
.LBB5_40:                               ;   in Loop: Header=BB5_3 Depth=1
	v_sub_nc_u32_e32 v7, v19, v20
	v_mov_b32_e32 v3, 0
	s_mov_b32 s0, exec_lo
	s_delay_alu instid0(VALU_DEP_2) | instskip(NEXT) | instid1(VALU_DEP_1)
	v_ashrrev_i32_e32 v8, 31, v7
	v_cmpx_ge_i64_e64 s[4:5], v[7:8]
	s_cbranch_execz .LBB5_50
; %bb.41:                               ;   in Loop: Header=BB5_3 Depth=1
	v_mov_b32_e32 v3, 0
	s_mov_b32 s16, exec_lo
	v_cmpx_gt_i32_e64 s9, v19
	s_cbranch_execz .LBB5_49
; %bb.42:                               ;   in Loop: Header=BB5_3 Depth=1
	v_ashrrev_i32_e32 v3, 31, v6
	v_add_co_u32 v9, vcc_lo, s2, v6
	v_add_nc_u32_e32 v5, 1, v19
	s_mov_b32 s18, exec_lo
	s_delay_alu instid0(VALU_DEP_3)
	v_add_co_ci_u32_e32 v10, vcc_lo, s3, v3, vcc_lo
	global_load_u8 v3, v[9:10], off
	v_cmpx_gt_i32_e64 s9, v5
	s_xor_b32 s18, exec_lo, s18
	s_cbranch_execz .LBB5_48
; %bb.43:                               ;   in Loop: Header=BB5_3 Depth=1
	v_add_co_u32 v9, vcc_lo, v9, s11
	v_add_co_ci_u32_e32 v10, vcc_lo, s39, v10, vcc_lo
	s_mov_b32 s19, exec_lo
	global_load_u8 v5, v[9:10], off
	s_waitcnt vmcnt(0)
	v_lshlrev_b16 v5, 8, v5
	s_delay_alu instid0(VALU_DEP_1) | instskip(SKIP_1) | instid1(VALU_DEP_2)
	v_or_b32_e32 v3, v3, v5
	v_add_nc_u32_e32 v5, 2, v19
	v_and_b32_e32 v3, 0xffff, v3
	s_delay_alu instid0(VALU_DEP_2)
	v_cmpx_gt_i32_e64 s9, v5
	s_xor_b32 s19, exec_lo, s19
	s_cbranch_execz .LBB5_47
; %bb.44:                               ;   in Loop: Header=BB5_3 Depth=1
	v_add3_u32 v5, s11, s11, v6
	s_mov_b32 s20, exec_lo
	s_delay_alu instid0(VALU_DEP_1) | instskip(SKIP_1) | instid1(VALU_DEP_2)
	v_ashrrev_i32_e32 v6, 31, v5
	v_add_co_u32 v9, vcc_lo, s2, v5
	v_add_co_ci_u32_e32 v10, vcc_lo, s3, v6, vcc_lo
	global_load_u8 v6, v[9:10], off
	v_add_nc_u32_e32 v9, 3, v19
	s_waitcnt vmcnt(0)
	v_lshl_or_b32 v3, v6, 16, v3
	s_delay_alu instid0(VALU_DEP_2)
	v_cmpx_gt_i32_e64 s9, v9
	s_xor_b32 s20, exec_lo, s20
	s_cbranch_execz .LBB5_46
; %bb.45:                               ;   in Loop: Header=BB5_3 Depth=1
	v_add_nc_u32_e32 v5, s11, v5
	s_delay_alu instid0(VALU_DEP_1) | instskip(SKIP_1) | instid1(VALU_DEP_2)
	v_ashrrev_i32_e32 v6, 31, v5
	v_add_co_u32 v5, vcc_lo, s2, v5
	v_add_co_ci_u32_e32 v6, vcc_lo, s3, v6, vcc_lo
	global_load_u8 v5, v[5:6], off
	v_lshrrev_b32_e32 v6, 16, v3
	s_waitcnt vmcnt(0)
	v_lshlrev_b16 v5, 8, v5
	s_delay_alu instid0(VALU_DEP_1) | instskip(NEXT) | instid1(VALU_DEP_1)
	v_or_b32_e32 v5, v6, v5
	v_lshlrev_b32_e32 v5, 16, v5
	s_delay_alu instid0(VALU_DEP_1)
	v_and_or_b32 v3, 0xffff, v3, v5
.LBB5_46:                               ;   in Loop: Header=BB5_3 Depth=1
	s_or_b32 exec_lo, exec_lo, s20
.LBB5_47:                               ;   in Loop: Header=BB5_3 Depth=1
	s_delay_alu instid0(SALU_CYCLE_1)
	s_or_b32 exec_lo, exec_lo, s19
.LBB5_48:                               ;   in Loop: Header=BB5_3 Depth=1
	s_delay_alu instid0(SALU_CYCLE_1)
	s_or_b32 exec_lo, exec_lo, s18
.LBB5_49:                               ;   in Loop: Header=BB5_3 Depth=1
	s_delay_alu instid0(SALU_CYCLE_1)
	s_or_b32 exec_lo, exec_lo, s16
	v_add_nc_u32_e32 v5, 1, v7
	v_cmp_ge_i64_e32 vcc_lo, s[4:5], v[7:8]
	v_add_nc_u32_e32 v9, 3, v7
	s_waitcnt vmcnt(0)
	v_lshrrev_b32_e32 v13, 8, v3
	v_add_nc_u32_e32 v7, 2, v7
	v_ashrrev_i32_e32 v6, 31, v5
	v_lshrrev_b32_e32 v11, 16, v3
	v_cndmask_b32_e32 v12, 0, v3, vcc_lo
	v_ashrrev_i32_e32 v10, 31, v9
	v_lshrrev_b32_e32 v3, 24, v3
	v_cmp_ge_i64_e32 vcc_lo, s[4:5], v[5:6]
	v_ashrrev_i32_e32 v8, 31, v7
	v_cndmask_b32_e32 v5, 0, v13, vcc_lo
	v_cmp_ge_i64_e32 vcc_lo, s[4:5], v[9:10]
	s_delay_alu instid0(VALU_DEP_2) | instskip(SKIP_3) | instid1(VALU_DEP_1)
	v_lshlrev_b16 v5, 8, v5
	v_cndmask_b32_e32 v3, 0, v3, vcc_lo
	v_cmp_ge_i64_e32 vcc_lo, s[4:5], v[7:8]
	v_dual_cndmask_b32 v6, 0, v11 :: v_dual_and_b32 v7, 0xff, v12
	v_or_b32_e32 v5, v7, v5
	s_delay_alu instid0(VALU_DEP_2) | instskip(SKIP_1) | instid1(VALU_DEP_3)
	v_and_b32_e32 v6, 0xff, v6
	v_lshlrev_b16 v3, 8, v3
	v_and_b32_e32 v5, 0xffff, v5
	s_delay_alu instid0(VALU_DEP_2) | instskip(NEXT) | instid1(VALU_DEP_1)
	v_or_b32_e32 v3, v6, v3
	v_lshlrev_b32_e32 v3, 16, v3
	s_delay_alu instid0(VALU_DEP_1)
	v_or_b32_e32 v3, v5, v3
.LBB5_50:                               ;   in Loop: Header=BB5_3 Depth=1
	s_or_b32 exec_lo, exec_lo, s0
	s_delay_alu instid0(SALU_CYCLE_1)
	s_mov_b32 s0, exec_lo
	v_cmpx_gt_i32_e64 s9, v19
	s_cbranch_execz .LBB5_2
; %bb.51:                               ;   in Loop: Header=BB5_3 Depth=1
	v_ashrrev_i32_e32 v6, 31, v4
	v_add_co_u32 v5, vcc_lo, s14, v4
	v_add_nc_u32_e32 v7, 1, v19
	s_mov_b32 s16, exec_lo
	s_delay_alu instid0(VALU_DEP_3)
	v_add_co_ci_u32_e32 v6, vcc_lo, s15, v6, vcc_lo
	global_store_b8 v[5:6], v3, off
	v_cmpx_gt_i32_e64 s9, v7
	s_xor_b32 s16, exec_lo, s16
	s_cbranch_execz .LBB5_2
; %bb.52:                               ;   in Loop: Header=BB5_3 Depth=1
	v_add_co_u32 v5, vcc_lo, v5, s13
	v_lshrrev_b32_e32 v7, 8, v3
	v_add_nc_u32_e32 v8, 2, v19
	v_add_co_ci_u32_e32 v6, vcc_lo, s40, v6, vcc_lo
	s_mov_b32 s16, exec_lo
	global_store_b8 v[5:6], v7, off
	v_cmpx_gt_i32_e64 s9, v8
	s_xor_b32 s16, exec_lo, s16
	s_cbranch_execz .LBB5_2
; %bb.53:                               ;   in Loop: Header=BB5_3 Depth=1
	v_add3_u32 v4, s13, s13, v4
	v_add_nc_u32_e32 v7, 3, v19
	s_mov_b32 s16, exec_lo
	s_delay_alu instid0(VALU_DEP_2) | instskip(SKIP_1) | instid1(VALU_DEP_2)
	v_ashrrev_i32_e32 v6, 31, v4
	v_add_co_u32 v5, vcc_lo, s14, v4
	v_add_co_ci_u32_e32 v6, vcc_lo, s15, v6, vcc_lo
	global_store_d16_hi_b8 v[5:6], v3, off
	v_cmpx_gt_i32_e64 s9, v7
	s_xor_b32 s16, exec_lo, s16
	s_cbranch_execz .LBB5_2
; %bb.54:                               ;   in Loop: Header=BB5_3 Depth=1
	v_add_nc_u32_e32 v4, s13, v4
	v_lshrrev_b32_e32 v6, 24, v3
	s_delay_alu instid0(VALU_DEP_2) | instskip(SKIP_1) | instid1(VALU_DEP_2)
	v_ashrrev_i32_e32 v5, 31, v4
	v_add_co_u32 v3, vcc_lo, s14, v4
	v_add_co_ci_u32_e32 v4, vcc_lo, s15, v5, vcc_lo
	global_store_b8 v[3:4], v6, off
	s_branch .LBB5_2
.LBB5_55:
	s_nop 0
	s_sendmsg sendmsg(MSG_DEALLOC_VGPRS)
	s_endpgm
	.section	.rodata,"a",@progbits
	.p2align	6, 0x0
	.amdhsa_kernel _ZN2at6native16triu_tril_kernelIaiLb0ELi4ELb0EEEvNS_4cuda6detail10TensorInfoIT_T0_EENS4_IKS5_S6_EEllS6_
		.amdhsa_group_segment_fixed_size 0
		.amdhsa_private_segment_fixed_size 0
		.amdhsa_kernarg_size 712
		.amdhsa_user_sgpr_count 15
		.amdhsa_user_sgpr_dispatch_ptr 0
		.amdhsa_user_sgpr_queue_ptr 0
		.amdhsa_user_sgpr_kernarg_segment_ptr 1
		.amdhsa_user_sgpr_dispatch_id 0
		.amdhsa_user_sgpr_private_segment_size 0
		.amdhsa_wavefront_size32 1
		.amdhsa_uses_dynamic_stack 0
		.amdhsa_enable_private_segment 0
		.amdhsa_system_sgpr_workgroup_id_x 1
		.amdhsa_system_sgpr_workgroup_id_y 0
		.amdhsa_system_sgpr_workgroup_id_z 0
		.amdhsa_system_sgpr_workgroup_info 0
		.amdhsa_system_vgpr_workitem_id 0
		.amdhsa_next_free_vgpr 25
		.amdhsa_next_free_sgpr 54
		.amdhsa_reserve_vcc 1
		.amdhsa_float_round_mode_32 0
		.amdhsa_float_round_mode_16_64 0
		.amdhsa_float_denorm_mode_32 3
		.amdhsa_float_denorm_mode_16_64 3
		.amdhsa_dx10_clamp 1
		.amdhsa_ieee_mode 1
		.amdhsa_fp16_overflow 0
		.amdhsa_workgroup_processor_mode 1
		.amdhsa_memory_ordered 1
		.amdhsa_forward_progress 0
		.amdhsa_shared_vgpr_count 0
		.amdhsa_exception_fp_ieee_invalid_op 0
		.amdhsa_exception_fp_denorm_src 0
		.amdhsa_exception_fp_ieee_div_zero 0
		.amdhsa_exception_fp_ieee_overflow 0
		.amdhsa_exception_fp_ieee_underflow 0
		.amdhsa_exception_fp_ieee_inexact 0
		.amdhsa_exception_int_div_zero 0
	.end_amdhsa_kernel
	.section	.text._ZN2at6native16triu_tril_kernelIaiLb0ELi4ELb0EEEvNS_4cuda6detail10TensorInfoIT_T0_EENS4_IKS5_S6_EEllS6_,"axG",@progbits,_ZN2at6native16triu_tril_kernelIaiLb0ELi4ELb0EEEvNS_4cuda6detail10TensorInfoIT_T0_EENS4_IKS5_S6_EEllS6_,comdat
.Lfunc_end5:
	.size	_ZN2at6native16triu_tril_kernelIaiLb0ELi4ELb0EEEvNS_4cuda6detail10TensorInfoIT_T0_EENS4_IKS5_S6_EEllS6_, .Lfunc_end5-_ZN2at6native16triu_tril_kernelIaiLb0ELi4ELb0EEEvNS_4cuda6detail10TensorInfoIT_T0_EENS4_IKS5_S6_EEllS6_
                                        ; -- End function
	.section	.AMDGPU.csdata,"",@progbits
; Kernel info:
; codeLenInByte = 8740
; NumSgprs: 56
; NumVgprs: 25
; ScratchSize: 0
; MemoryBound: 0
; FloatMode: 240
; IeeeMode: 1
; LDSByteSize: 0 bytes/workgroup (compile time only)
; SGPRBlocks: 6
; VGPRBlocks: 3
; NumSGPRsForWavesPerEU: 56
; NumVGPRsForWavesPerEU: 25
; Occupancy: 16
; WaveLimiterHint : 0
; COMPUTE_PGM_RSRC2:SCRATCH_EN: 0
; COMPUTE_PGM_RSRC2:USER_SGPR: 15
; COMPUTE_PGM_RSRC2:TRAP_HANDLER: 0
; COMPUTE_PGM_RSRC2:TGID_X_EN: 1
; COMPUTE_PGM_RSRC2:TGID_Y_EN: 0
; COMPUTE_PGM_RSRC2:TGID_Z_EN: 0
; COMPUTE_PGM_RSRC2:TIDIG_COMP_CNT: 0
	.section	.text._ZN2at6native16triu_tril_kernelIalLb0ELi4ELb1EEEvNS_4cuda6detail10TensorInfoIT_T0_EENS4_IKS5_S6_EEllS6_,"axG",@progbits,_ZN2at6native16triu_tril_kernelIalLb0ELi4ELb1EEEvNS_4cuda6detail10TensorInfoIT_T0_EENS4_IKS5_S6_EEllS6_,comdat
	.protected	_ZN2at6native16triu_tril_kernelIalLb0ELi4ELb1EEEvNS_4cuda6detail10TensorInfoIT_T0_EENS4_IKS5_S6_EEllS6_ ; -- Begin function _ZN2at6native16triu_tril_kernelIalLb0ELi4ELb1EEEvNS_4cuda6detail10TensorInfoIT_T0_EENS4_IKS5_S6_EEllS6_
	.globl	_ZN2at6native16triu_tril_kernelIalLb0ELi4ELb1EEEvNS_4cuda6detail10TensorInfoIT_T0_EENS4_IKS5_S6_EEllS6_
	.p2align	8
	.type	_ZN2at6native16triu_tril_kernelIalLb0ELi4ELb1EEEvNS_4cuda6detail10TensorInfoIT_T0_EENS4_IKS5_S6_EEllS6_,@function
_ZN2at6native16triu_tril_kernelIalLb0ELi4ELb1EEEvNS_4cuda6detail10TensorInfoIT_T0_EENS4_IKS5_S6_EEllS6_: ; @_ZN2at6native16triu_tril_kernelIalLb0ELi4ELb1EEEvNS_4cuda6detail10TensorInfoIT_T0_EENS4_IKS5_S6_EEllS6_
; %bb.0:
	s_clause 0x1
	s_load_b32 s2, s[0:1], 0x364
	s_load_b128 s[4:7], s[0:1], 0x340
	v_mov_b32_e32 v2, 0
	s_add_u32 s8, s0, 0x358
	s_addc_u32 s9, s1, 0
	s_delay_alu instid0(VALU_DEP_1) | instskip(SKIP_3) | instid1(VALU_DEP_1)
	v_mov_b32_e32 v1, v2
	s_waitcnt lgkmcnt(0)
	s_and_b32 s10, s2, 0xffff
	s_mov_b32 s2, exec_lo
	v_mad_u64_u32 v[3:4], null, s10, s15, v[0:1]
	s_delay_alu instid0(VALU_DEP_1) | instskip(NEXT) | instid1(VALU_DEP_1)
	v_lshlrev_b64 v[0:1], 2, v[3:4]
	v_cmpx_gt_i64_e64 s[6:7], v[0:1]
	s_cbranch_execz .LBB6_29
; %bb.1:
	s_clause 0x1
	s_load_b32 s24, s[0:1], 0x338
	s_load_b64 s[2:3], s[0:1], 0x350
	s_load_b32 s11, s[8:9], 0x0
	s_load_b64 s[8:9], s[0:1], 0x0
	s_mov_b32 s44, 0
	s_waitcnt lgkmcnt(0)
	s_ashr_i32 s25, s24, 31
	s_add_u32 s26, s0, 0x1a8
	s_addc_u32 s27, s1, 0
	s_lshl_b64 s[12:13], s[24:25], 3
	v_cvt_f32_u32_e32 v3, s2
	s_add_u32 s14, s12, -16
	s_addc_u32 s15, s13, -1
	s_add_u32 s22, s26, s14
	s_addc_u32 s23, s27, s15
	v_rcp_iflag_f32_e32 v3, v3
	s_add_u32 s17, s12, -8
	s_addc_u32 s18, s13, -1
	s_add_u32 s0, s0, 0xd0
	s_addc_u32 s28, s1, 0
	s_mul_i32 s16, s11, s10
	s_add_u32 s10, s0, s17
	s_addc_u32 s11, s28, s18
	s_add_u32 s12, s0, s14
	s_addc_u32 s13, s28, s15
	s_add_i32 s20, s24, -3
	s_waitcnt_depctr 0xfff
	v_mul_f32_e32 v3, 0x4f7ffffe, v3
	s_ashr_i32 s21, s20, 31
	s_add_u32 s14, s26, s17
	s_addc_u32 s15, s27, s18
	s_lshl_b64 s[18:19], s[20:21], 3
	s_lshl_b32 s1, s16, 2
	s_add_u32 s16, s0, s18
	s_addc_u32 s17, s28, s19
	v_cvt_u32_f32_e32 v3, v3
	s_add_u32 s18, s26, s18
	s_addc_u32 s19, s27, s19
	s_add_u32 s20, s20, 1
	s_addc_u32 s21, s21, 0
	s_sub_i32 s0, 0, s2
	s_load_b64 s[22:23], s[22:23], 0x0
	v_mul_lo_u32 v4, s0, v3
	v_cmp_gt_i64_e64 s33, s[24:25], 2
	s_ashr_i32 s24, s3, 31
	s_delay_alu instid0(VALU_DEP_2) | instskip(NEXT) | instid1(VALU_DEP_1)
	v_mul_hi_u32 v4, v3, v4
	v_add_nc_u32_e32 v16, v3, v4
	s_waitcnt lgkmcnt(0)
	s_ashr_i32 s26, s23, 31
	s_branch .LBB6_3
.LBB6_2:                                ;   in Loop: Header=BB6_3 Depth=1
	s_or_b32 exec_lo, exec_lo, s25
	v_add_co_u32 v0, vcc_lo, v0, s1
	v_add_co_ci_u32_e32 v1, vcc_lo, 0, v1, vcc_lo
	s_delay_alu instid0(VALU_DEP_1) | instskip(SKIP_1) | instid1(SALU_CYCLE_1)
	v_cmp_le_i64_e32 vcc_lo, s[6:7], v[0:1]
	s_or_b32 s44, vcc_lo, s44
	s_and_not1_b32 exec_lo, exec_lo, s44
	s_cbranch_execz .LBB6_29
.LBB6_3:                                ; =>This Loop Header: Depth=1
                                        ;     Child Loop BB6_25 Depth 2
	v_or_b32_e32 v3, s3, v1
                                        ; implicit-def: $vgpr6_vgpr7
	s_mov_b32 s0, exec_lo
	s_delay_alu instid0(VALU_DEP_1)
	v_cmpx_ne_u64_e32 0, v[2:3]
	s_xor_b32 s27, exec_lo, s0
	s_cbranch_execz .LBB6_5
; %bb.4:                                ;   in Loop: Header=BB6_3 Depth=1
	s_add_u32 s28, s2, s24
	s_mov_b32 s25, s24
	s_addc_u32 s29, s3, s24
	s_delay_alu instid0(SALU_CYCLE_1) | instskip(NEXT) | instid1(SALU_CYCLE_1)
	s_xor_b64 s[28:29], s[28:29], s[24:25]
	v_cvt_f32_u32_e32 v3, s28
	v_cvt_f32_u32_e32 v4, s29
	s_sub_u32 s0, 0, s28
	s_subb_u32 s25, 0, s29
	s_delay_alu instid0(VALU_DEP_1) | instskip(NEXT) | instid1(VALU_DEP_1)
	v_fmac_f32_e32 v3, 0x4f800000, v4
	v_rcp_f32_e32 v3, v3
	s_waitcnt_depctr 0xfff
	v_mul_f32_e32 v3, 0x5f7ffffc, v3
	s_delay_alu instid0(VALU_DEP_1) | instskip(NEXT) | instid1(VALU_DEP_1)
	v_mul_f32_e32 v4, 0x2f800000, v3
	v_trunc_f32_e32 v4, v4
	s_delay_alu instid0(VALU_DEP_1) | instskip(SKIP_1) | instid1(VALU_DEP_2)
	v_fmac_f32_e32 v3, 0xcf800000, v4
	v_cvt_u32_f32_e32 v4, v4
	v_cvt_u32_f32_e32 v3, v3
	s_delay_alu instid0(VALU_DEP_2) | instskip(NEXT) | instid1(VALU_DEP_2)
	v_mul_lo_u32 v5, s0, v4
	v_mul_hi_u32 v6, s0, v3
	v_mul_lo_u32 v7, s25, v3
	s_delay_alu instid0(VALU_DEP_2) | instskip(SKIP_1) | instid1(VALU_DEP_2)
	v_add_nc_u32_e32 v5, v6, v5
	v_mul_lo_u32 v6, s0, v3
	v_add_nc_u32_e32 v5, v5, v7
	s_delay_alu instid0(VALU_DEP_2) | instskip(NEXT) | instid1(VALU_DEP_2)
	v_mul_hi_u32 v7, v3, v6
	v_mul_lo_u32 v8, v3, v5
	v_mul_hi_u32 v9, v3, v5
	v_mul_hi_u32 v10, v4, v6
	v_mul_lo_u32 v6, v4, v6
	v_mul_hi_u32 v11, v4, v5
	v_mul_lo_u32 v5, v4, v5
	v_add_co_u32 v7, vcc_lo, v7, v8
	v_add_co_ci_u32_e32 v8, vcc_lo, 0, v9, vcc_lo
	s_delay_alu instid0(VALU_DEP_2) | instskip(NEXT) | instid1(VALU_DEP_2)
	v_add_co_u32 v6, vcc_lo, v7, v6
	v_add_co_ci_u32_e32 v6, vcc_lo, v8, v10, vcc_lo
	v_add_co_ci_u32_e32 v7, vcc_lo, 0, v11, vcc_lo
	v_ashrrev_i32_e32 v10, 31, v1
	s_delay_alu instid0(VALU_DEP_3) | instskip(NEXT) | instid1(VALU_DEP_3)
	v_add_co_u32 v5, vcc_lo, v6, v5
	v_add_co_ci_u32_e32 v6, vcc_lo, 0, v7, vcc_lo
	s_delay_alu instid0(VALU_DEP_2) | instskip(NEXT) | instid1(VALU_DEP_2)
	v_add_co_u32 v3, vcc_lo, v3, v5
	v_add_co_ci_u32_e32 v4, vcc_lo, v4, v6, vcc_lo
	s_delay_alu instid0(VALU_DEP_2) | instskip(SKIP_1) | instid1(VALU_DEP_3)
	v_mul_hi_u32 v5, s0, v3
	v_mul_lo_u32 v7, s25, v3
	v_mul_lo_u32 v6, s0, v4
	s_delay_alu instid0(VALU_DEP_1) | instskip(SKIP_1) | instid1(VALU_DEP_2)
	v_add_nc_u32_e32 v5, v5, v6
	v_mul_lo_u32 v6, s0, v3
	v_add_nc_u32_e32 v5, v5, v7
	s_delay_alu instid0(VALU_DEP_2) | instskip(NEXT) | instid1(VALU_DEP_2)
	v_mul_hi_u32 v7, v3, v6
	v_mul_lo_u32 v8, v3, v5
	v_mul_hi_u32 v9, v3, v5
	v_mul_hi_u32 v11, v4, v6
	v_mul_lo_u32 v6, v4, v6
	v_mul_hi_u32 v12, v4, v5
	v_mul_lo_u32 v5, v4, v5
	v_add_co_u32 v7, vcc_lo, v7, v8
	v_add_co_ci_u32_e32 v8, vcc_lo, 0, v9, vcc_lo
	s_delay_alu instid0(VALU_DEP_2) | instskip(NEXT) | instid1(VALU_DEP_2)
	v_add_co_u32 v6, vcc_lo, v7, v6
	v_add_co_ci_u32_e32 v6, vcc_lo, v8, v11, vcc_lo
	v_add_co_ci_u32_e32 v7, vcc_lo, 0, v12, vcc_lo
	v_add_co_u32 v8, vcc_lo, v0, v10
	v_add_co_ci_u32_e32 v9, vcc_lo, v1, v10, vcc_lo
	s_delay_alu instid0(VALU_DEP_4) | instskip(NEXT) | instid1(VALU_DEP_4)
	v_add_co_u32 v5, vcc_lo, v6, v5
	v_add_co_ci_u32_e32 v6, vcc_lo, 0, v7, vcc_lo
	s_delay_alu instid0(VALU_DEP_4) | instskip(NEXT) | instid1(VALU_DEP_3)
	v_xor_b32_e32 v11, v8, v10
	v_add_co_u32 v7, vcc_lo, v3, v5
	s_delay_alu instid0(VALU_DEP_3) | instskip(SKIP_1) | instid1(VALU_DEP_3)
	v_add_co_ci_u32_e32 v12, vcc_lo, v4, v6, vcc_lo
	v_xor_b32_e32 v9, v9, v10
	v_mul_hi_u32 v13, v11, v7
	s_delay_alu instid0(VALU_DEP_3) | instskip(NEXT) | instid1(VALU_DEP_3)
	v_mad_u64_u32 v[3:4], null, v11, v12, 0
	v_mad_u64_u32 v[5:6], null, v9, v7, 0
	;; [unrolled: 1-line block ×3, first 2 shown]
	s_delay_alu instid0(VALU_DEP_3) | instskip(NEXT) | instid1(VALU_DEP_4)
	v_add_co_u32 v3, vcc_lo, v13, v3
	v_add_co_ci_u32_e32 v4, vcc_lo, 0, v4, vcc_lo
	s_delay_alu instid0(VALU_DEP_2) | instskip(NEXT) | instid1(VALU_DEP_2)
	v_add_co_u32 v3, vcc_lo, v3, v5
	v_add_co_ci_u32_e32 v3, vcc_lo, v4, v6, vcc_lo
	v_add_co_ci_u32_e32 v4, vcc_lo, 0, v8, vcc_lo
	s_delay_alu instid0(VALU_DEP_2) | instskip(NEXT) | instid1(VALU_DEP_2)
	v_add_co_u32 v5, vcc_lo, v3, v7
	v_add_co_ci_u32_e32 v6, vcc_lo, 0, v4, vcc_lo
	s_delay_alu instid0(VALU_DEP_2) | instskip(SKIP_1) | instid1(VALU_DEP_3)
	v_mul_lo_u32 v7, s29, v5
	v_mad_u64_u32 v[3:4], null, s28, v5, 0
	v_mul_lo_u32 v8, s28, v6
	s_delay_alu instid0(VALU_DEP_2) | instskip(NEXT) | instid1(VALU_DEP_2)
	v_sub_co_u32 v3, vcc_lo, v11, v3
	v_add3_u32 v4, v4, v8, v7
	s_delay_alu instid0(VALU_DEP_1) | instskip(NEXT) | instid1(VALU_DEP_1)
	v_sub_nc_u32_e32 v7, v9, v4
	v_subrev_co_ci_u32_e64 v7, s0, s29, v7, vcc_lo
	v_add_co_u32 v8, s0, v5, 2
	s_delay_alu instid0(VALU_DEP_1) | instskip(SKIP_3) | instid1(VALU_DEP_3)
	v_add_co_ci_u32_e64 v11, s0, 0, v6, s0
	v_sub_co_u32 v12, s0, v3, s28
	v_sub_co_ci_u32_e32 v4, vcc_lo, v9, v4, vcc_lo
	v_subrev_co_ci_u32_e64 v7, s0, 0, v7, s0
	v_cmp_le_u32_e32 vcc_lo, s28, v12
	s_delay_alu instid0(VALU_DEP_3) | instskip(SKIP_1) | instid1(VALU_DEP_4)
	v_cmp_eq_u32_e64 s0, s29, v4
	v_cndmask_b32_e64 v9, 0, -1, vcc_lo
	v_cmp_le_u32_e32 vcc_lo, s29, v7
	v_cndmask_b32_e64 v12, 0, -1, vcc_lo
	v_cmp_le_u32_e32 vcc_lo, s28, v3
	;; [unrolled: 2-line block ×3, first 2 shown]
	v_cndmask_b32_e64 v13, 0, -1, vcc_lo
	v_cmp_eq_u32_e32 vcc_lo, s29, v7
	s_delay_alu instid0(VALU_DEP_2) | instskip(SKIP_3) | instid1(VALU_DEP_3)
	v_cndmask_b32_e64 v3, v13, v3, s0
	v_cndmask_b32_e32 v7, v12, v9, vcc_lo
	v_add_co_u32 v9, vcc_lo, v5, 1
	v_add_co_ci_u32_e32 v12, vcc_lo, 0, v6, vcc_lo
	v_cmp_ne_u32_e32 vcc_lo, 0, v7
	s_delay_alu instid0(VALU_DEP_2) | instskip(SKIP_2) | instid1(VALU_DEP_3)
	v_dual_cndmask_b32 v4, v12, v11 :: v_dual_cndmask_b32 v7, v9, v8
	v_cmp_ne_u32_e32 vcc_lo, 0, v3
	v_xor_b32_e32 v3, s24, v10
	v_dual_cndmask_b32 v5, v5, v7 :: v_dual_cndmask_b32 v4, v6, v4
	s_delay_alu instid0(VALU_DEP_1) | instskip(NEXT) | instid1(VALU_DEP_2)
	v_xor_b32_e32 v5, v5, v3
	v_xor_b32_e32 v4, v4, v3
	s_delay_alu instid0(VALU_DEP_2) | instskip(NEXT) | instid1(VALU_DEP_2)
	v_sub_co_u32 v6, vcc_lo, v5, v3
	v_sub_co_ci_u32_e32 v7, vcc_lo, v4, v3, vcc_lo
.LBB6_5:                                ;   in Loop: Header=BB6_3 Depth=1
	s_and_not1_saveexec_b32 s0, s27
; %bb.6:                                ;   in Loop: Header=BB6_3 Depth=1
	v_mul_hi_u32 v3, v0, v16
	v_mov_b32_e32 v7, v2
	s_delay_alu instid0(VALU_DEP_2) | instskip(NEXT) | instid1(VALU_DEP_1)
	v_mul_lo_u32 v4, v3, s2
	v_sub_nc_u32_e32 v4, v0, v4
	s_delay_alu instid0(VALU_DEP_1) | instskip(SKIP_1) | instid1(VALU_DEP_2)
	v_subrev_nc_u32_e32 v6, s2, v4
	v_cmp_le_u32_e32 vcc_lo, s2, v4
	v_dual_cndmask_b32 v4, v4, v6 :: v_dual_add_nc_u32 v5, 1, v3
	s_delay_alu instid0(VALU_DEP_1) | instskip(NEXT) | instid1(VALU_DEP_2)
	v_cndmask_b32_e32 v3, v3, v5, vcc_lo
	v_cmp_le_u32_e32 vcc_lo, s2, v4
	s_delay_alu instid0(VALU_DEP_2) | instskip(NEXT) | instid1(VALU_DEP_1)
	v_add_nc_u32_e32 v5, 1, v3
	v_cndmask_b32_e32 v6, v3, v5, vcc_lo
; %bb.7:                                ;   in Loop: Header=BB6_3 Depth=1
	s_or_b32 exec_lo, exec_lo, s0
	v_or_b32_e32 v3, s23, v7
                                        ; implicit-def: $vgpr8_vgpr9
	s_mov_b32 s0, exec_lo
	s_delay_alu instid0(VALU_DEP_1)
	v_cmpx_ne_u64_e32 0, v[2:3]
	s_xor_b32 s25, exec_lo, s0
	s_cbranch_execz .LBB6_9
; %bb.8:                                ;   in Loop: Header=BB6_3 Depth=1
	s_add_u32 s28, s22, s26
	s_mov_b32 s27, s26
	s_addc_u32 s29, s23, s26
	s_delay_alu instid0(SALU_CYCLE_1) | instskip(NEXT) | instid1(SALU_CYCLE_1)
	s_xor_b64 s[28:29], s[28:29], s[26:27]
	v_cvt_f32_u32_e32 v3, s28
	v_cvt_f32_u32_e32 v4, s29
	s_sub_u32 s0, 0, s28
	s_subb_u32 s27, 0, s29
	s_delay_alu instid0(VALU_DEP_1) | instskip(NEXT) | instid1(VALU_DEP_1)
	v_fmac_f32_e32 v3, 0x4f800000, v4
	v_rcp_f32_e32 v3, v3
	s_waitcnt_depctr 0xfff
	v_mul_f32_e32 v3, 0x5f7ffffc, v3
	s_delay_alu instid0(VALU_DEP_1) | instskip(NEXT) | instid1(VALU_DEP_1)
	v_mul_f32_e32 v4, 0x2f800000, v3
	v_trunc_f32_e32 v4, v4
	s_delay_alu instid0(VALU_DEP_1) | instskip(SKIP_1) | instid1(VALU_DEP_2)
	v_fmac_f32_e32 v3, 0xcf800000, v4
	v_cvt_u32_f32_e32 v4, v4
	v_cvt_u32_f32_e32 v3, v3
	s_delay_alu instid0(VALU_DEP_2) | instskip(NEXT) | instid1(VALU_DEP_2)
	v_mul_lo_u32 v5, s0, v4
	v_mul_hi_u32 v8, s0, v3
	v_mul_lo_u32 v9, s27, v3
	s_delay_alu instid0(VALU_DEP_2) | instskip(SKIP_1) | instid1(VALU_DEP_2)
	v_add_nc_u32_e32 v5, v8, v5
	v_mul_lo_u32 v8, s0, v3
	v_add_nc_u32_e32 v5, v5, v9
	s_delay_alu instid0(VALU_DEP_2) | instskip(NEXT) | instid1(VALU_DEP_2)
	v_mul_hi_u32 v9, v3, v8
	v_mul_lo_u32 v10, v3, v5
	v_mul_hi_u32 v11, v3, v5
	v_mul_hi_u32 v12, v4, v8
	v_mul_lo_u32 v8, v4, v8
	v_mul_hi_u32 v13, v4, v5
	v_mul_lo_u32 v5, v4, v5
	v_add_co_u32 v9, vcc_lo, v9, v10
	v_add_co_ci_u32_e32 v10, vcc_lo, 0, v11, vcc_lo
	s_delay_alu instid0(VALU_DEP_2) | instskip(NEXT) | instid1(VALU_DEP_2)
	v_add_co_u32 v8, vcc_lo, v9, v8
	v_add_co_ci_u32_e32 v8, vcc_lo, v10, v12, vcc_lo
	v_add_co_ci_u32_e32 v9, vcc_lo, 0, v13, vcc_lo
	v_ashrrev_i32_e32 v12, 31, v7
	s_delay_alu instid0(VALU_DEP_3) | instskip(NEXT) | instid1(VALU_DEP_3)
	v_add_co_u32 v5, vcc_lo, v8, v5
	v_add_co_ci_u32_e32 v8, vcc_lo, 0, v9, vcc_lo
	s_delay_alu instid0(VALU_DEP_2) | instskip(NEXT) | instid1(VALU_DEP_2)
	v_add_co_u32 v3, vcc_lo, v3, v5
	v_add_co_ci_u32_e32 v4, vcc_lo, v4, v8, vcc_lo
	s_delay_alu instid0(VALU_DEP_2) | instskip(SKIP_1) | instid1(VALU_DEP_3)
	v_mul_hi_u32 v5, s0, v3
	v_mul_lo_u32 v9, s27, v3
	v_mul_lo_u32 v8, s0, v4
	s_delay_alu instid0(VALU_DEP_1) | instskip(SKIP_1) | instid1(VALU_DEP_2)
	v_add_nc_u32_e32 v5, v5, v8
	v_mul_lo_u32 v8, s0, v3
	v_add_nc_u32_e32 v5, v5, v9
	s_delay_alu instid0(VALU_DEP_2) | instskip(NEXT) | instid1(VALU_DEP_2)
	v_mul_hi_u32 v9, v3, v8
	v_mul_lo_u32 v10, v3, v5
	v_mul_hi_u32 v11, v3, v5
	v_mul_hi_u32 v13, v4, v8
	v_mul_lo_u32 v8, v4, v8
	v_mul_hi_u32 v14, v4, v5
	v_mul_lo_u32 v5, v4, v5
	v_add_co_u32 v9, vcc_lo, v9, v10
	v_add_co_ci_u32_e32 v10, vcc_lo, 0, v11, vcc_lo
	s_delay_alu instid0(VALU_DEP_2) | instskip(NEXT) | instid1(VALU_DEP_2)
	v_add_co_u32 v8, vcc_lo, v9, v8
	v_add_co_ci_u32_e32 v8, vcc_lo, v10, v13, vcc_lo
	v_add_co_ci_u32_e32 v9, vcc_lo, 0, v14, vcc_lo
	v_add_co_u32 v10, vcc_lo, v6, v12
	v_add_co_ci_u32_e32 v11, vcc_lo, v7, v12, vcc_lo
	s_delay_alu instid0(VALU_DEP_4) | instskip(NEXT) | instid1(VALU_DEP_4)
	v_add_co_u32 v5, vcc_lo, v8, v5
	v_add_co_ci_u32_e32 v8, vcc_lo, 0, v9, vcc_lo
	s_delay_alu instid0(VALU_DEP_4) | instskip(NEXT) | instid1(VALU_DEP_3)
	v_xor_b32_e32 v13, v10, v12
	v_add_co_u32 v5, vcc_lo, v3, v5
	s_delay_alu instid0(VALU_DEP_3) | instskip(SKIP_1) | instid1(VALU_DEP_3)
	v_add_co_ci_u32_e32 v14, vcc_lo, v4, v8, vcc_lo
	v_xor_b32_e32 v15, v11, v12
	v_mul_hi_u32 v17, v13, v5
	s_delay_alu instid0(VALU_DEP_3) | instskip(NEXT) | instid1(VALU_DEP_3)
	v_mad_u64_u32 v[3:4], null, v13, v14, 0
	v_mad_u64_u32 v[8:9], null, v15, v5, 0
	;; [unrolled: 1-line block ×3, first 2 shown]
	s_delay_alu instid0(VALU_DEP_3) | instskip(NEXT) | instid1(VALU_DEP_4)
	v_add_co_u32 v3, vcc_lo, v17, v3
	v_add_co_ci_u32_e32 v4, vcc_lo, 0, v4, vcc_lo
	s_delay_alu instid0(VALU_DEP_2) | instskip(NEXT) | instid1(VALU_DEP_2)
	v_add_co_u32 v3, vcc_lo, v3, v8
	v_add_co_ci_u32_e32 v3, vcc_lo, v4, v9, vcc_lo
	v_add_co_ci_u32_e32 v4, vcc_lo, 0, v11, vcc_lo
	s_delay_alu instid0(VALU_DEP_2) | instskip(NEXT) | instid1(VALU_DEP_2)
	v_add_co_u32 v5, vcc_lo, v3, v10
	v_add_co_ci_u32_e32 v8, vcc_lo, 0, v4, vcc_lo
	s_delay_alu instid0(VALU_DEP_2) | instskip(SKIP_1) | instid1(VALU_DEP_3)
	v_mul_lo_u32 v9, s29, v5
	v_mad_u64_u32 v[3:4], null, s28, v5, 0
	v_mul_lo_u32 v10, s28, v8
	s_delay_alu instid0(VALU_DEP_2) | instskip(NEXT) | instid1(VALU_DEP_2)
	v_sub_co_u32 v3, vcc_lo, v13, v3
	v_add3_u32 v4, v4, v10, v9
	s_delay_alu instid0(VALU_DEP_1) | instskip(NEXT) | instid1(VALU_DEP_1)
	v_sub_nc_u32_e32 v9, v15, v4
	v_subrev_co_ci_u32_e64 v9, s0, s29, v9, vcc_lo
	v_add_co_u32 v10, s0, v5, 2
	s_delay_alu instid0(VALU_DEP_1) | instskip(SKIP_3) | instid1(VALU_DEP_3)
	v_add_co_ci_u32_e64 v11, s0, 0, v8, s0
	v_sub_co_u32 v13, s0, v3, s28
	v_sub_co_ci_u32_e32 v4, vcc_lo, v15, v4, vcc_lo
	v_subrev_co_ci_u32_e64 v9, s0, 0, v9, s0
	v_cmp_le_u32_e32 vcc_lo, s28, v13
	s_delay_alu instid0(VALU_DEP_3) | instskip(SKIP_1) | instid1(VALU_DEP_4)
	v_cmp_eq_u32_e64 s0, s29, v4
	v_cndmask_b32_e64 v13, 0, -1, vcc_lo
	v_cmp_le_u32_e32 vcc_lo, s29, v9
	v_cndmask_b32_e64 v14, 0, -1, vcc_lo
	v_cmp_le_u32_e32 vcc_lo, s28, v3
	;; [unrolled: 2-line block ×3, first 2 shown]
	v_cndmask_b32_e64 v15, 0, -1, vcc_lo
	v_cmp_eq_u32_e32 vcc_lo, s29, v9
	s_delay_alu instid0(VALU_DEP_2) | instskip(SKIP_3) | instid1(VALU_DEP_3)
	v_cndmask_b32_e64 v3, v15, v3, s0
	v_cndmask_b32_e32 v9, v14, v13, vcc_lo
	v_add_co_u32 v13, vcc_lo, v5, 1
	v_add_co_ci_u32_e32 v14, vcc_lo, 0, v8, vcc_lo
	v_cmp_ne_u32_e32 vcc_lo, 0, v9
	s_delay_alu instid0(VALU_DEP_2) | instskip(SKIP_2) | instid1(VALU_DEP_3)
	v_dual_cndmask_b32 v4, v14, v11 :: v_dual_cndmask_b32 v9, v13, v10
	v_cmp_ne_u32_e32 vcc_lo, 0, v3
	v_xor_b32_e32 v3, s26, v12
	v_dual_cndmask_b32 v5, v5, v9 :: v_dual_cndmask_b32 v4, v8, v4
	s_delay_alu instid0(VALU_DEP_1) | instskip(NEXT) | instid1(VALU_DEP_2)
	v_xor_b32_e32 v5, v5, v3
	v_xor_b32_e32 v4, v4, v3
	s_delay_alu instid0(VALU_DEP_2) | instskip(NEXT) | instid1(VALU_DEP_2)
	v_sub_co_u32 v8, vcc_lo, v5, v3
	v_sub_co_ci_u32_e32 v9, vcc_lo, v4, v3, vcc_lo
.LBB6_9:                                ;   in Loop: Header=BB6_3 Depth=1
	s_and_not1_saveexec_b32 s0, s25
	s_cbranch_execz .LBB6_11
; %bb.10:                               ;   in Loop: Header=BB6_3 Depth=1
	v_cvt_f32_u32_e32 v3, s22
	s_sub_i32 s25, 0, s22
	v_mov_b32_e32 v9, v2
	s_delay_alu instid0(VALU_DEP_2) | instskip(SKIP_2) | instid1(VALU_DEP_1)
	v_rcp_iflag_f32_e32 v3, v3
	s_waitcnt_depctr 0xfff
	v_mul_f32_e32 v3, 0x4f7ffffe, v3
	v_cvt_u32_f32_e32 v3, v3
	s_delay_alu instid0(VALU_DEP_1) | instskip(NEXT) | instid1(VALU_DEP_1)
	v_mul_lo_u32 v4, s25, v3
	v_mul_hi_u32 v4, v3, v4
	s_delay_alu instid0(VALU_DEP_1) | instskip(NEXT) | instid1(VALU_DEP_1)
	v_add_nc_u32_e32 v3, v3, v4
	v_mul_hi_u32 v3, v6, v3
	s_delay_alu instid0(VALU_DEP_1) | instskip(SKIP_1) | instid1(VALU_DEP_2)
	v_mul_lo_u32 v4, v3, s22
	v_add_nc_u32_e32 v5, 1, v3
	v_sub_nc_u32_e32 v4, v6, v4
	s_delay_alu instid0(VALU_DEP_1) | instskip(SKIP_1) | instid1(VALU_DEP_2)
	v_subrev_nc_u32_e32 v8, s22, v4
	v_cmp_le_u32_e32 vcc_lo, s22, v4
	v_dual_cndmask_b32 v4, v4, v8 :: v_dual_cndmask_b32 v3, v3, v5
	s_delay_alu instid0(VALU_DEP_1) | instskip(NEXT) | instid1(VALU_DEP_2)
	v_cmp_le_u32_e32 vcc_lo, s22, v4
	v_add_nc_u32_e32 v5, 1, v3
	s_delay_alu instid0(VALU_DEP_1)
	v_cndmask_b32_e32 v8, v3, v5, vcc_lo
.LBB6_11:                               ;   in Loop: Header=BB6_3 Depth=1
	s_or_b32 exec_lo, exec_lo, s0
	v_mul_lo_u32 v5, v7, s2
	v_mul_lo_u32 v12, v6, s3
	v_mad_u64_u32 v[3:4], null, v6, s2, 0
	v_mul_lo_u32 v13, v9, s22
	v_mul_lo_u32 v14, v8, s23
	v_mad_u64_u32 v[10:11], null, v8, s22, 0
	s_mov_b32 s25, exec_lo
	s_delay_alu instid0(VALU_DEP_4) | instskip(SKIP_1) | instid1(VALU_DEP_3)
	v_add3_u32 v5, v4, v12, v5
	v_sub_co_u32 v4, vcc_lo, v0, v3
	v_add3_u32 v11, v11, v14, v13
	s_delay_alu instid0(VALU_DEP_3) | instskip(SKIP_1) | instid1(VALU_DEP_3)
	v_sub_co_ci_u32_e32 v5, vcc_lo, v1, v5, vcc_lo
	v_sub_co_u32 v17, vcc_lo, v6, v10
	v_sub_co_ci_u32_e32 v18, vcc_lo, v7, v11, vcc_lo
	s_delay_alu instid0(VALU_DEP_2) | instskip(NEXT) | instid1(VALU_DEP_2)
	v_sub_co_u32 v6, vcc_lo, v4, v17
	v_sub_co_ci_u32_e32 v7, vcc_lo, v5, v18, vcc_lo
	s_delay_alu instid0(VALU_DEP_2) | instskip(NEXT) | instid1(VALU_DEP_2)
	v_add_co_u32 v10, vcc_lo, v6, 4
	v_add_co_ci_u32_e32 v11, vcc_lo, 0, v7, vcc_lo
	s_delay_alu instid0(VALU_DEP_1)
	v_cmpx_lt_i64_e64 s[4:5], v[10:11]
	s_cbranch_execz .LBB6_2
; %bb.12:                               ;   in Loop: Header=BB6_3 Depth=1
	s_clause 0x1
	s_load_b64 s[28:29], s[10:11], 0x0
	s_load_b64 s[30:31], s[12:13], 0x0
	s_and_b32 vcc_lo, exec_lo, s33
	s_mov_b64 s[34:35], s[18:19]
	s_mov_b64 s[36:37], s[16:17]
	s_waitcnt lgkmcnt(0)
	v_mul_lo_u32 v3, s29, v4
	v_mul_lo_u32 v12, s28, v5
	v_mad_u64_u32 v[10:11], null, s28, v4, 0
	s_delay_alu instid0(VALU_DEP_1) | instskip(SKIP_1) | instid1(VALU_DEP_2)
	v_add3_u32 v11, v11, v12, v3
	v_mul_lo_u32 v3, s30, v18
	v_mad_u64_u32 v[14:15], null, s30, v17, v[10:11]
	v_mul_lo_u32 v10, s31, v17
	s_mov_b64 s[30:31], s[20:21]
	s_delay_alu instid0(VALU_DEP_1) | instskip(NEXT) | instid1(VALU_DEP_1)
	v_add3_u32 v15, v10, v15, v3
	v_dual_mov_b32 v10, v14 :: v_dual_mov_b32 v11, v15
	s_cbranch_vccnz .LBB6_25
.LBB6_13:                               ;   in Loop: Header=BB6_3 Depth=1
	s_load_b64 s[30:31], s[14:15], 0x0
	s_waitcnt lgkmcnt(0)
	v_cmp_gt_i64_e32 vcc_lo, s[30:31], v[4:5]
	s_and_b32 exec_lo, exec_lo, vcc_lo
	s_cbranch_execz .LBB6_2
; %bb.14:                               ;   in Loop: Header=BB6_3 Depth=1
	v_cmp_lt_i64_e32 vcc_lo, s[4:5], v[6:7]
	v_add_co_u32 v6, s0, s8, v14
	s_delay_alu instid0(VALU_DEP_1)
	v_add_co_ci_u32_e64 v7, s0, s9, v15, s0
	s_and_saveexec_b32 s0, vcc_lo
	s_cbranch_execz .LBB6_16
; %bb.15:                               ;   in Loop: Header=BB6_3 Depth=1
	global_store_b8 v[6:7], v2, off
.LBB6_16:                               ;   in Loop: Header=BB6_3 Depth=1
	s_or_b32 exec_lo, exec_lo, s0
	v_add_co_u32 v8, vcc_lo, v4, 1
	v_add_co_ci_u32_e32 v9, vcc_lo, 0, v5, vcc_lo
	s_delay_alu instid0(VALU_DEP_1)
	v_cmp_gt_i64_e32 vcc_lo, s[30:31], v[8:9]
	s_and_b32 exec_lo, exec_lo, vcc_lo
	s_cbranch_execz .LBB6_2
; %bb.17:                               ;   in Loop: Header=BB6_3 Depth=1
	v_sub_co_u32 v8, vcc_lo, v8, v17
	v_sub_co_ci_u32_e32 v9, vcc_lo, v9, v18, vcc_lo
	s_mov_b32 s0, exec_lo
	s_delay_alu instid0(VALU_DEP_1)
	v_cmpx_lt_i64_e64 s[4:5], v[8:9]
	s_cbranch_execz .LBB6_19
; %bb.18:                               ;   in Loop: Header=BB6_3 Depth=1
	v_add_co_u32 v8, vcc_lo, v6, s28
	v_add_co_ci_u32_e32 v9, vcc_lo, s29, v7, vcc_lo
	global_store_b8 v[8:9], v2, off
.LBB6_19:                               ;   in Loop: Header=BB6_3 Depth=1
	s_or_b32 exec_lo, exec_lo, s0
	v_add_co_u32 v8, vcc_lo, v4, 2
	v_add_co_ci_u32_e32 v9, vcc_lo, 0, v5, vcc_lo
	s_delay_alu instid0(VALU_DEP_1)
	v_cmp_gt_i64_e32 vcc_lo, s[30:31], v[8:9]
	s_and_b32 exec_lo, exec_lo, vcc_lo
	s_cbranch_execz .LBB6_2
; %bb.20:                               ;   in Loop: Header=BB6_3 Depth=1
	v_sub_co_u32 v8, vcc_lo, v8, v17
	v_sub_co_ci_u32_e32 v9, vcc_lo, v9, v18, vcc_lo
	s_mov_b32 s0, exec_lo
	s_delay_alu instid0(VALU_DEP_1)
	v_cmpx_lt_i64_e64 s[4:5], v[8:9]
	s_cbranch_execz .LBB6_22
; %bb.21:                               ;   in Loop: Header=BB6_3 Depth=1
	s_lshl_b64 s[34:35], s[28:29], 1
	s_delay_alu instid0(SALU_CYCLE_1)
	v_add_co_u32 v8, vcc_lo, v6, s34
	v_add_co_ci_u32_e32 v9, vcc_lo, s35, v7, vcc_lo
	global_store_b8 v[8:9], v2, off
.LBB6_22:                               ;   in Loop: Header=BB6_3 Depth=1
	s_or_b32 exec_lo, exec_lo, s0
	v_add_co_u32 v3, vcc_lo, v4, 3
	v_add_co_ci_u32_e32 v4, vcc_lo, 0, v5, vcc_lo
	s_delay_alu instid0(VALU_DEP_2) | instskip(NEXT) | instid1(VALU_DEP_2)
	v_sub_co_u32 v8, vcc_lo, v3, v17
	v_sub_co_ci_u32_e32 v9, vcc_lo, v4, v18, vcc_lo
	v_cmp_gt_i64_e32 vcc_lo, s[30:31], v[3:4]
	s_delay_alu instid0(VALU_DEP_2) | instskip(NEXT) | instid1(VALU_DEP_1)
	v_cmp_lt_i64_e64 s0, s[4:5], v[8:9]
	s_and_b32 s0, vcc_lo, s0
	s_delay_alu instid0(SALU_CYCLE_1)
	s_and_b32 exec_lo, exec_lo, s0
	s_cbranch_execz .LBB6_2
; %bb.23:                               ;   in Loop: Header=BB6_3 Depth=1
	v_mad_u64_u32 v[3:4], null, s28, 3, v[6:7]
	s_delay_alu instid0(VALU_DEP_1) | instskip(NEXT) | instid1(VALU_DEP_1)
	v_mad_u64_u32 v[5:6], null, s29, 3, v[4:5]
	v_mov_b32_e32 v4, v5
	global_store_b8 v[3:4], v2, off
	s_branch .LBB6_2
.LBB6_24:                               ;   in Loop: Header=BB6_25 Depth=2
	s_or_b32 exec_lo, exec_lo, s0
	s_load_b64 s[40:41], s[36:37], 0x0
	s_delay_alu instid0(VALU_DEP_1)
	v_mul_lo_u32 v3, v13, s38
	v_mul_lo_u32 v19, v12, s39
	v_mad_u64_u32 v[14:15], null, v12, s38, 0
	s_add_u32 s36, s36, -8
	s_addc_u32 s37, s37, -1
	s_add_u32 s34, s34, -8
	s_addc_u32 s35, s35, -1
	;; [unrolled: 2-line block ×3, first 2 shown]
	s_delay_alu instid0(VALU_DEP_1) | instskip(SKIP_2) | instid1(VALU_DEP_3)
	v_add3_u32 v3, v15, v19, v3
	v_sub_co_u32 v8, vcc_lo, v8, v14
	v_cmp_lt_i64_e64 s0, s[30:31], 1
	v_sub_co_ci_u32_e32 v3, vcc_lo, v9, v3, vcc_lo
	s_delay_alu instid0(VALU_DEP_2) | instskip(SKIP_1) | instid1(VALU_DEP_1)
	s_and_b32 vcc_lo, exec_lo, s0
	s_waitcnt lgkmcnt(0)
	v_mul_lo_u32 v3, s40, v3
	v_mul_lo_u32 v9, s41, v8
	v_mad_u64_u32 v[14:15], null, s40, v8, v[10:11]
	s_delay_alu instid0(VALU_DEP_1) | instskip(NEXT) | instid1(VALU_DEP_2)
	v_add3_u32 v15, v9, v15, v3
	v_mov_b32_e32 v10, v14
	v_dual_mov_b32 v8, v12 :: v_dual_mov_b32 v9, v13
	s_delay_alu instid0(VALU_DEP_3)
	v_mov_b32_e32 v11, v15
	s_cbranch_vccnz .LBB6_13
.LBB6_25:                               ;   Parent Loop BB6_3 Depth=1
                                        ; =>  This Inner Loop Header: Depth=2
	s_load_b64 s[38:39], s[34:35], 0x0
                                        ; implicit-def: $vgpr12_vgpr13
	s_mov_b32 s0, exec_lo
	s_waitcnt lgkmcnt(0)
	v_or_b32_e32 v3, s39, v9
	s_delay_alu instid0(VALU_DEP_1)
	v_cmpx_ne_u64_e32 0, v[2:3]
	s_xor_b32 s27, exec_lo, s0
	s_cbranch_execz .LBB6_27
; %bb.26:                               ;   in Loop: Header=BB6_25 Depth=2
	s_ashr_i32 s40, s39, 31
	s_delay_alu instid0(SALU_CYCLE_1) | instskip(SKIP_2) | instid1(SALU_CYCLE_1)
	s_add_u32 s42, s38, s40
	s_mov_b32 s41, s40
	s_addc_u32 s43, s39, s40
	s_xor_b64 s[42:43], s[42:43], s[40:41]
	s_delay_alu instid0(SALU_CYCLE_1) | instskip(SKIP_3) | instid1(VALU_DEP_1)
	v_cvt_f32_u32_e32 v3, s42
	v_cvt_f32_u32_e32 v12, s43
	s_sub_u32 s0, 0, s42
	s_subb_u32 s41, 0, s43
	v_fmac_f32_e32 v3, 0x4f800000, v12
	s_delay_alu instid0(VALU_DEP_1) | instskip(SKIP_2) | instid1(VALU_DEP_1)
	v_rcp_f32_e32 v3, v3
	s_waitcnt_depctr 0xfff
	v_mul_f32_e32 v3, 0x5f7ffffc, v3
	v_mul_f32_e32 v12, 0x2f800000, v3
	s_delay_alu instid0(VALU_DEP_1) | instskip(NEXT) | instid1(VALU_DEP_1)
	v_trunc_f32_e32 v12, v12
	v_fmac_f32_e32 v3, 0xcf800000, v12
	v_cvt_u32_f32_e32 v12, v12
	s_delay_alu instid0(VALU_DEP_2) | instskip(NEXT) | instid1(VALU_DEP_2)
	v_cvt_u32_f32_e32 v3, v3
	v_mul_lo_u32 v13, s0, v12
	s_delay_alu instid0(VALU_DEP_2) | instskip(SKIP_1) | instid1(VALU_DEP_2)
	v_mul_hi_u32 v14, s0, v3
	v_mul_lo_u32 v15, s41, v3
	v_add_nc_u32_e32 v13, v14, v13
	v_mul_lo_u32 v14, s0, v3
	s_delay_alu instid0(VALU_DEP_2) | instskip(NEXT) | instid1(VALU_DEP_2)
	v_add_nc_u32_e32 v13, v13, v15
	v_mul_hi_u32 v15, v3, v14
	s_delay_alu instid0(VALU_DEP_2)
	v_mul_lo_u32 v19, v3, v13
	v_mul_hi_u32 v20, v3, v13
	v_mul_hi_u32 v21, v12, v14
	v_mul_lo_u32 v14, v12, v14
	v_mul_hi_u32 v22, v12, v13
	v_mul_lo_u32 v13, v12, v13
	v_add_co_u32 v15, vcc_lo, v15, v19
	v_add_co_ci_u32_e32 v19, vcc_lo, 0, v20, vcc_lo
	s_delay_alu instid0(VALU_DEP_2) | instskip(NEXT) | instid1(VALU_DEP_2)
	v_add_co_u32 v14, vcc_lo, v15, v14
	v_add_co_ci_u32_e32 v14, vcc_lo, v19, v21, vcc_lo
	v_add_co_ci_u32_e32 v15, vcc_lo, 0, v22, vcc_lo
	v_ashrrev_i32_e32 v21, 31, v9
	s_delay_alu instid0(VALU_DEP_3) | instskip(NEXT) | instid1(VALU_DEP_3)
	v_add_co_u32 v13, vcc_lo, v14, v13
	v_add_co_ci_u32_e32 v14, vcc_lo, 0, v15, vcc_lo
	s_delay_alu instid0(VALU_DEP_2) | instskip(NEXT) | instid1(VALU_DEP_2)
	v_add_co_u32 v3, vcc_lo, v3, v13
	v_add_co_ci_u32_e32 v12, vcc_lo, v12, v14, vcc_lo
	s_delay_alu instid0(VALU_DEP_2) | instskip(SKIP_1) | instid1(VALU_DEP_3)
	v_mul_hi_u32 v13, s0, v3
	v_mul_lo_u32 v15, s41, v3
	v_mul_lo_u32 v14, s0, v12
	s_delay_alu instid0(VALU_DEP_1) | instskip(SKIP_1) | instid1(VALU_DEP_2)
	v_add_nc_u32_e32 v13, v13, v14
	v_mul_lo_u32 v14, s0, v3
	v_add_nc_u32_e32 v13, v13, v15
	s_delay_alu instid0(VALU_DEP_2) | instskip(NEXT) | instid1(VALU_DEP_2)
	v_mul_hi_u32 v15, v3, v14
	v_mul_lo_u32 v19, v3, v13
	v_mul_hi_u32 v20, v3, v13
	v_mul_hi_u32 v22, v12, v14
	v_mul_lo_u32 v14, v12, v14
	v_mul_hi_u32 v23, v12, v13
	v_mul_lo_u32 v13, v12, v13
	v_add_co_u32 v15, vcc_lo, v15, v19
	v_add_co_ci_u32_e32 v19, vcc_lo, 0, v20, vcc_lo
	s_delay_alu instid0(VALU_DEP_2) | instskip(NEXT) | instid1(VALU_DEP_2)
	v_add_co_u32 v14, vcc_lo, v15, v14
	v_add_co_ci_u32_e32 v14, vcc_lo, v19, v22, vcc_lo
	v_add_co_ci_u32_e32 v15, vcc_lo, 0, v23, vcc_lo
	v_add_co_u32 v19, vcc_lo, v8, v21
	v_add_co_ci_u32_e32 v20, vcc_lo, v9, v21, vcc_lo
	s_delay_alu instid0(VALU_DEP_4) | instskip(NEXT) | instid1(VALU_DEP_4)
	v_add_co_u32 v13, vcc_lo, v14, v13
	v_add_co_ci_u32_e32 v14, vcc_lo, 0, v15, vcc_lo
	s_delay_alu instid0(VALU_DEP_4) | instskip(NEXT) | instid1(VALU_DEP_3)
	v_xor_b32_e32 v22, v19, v21
	v_add_co_u32 v3, vcc_lo, v3, v13
	s_delay_alu instid0(VALU_DEP_3) | instskip(SKIP_1) | instid1(VALU_DEP_3)
	v_add_co_ci_u32_e32 v23, vcc_lo, v12, v14, vcc_lo
	v_xor_b32_e32 v24, v20, v21
	v_mul_hi_u32 v25, v22, v3
	s_delay_alu instid0(VALU_DEP_3) | instskip(NEXT) | instid1(VALU_DEP_3)
	v_mad_u64_u32 v[12:13], null, v22, v23, 0
	v_mad_u64_u32 v[14:15], null, v24, v3, 0
	;; [unrolled: 1-line block ×3, first 2 shown]
	s_delay_alu instid0(VALU_DEP_3) | instskip(NEXT) | instid1(VALU_DEP_4)
	v_add_co_u32 v3, vcc_lo, v25, v12
	v_add_co_ci_u32_e32 v12, vcc_lo, 0, v13, vcc_lo
	s_delay_alu instid0(VALU_DEP_2) | instskip(NEXT) | instid1(VALU_DEP_2)
	v_add_co_u32 v3, vcc_lo, v3, v14
	v_add_co_ci_u32_e32 v3, vcc_lo, v12, v15, vcc_lo
	v_add_co_ci_u32_e32 v12, vcc_lo, 0, v20, vcc_lo
	s_delay_alu instid0(VALU_DEP_2) | instskip(NEXT) | instid1(VALU_DEP_2)
	v_add_co_u32 v3, vcc_lo, v3, v19
	v_add_co_ci_u32_e32 v14, vcc_lo, 0, v12, vcc_lo
	s_delay_alu instid0(VALU_DEP_2) | instskip(SKIP_1) | instid1(VALU_DEP_3)
	v_mul_lo_u32 v15, s43, v3
	v_mad_u64_u32 v[12:13], null, s42, v3, 0
	v_mul_lo_u32 v19, s42, v14
	s_delay_alu instid0(VALU_DEP_2) | instskip(NEXT) | instid1(VALU_DEP_2)
	v_sub_co_u32 v12, vcc_lo, v22, v12
	v_add3_u32 v13, v13, v19, v15
	s_delay_alu instid0(VALU_DEP_1) | instskip(NEXT) | instid1(VALU_DEP_1)
	v_sub_nc_u32_e32 v15, v24, v13
	v_subrev_co_ci_u32_e64 v15, s0, s43, v15, vcc_lo
	v_add_co_u32 v19, s0, v3, 2
	s_delay_alu instid0(VALU_DEP_1) | instskip(SKIP_3) | instid1(VALU_DEP_3)
	v_add_co_ci_u32_e64 v20, s0, 0, v14, s0
	v_sub_co_u32 v22, s0, v12, s42
	v_sub_co_ci_u32_e32 v13, vcc_lo, v24, v13, vcc_lo
	v_subrev_co_ci_u32_e64 v15, s0, 0, v15, s0
	v_cmp_le_u32_e32 vcc_lo, s42, v22
	s_delay_alu instid0(VALU_DEP_3) | instskip(SKIP_1) | instid1(VALU_DEP_4)
	v_cmp_eq_u32_e64 s0, s43, v13
	v_cndmask_b32_e64 v22, 0, -1, vcc_lo
	v_cmp_le_u32_e32 vcc_lo, s43, v15
	v_cndmask_b32_e64 v23, 0, -1, vcc_lo
	v_cmp_le_u32_e32 vcc_lo, s42, v12
	;; [unrolled: 2-line block ×3, first 2 shown]
	v_cndmask_b32_e64 v24, 0, -1, vcc_lo
	v_cmp_eq_u32_e32 vcc_lo, s43, v15
	s_delay_alu instid0(VALU_DEP_2) | instskip(SKIP_3) | instid1(VALU_DEP_3)
	v_cndmask_b32_e64 v12, v24, v12, s0
	v_cndmask_b32_e32 v15, v23, v22, vcc_lo
	v_add_co_u32 v22, vcc_lo, v3, 1
	v_add_co_ci_u32_e32 v23, vcc_lo, 0, v14, vcc_lo
	v_cmp_ne_u32_e32 vcc_lo, 0, v15
	s_delay_alu instid0(VALU_DEP_2) | instskip(NEXT) | instid1(VALU_DEP_4)
	v_cndmask_b32_e32 v13, v23, v20, vcc_lo
	v_cndmask_b32_e32 v15, v22, v19, vcc_lo
	v_cmp_ne_u32_e32 vcc_lo, 0, v12
	v_xor_b32_e32 v19, s40, v21
	s_delay_alu instid0(VALU_DEP_3) | instskip(NEXT) | instid1(VALU_DEP_1)
	v_dual_cndmask_b32 v3, v3, v15 :: v_dual_cndmask_b32 v12, v14, v13
	v_xor_b32_e32 v3, v3, v19
	s_delay_alu instid0(VALU_DEP_2) | instskip(NEXT) | instid1(VALU_DEP_2)
	v_xor_b32_e32 v13, v12, v19
	v_sub_co_u32 v12, vcc_lo, v3, v19
	s_delay_alu instid0(VALU_DEP_2)
	v_sub_co_ci_u32_e32 v13, vcc_lo, v13, v19, vcc_lo
.LBB6_27:                               ;   in Loop: Header=BB6_25 Depth=2
	s_and_not1_saveexec_b32 s0, s27
	s_cbranch_execz .LBB6_24
; %bb.28:                               ;   in Loop: Header=BB6_25 Depth=2
	v_cvt_f32_u32_e32 v3, s38
	s_sub_i32 s27, 0, s38
	s_delay_alu instid0(VALU_DEP_1) | instskip(SKIP_2) | instid1(VALU_DEP_1)
	v_rcp_iflag_f32_e32 v3, v3
	s_waitcnt_depctr 0xfff
	v_mul_f32_e32 v3, 0x4f7ffffe, v3
	v_cvt_u32_f32_e32 v3, v3
	s_delay_alu instid0(VALU_DEP_1) | instskip(NEXT) | instid1(VALU_DEP_1)
	v_mul_lo_u32 v12, s27, v3
	v_mul_hi_u32 v12, v3, v12
	s_delay_alu instid0(VALU_DEP_1) | instskip(NEXT) | instid1(VALU_DEP_1)
	v_add_nc_u32_e32 v3, v3, v12
	v_mul_hi_u32 v3, v8, v3
	s_delay_alu instid0(VALU_DEP_1) | instskip(SKIP_1) | instid1(VALU_DEP_2)
	v_mul_lo_u32 v12, v3, s38
	v_add_nc_u32_e32 v13, 1, v3
	v_sub_nc_u32_e32 v12, v8, v12
	s_delay_alu instid0(VALU_DEP_1) | instskip(SKIP_1) | instid1(VALU_DEP_2)
	v_subrev_nc_u32_e32 v14, s38, v12
	v_cmp_le_u32_e32 vcc_lo, s38, v12
	v_dual_cndmask_b32 v12, v12, v14 :: v_dual_cndmask_b32 v3, v3, v13
	s_delay_alu instid0(VALU_DEP_1) | instskip(NEXT) | instid1(VALU_DEP_2)
	v_cmp_le_u32_e32 vcc_lo, s38, v12
	v_add_nc_u32_e32 v13, 1, v3
	s_delay_alu instid0(VALU_DEP_1)
	v_dual_cndmask_b32 v12, v3, v13 :: v_dual_mov_b32 v13, v2
	s_branch .LBB6_24
.LBB6_29:
	s_nop 0
	s_sendmsg sendmsg(MSG_DEALLOC_VGPRS)
	s_endpgm
	.section	.rodata,"a",@progbits
	.p2align	6, 0x0
	.amdhsa_kernel _ZN2at6native16triu_tril_kernelIalLb0ELi4ELb1EEEvNS_4cuda6detail10TensorInfoIT_T0_EENS4_IKS5_S6_EEllS6_
		.amdhsa_group_segment_fixed_size 0
		.amdhsa_private_segment_fixed_size 0
		.amdhsa_kernarg_size 1112
		.amdhsa_user_sgpr_count 15
		.amdhsa_user_sgpr_dispatch_ptr 0
		.amdhsa_user_sgpr_queue_ptr 0
		.amdhsa_user_sgpr_kernarg_segment_ptr 1
		.amdhsa_user_sgpr_dispatch_id 0
		.amdhsa_user_sgpr_private_segment_size 0
		.amdhsa_wavefront_size32 1
		.amdhsa_uses_dynamic_stack 0
		.amdhsa_enable_private_segment 0
		.amdhsa_system_sgpr_workgroup_id_x 1
		.amdhsa_system_sgpr_workgroup_id_y 0
		.amdhsa_system_sgpr_workgroup_id_z 0
		.amdhsa_system_sgpr_workgroup_info 0
		.amdhsa_system_vgpr_workitem_id 0
		.amdhsa_next_free_vgpr 26
		.amdhsa_next_free_sgpr 45
		.amdhsa_reserve_vcc 1
		.amdhsa_float_round_mode_32 0
		.amdhsa_float_round_mode_16_64 0
		.amdhsa_float_denorm_mode_32 3
		.amdhsa_float_denorm_mode_16_64 3
		.amdhsa_dx10_clamp 1
		.amdhsa_ieee_mode 1
		.amdhsa_fp16_overflow 0
		.amdhsa_workgroup_processor_mode 1
		.amdhsa_memory_ordered 1
		.amdhsa_forward_progress 0
		.amdhsa_shared_vgpr_count 0
		.amdhsa_exception_fp_ieee_invalid_op 0
		.amdhsa_exception_fp_denorm_src 0
		.amdhsa_exception_fp_ieee_div_zero 0
		.amdhsa_exception_fp_ieee_overflow 0
		.amdhsa_exception_fp_ieee_underflow 0
		.amdhsa_exception_fp_ieee_inexact 0
		.amdhsa_exception_int_div_zero 0
	.end_amdhsa_kernel
	.section	.text._ZN2at6native16triu_tril_kernelIalLb0ELi4ELb1EEEvNS_4cuda6detail10TensorInfoIT_T0_EENS4_IKS5_S6_EEllS6_,"axG",@progbits,_ZN2at6native16triu_tril_kernelIalLb0ELi4ELb1EEEvNS_4cuda6detail10TensorInfoIT_T0_EENS4_IKS5_S6_EEllS6_,comdat
.Lfunc_end6:
	.size	_ZN2at6native16triu_tril_kernelIalLb0ELi4ELb1EEEvNS_4cuda6detail10TensorInfoIT_T0_EENS4_IKS5_S6_EEllS6_, .Lfunc_end6-_ZN2at6native16triu_tril_kernelIalLb0ELi4ELb1EEEvNS_4cuda6detail10TensorInfoIT_T0_EENS4_IKS5_S6_EEllS6_
                                        ; -- End function
	.section	.AMDGPU.csdata,"",@progbits
; Kernel info:
; codeLenInByte = 4084
; NumSgprs: 47
; NumVgprs: 26
; ScratchSize: 0
; MemoryBound: 0
; FloatMode: 240
; IeeeMode: 1
; LDSByteSize: 0 bytes/workgroup (compile time only)
; SGPRBlocks: 5
; VGPRBlocks: 3
; NumSGPRsForWavesPerEU: 47
; NumVGPRsForWavesPerEU: 26
; Occupancy: 16
; WaveLimiterHint : 0
; COMPUTE_PGM_RSRC2:SCRATCH_EN: 0
; COMPUTE_PGM_RSRC2:USER_SGPR: 15
; COMPUTE_PGM_RSRC2:TRAP_HANDLER: 0
; COMPUTE_PGM_RSRC2:TGID_X_EN: 1
; COMPUTE_PGM_RSRC2:TGID_Y_EN: 0
; COMPUTE_PGM_RSRC2:TGID_Z_EN: 0
; COMPUTE_PGM_RSRC2:TIDIG_COMP_CNT: 0
	.section	.text._ZN2at6native16triu_tril_kernelIalLb0ELi4ELb0EEEvNS_4cuda6detail10TensorInfoIT_T0_EENS4_IKS5_S6_EEllS6_,"axG",@progbits,_ZN2at6native16triu_tril_kernelIalLb0ELi4ELb0EEEvNS_4cuda6detail10TensorInfoIT_T0_EENS4_IKS5_S6_EEllS6_,comdat
	.protected	_ZN2at6native16triu_tril_kernelIalLb0ELi4ELb0EEEvNS_4cuda6detail10TensorInfoIT_T0_EENS4_IKS5_S6_EEllS6_ ; -- Begin function _ZN2at6native16triu_tril_kernelIalLb0ELi4ELb0EEEvNS_4cuda6detail10TensorInfoIT_T0_EENS4_IKS5_S6_EEllS6_
	.globl	_ZN2at6native16triu_tril_kernelIalLb0ELi4ELb0EEEvNS_4cuda6detail10TensorInfoIT_T0_EENS4_IKS5_S6_EEllS6_
	.p2align	8
	.type	_ZN2at6native16triu_tril_kernelIalLb0ELi4ELb0EEEvNS_4cuda6detail10TensorInfoIT_T0_EENS4_IKS5_S6_EEllS6_,@function
_ZN2at6native16triu_tril_kernelIalLb0ELi4ELb0EEEvNS_4cuda6detail10TensorInfoIT_T0_EENS4_IKS5_S6_EEllS6_: ; @_ZN2at6native16triu_tril_kernelIalLb0ELi4ELb0EEEvNS_4cuda6detail10TensorInfoIT_T0_EENS4_IKS5_S6_EEllS6_
; %bb.0:
	s_clause 0x1
	s_load_b32 s2, s[0:1], 0x364
	s_load_b128 s[4:7], s[0:1], 0x340
	v_mov_b32_e32 v2, 0
	s_add_u32 s8, s0, 0x358
	s_addc_u32 s9, s1, 0
	s_delay_alu instid0(VALU_DEP_1) | instskip(SKIP_3) | instid1(VALU_DEP_1)
	v_mov_b32_e32 v1, v2
	s_waitcnt lgkmcnt(0)
	s_and_b32 s24, s2, 0xffff
	s_mov_b32 s2, exec_lo
	v_mad_u64_u32 v[3:4], null, s24, s15, v[0:1]
	s_delay_alu instid0(VALU_DEP_1) | instskip(NEXT) | instid1(VALU_DEP_1)
	v_lshlrev_b64 v[0:1], 2, v[3:4]
	v_cmpx_gt_i64_e64 s[6:7], v[0:1]
	s_cbranch_execz .LBB7_32
; %bb.1:
	s_clause 0x1
	s_load_b32 s26, s[0:1], 0x338
	s_load_b64 s[2:3], s[0:1], 0x350
	s_add_u32 s10, s0, 0x1a0
	s_addc_u32 s11, s1, 0
	s_load_b32 s25, s[8:9], 0x0
	s_clause 0x1
	s_load_b64 s[20:21], s[0:1], 0x1a0
	s_load_b64 s[22:23], s[0:1], 0x0
	s_mov_b32 s46, 0
	s_waitcnt lgkmcnt(0)
	s_ashr_i32 s27, s26, 31
	s_add_u32 s30, s0, 0x1a8
	s_addc_u32 s31, s1, 0
	s_lshl_b64 s[8:9], s[26:27], 3
	v_cvt_f32_u32_e32 v3, s2
	s_add_u32 s14, s8, -16
	s_addc_u32 s15, s9, -1
	s_add_u32 s8, s30, s14
	s_addc_u32 s9, s31, s15
	s_add_u32 s12, s10, s14
	s_addc_u32 s13, s11, s15
	;; [unrolled: 2-line block ×4, first 2 shown]
	s_clause 0x2
	s_load_b128 s[8:11], s[8:9], 0x0
	s_load_b128 s[12:15], s[12:13], 0xd0
	s_load_b128 s[16:19], s[0:1], 0x0
	v_rcp_iflag_f32_e32 v3, v3
	s_add_i32 s28, s26, -3
	s_mul_i32 s25, s25, s24
	s_ashr_i32 s29, s28, 31
	v_cmp_gt_i64_e64 s1, s[26:27], 2
	s_lshl_b64 s[26:27], s[28:29], 3
	s_lshl_b32 s33, s25, 2
	s_add_u32 s24, s34, s26
	s_addc_u32 s25, s35, s27
	s_add_u32 s26, s30, s26
	s_waitcnt_depctr 0xfff
	v_mul_f32_e32 v3, 0x4f7ffffe, v3
	s_addc_u32 s27, s31, s27
	s_add_u32 s28, s28, 1
	s_addc_u32 s29, s29, 0
	s_ashr_i32 s30, s3, 31
	v_cvt_u32_f32_e32 v18, v3
	s_branch .LBB7_3
.LBB7_2:                                ;   in Loop: Header=BB7_3 Depth=1
	s_or_b32 exec_lo, exec_lo, s0
	v_add_co_u32 v0, vcc_lo, v0, s33
	v_add_co_ci_u32_e32 v1, vcc_lo, 0, v1, vcc_lo
	s_delay_alu instid0(VALU_DEP_1) | instskip(SKIP_1) | instid1(SALU_CYCLE_1)
	v_cmp_le_i64_e32 vcc_lo, s[6:7], v[0:1]
	s_or_b32 s46, vcc_lo, s46
	s_and_not1_b32 exec_lo, exec_lo, s46
	s_cbranch_execz .LBB7_32
.LBB7_3:                                ; =>This Loop Header: Depth=1
                                        ;     Child Loop BB7_28 Depth 2
	v_or_b32_e32 v3, s3, v1
                                        ; implicit-def: $vgpr8_vgpr9
	s_mov_b32 s0, exec_lo
	s_delay_alu instid0(VALU_DEP_1)
	v_cmpx_ne_u64_e32 0, v[2:3]
	s_xor_b32 s36, exec_lo, s0
	s_cbranch_execz .LBB7_5
; %bb.4:                                ;   in Loop: Header=BB7_3 Depth=1
	s_add_u32 s34, s2, s30
	s_mov_b32 s31, s30
	s_addc_u32 s35, s3, s30
	s_delay_alu instid0(SALU_CYCLE_1) | instskip(NEXT) | instid1(SALU_CYCLE_1)
	s_xor_b64 s[34:35], s[34:35], s[30:31]
	v_cvt_f32_u32_e32 v3, s34
	v_cvt_f32_u32_e32 v4, s35
	s_sub_u32 s0, 0, s34
	s_subb_u32 s31, 0, s35
	s_delay_alu instid0(VALU_DEP_1) | instskip(NEXT) | instid1(VALU_DEP_1)
	v_fmac_f32_e32 v3, 0x4f800000, v4
	v_rcp_f32_e32 v3, v3
	s_waitcnt_depctr 0xfff
	v_mul_f32_e32 v3, 0x5f7ffffc, v3
	s_delay_alu instid0(VALU_DEP_1) | instskip(NEXT) | instid1(VALU_DEP_1)
	v_mul_f32_e32 v4, 0x2f800000, v3
	v_trunc_f32_e32 v4, v4
	s_delay_alu instid0(VALU_DEP_1) | instskip(SKIP_1) | instid1(VALU_DEP_2)
	v_fmac_f32_e32 v3, 0xcf800000, v4
	v_cvt_u32_f32_e32 v4, v4
	v_cvt_u32_f32_e32 v3, v3
	s_delay_alu instid0(VALU_DEP_2) | instskip(NEXT) | instid1(VALU_DEP_2)
	v_mul_lo_u32 v5, s0, v4
	v_mul_hi_u32 v6, s0, v3
	v_mul_lo_u32 v7, s31, v3
	s_delay_alu instid0(VALU_DEP_2) | instskip(SKIP_1) | instid1(VALU_DEP_2)
	v_add_nc_u32_e32 v5, v6, v5
	v_mul_lo_u32 v6, s0, v3
	v_add_nc_u32_e32 v5, v5, v7
	s_delay_alu instid0(VALU_DEP_2) | instskip(NEXT) | instid1(VALU_DEP_2)
	v_mul_hi_u32 v7, v3, v6
	v_mul_lo_u32 v8, v3, v5
	v_mul_hi_u32 v9, v3, v5
	v_mul_hi_u32 v10, v4, v6
	v_mul_lo_u32 v6, v4, v6
	v_mul_hi_u32 v11, v4, v5
	v_mul_lo_u32 v5, v4, v5
	v_add_co_u32 v7, vcc_lo, v7, v8
	v_add_co_ci_u32_e32 v8, vcc_lo, 0, v9, vcc_lo
	s_delay_alu instid0(VALU_DEP_2) | instskip(NEXT) | instid1(VALU_DEP_2)
	v_add_co_u32 v6, vcc_lo, v7, v6
	v_add_co_ci_u32_e32 v6, vcc_lo, v8, v10, vcc_lo
	v_add_co_ci_u32_e32 v7, vcc_lo, 0, v11, vcc_lo
	v_ashrrev_i32_e32 v10, 31, v1
	s_delay_alu instid0(VALU_DEP_3) | instskip(NEXT) | instid1(VALU_DEP_3)
	v_add_co_u32 v5, vcc_lo, v6, v5
	v_add_co_ci_u32_e32 v6, vcc_lo, 0, v7, vcc_lo
	s_delay_alu instid0(VALU_DEP_2) | instskip(NEXT) | instid1(VALU_DEP_2)
	v_add_co_u32 v3, vcc_lo, v3, v5
	v_add_co_ci_u32_e32 v4, vcc_lo, v4, v6, vcc_lo
	s_delay_alu instid0(VALU_DEP_2) | instskip(SKIP_1) | instid1(VALU_DEP_3)
	v_mul_hi_u32 v5, s0, v3
	v_mul_lo_u32 v7, s31, v3
	v_mul_lo_u32 v6, s0, v4
	s_delay_alu instid0(VALU_DEP_1) | instskip(SKIP_1) | instid1(VALU_DEP_2)
	v_add_nc_u32_e32 v5, v5, v6
	v_mul_lo_u32 v6, s0, v3
	v_add_nc_u32_e32 v5, v5, v7
	s_delay_alu instid0(VALU_DEP_2) | instskip(NEXT) | instid1(VALU_DEP_2)
	v_mul_hi_u32 v7, v3, v6
	v_mul_lo_u32 v8, v3, v5
	v_mul_hi_u32 v9, v3, v5
	v_mul_hi_u32 v11, v4, v6
	v_mul_lo_u32 v6, v4, v6
	v_mul_hi_u32 v12, v4, v5
	v_mul_lo_u32 v5, v4, v5
	v_add_co_u32 v7, vcc_lo, v7, v8
	v_add_co_ci_u32_e32 v8, vcc_lo, 0, v9, vcc_lo
	s_delay_alu instid0(VALU_DEP_2) | instskip(NEXT) | instid1(VALU_DEP_2)
	v_add_co_u32 v6, vcc_lo, v7, v6
	v_add_co_ci_u32_e32 v6, vcc_lo, v8, v11, vcc_lo
	v_add_co_ci_u32_e32 v7, vcc_lo, 0, v12, vcc_lo
	v_add_co_u32 v8, vcc_lo, v0, v10
	v_add_co_ci_u32_e32 v9, vcc_lo, v1, v10, vcc_lo
	s_delay_alu instid0(VALU_DEP_4) | instskip(NEXT) | instid1(VALU_DEP_4)
	v_add_co_u32 v5, vcc_lo, v6, v5
	v_add_co_ci_u32_e32 v6, vcc_lo, 0, v7, vcc_lo
	s_delay_alu instid0(VALU_DEP_4) | instskip(NEXT) | instid1(VALU_DEP_3)
	v_xor_b32_e32 v11, v8, v10
	v_add_co_u32 v7, vcc_lo, v3, v5
	s_delay_alu instid0(VALU_DEP_3) | instskip(SKIP_1) | instid1(VALU_DEP_3)
	v_add_co_ci_u32_e32 v12, vcc_lo, v4, v6, vcc_lo
	v_xor_b32_e32 v9, v9, v10
	v_mul_hi_u32 v13, v11, v7
	s_delay_alu instid0(VALU_DEP_3) | instskip(NEXT) | instid1(VALU_DEP_3)
	v_mad_u64_u32 v[3:4], null, v11, v12, 0
	v_mad_u64_u32 v[5:6], null, v9, v7, 0
	;; [unrolled: 1-line block ×3, first 2 shown]
	s_delay_alu instid0(VALU_DEP_3) | instskip(NEXT) | instid1(VALU_DEP_4)
	v_add_co_u32 v3, vcc_lo, v13, v3
	v_add_co_ci_u32_e32 v4, vcc_lo, 0, v4, vcc_lo
	s_delay_alu instid0(VALU_DEP_2) | instskip(NEXT) | instid1(VALU_DEP_2)
	v_add_co_u32 v3, vcc_lo, v3, v5
	v_add_co_ci_u32_e32 v3, vcc_lo, v4, v6, vcc_lo
	v_add_co_ci_u32_e32 v4, vcc_lo, 0, v8, vcc_lo
	s_delay_alu instid0(VALU_DEP_2) | instskip(NEXT) | instid1(VALU_DEP_2)
	v_add_co_u32 v5, vcc_lo, v3, v7
	v_add_co_ci_u32_e32 v6, vcc_lo, 0, v4, vcc_lo
	s_delay_alu instid0(VALU_DEP_2) | instskip(SKIP_1) | instid1(VALU_DEP_3)
	v_mul_lo_u32 v7, s35, v5
	v_mad_u64_u32 v[3:4], null, s34, v5, 0
	v_mul_lo_u32 v8, s34, v6
	s_delay_alu instid0(VALU_DEP_2) | instskip(NEXT) | instid1(VALU_DEP_2)
	v_sub_co_u32 v3, vcc_lo, v11, v3
	v_add3_u32 v4, v4, v8, v7
	s_delay_alu instid0(VALU_DEP_1) | instskip(NEXT) | instid1(VALU_DEP_1)
	v_sub_nc_u32_e32 v7, v9, v4
	v_subrev_co_ci_u32_e64 v7, s0, s35, v7, vcc_lo
	v_add_co_u32 v8, s0, v5, 2
	s_delay_alu instid0(VALU_DEP_1) | instskip(SKIP_3) | instid1(VALU_DEP_3)
	v_add_co_ci_u32_e64 v11, s0, 0, v6, s0
	v_sub_co_u32 v12, s0, v3, s34
	v_sub_co_ci_u32_e32 v4, vcc_lo, v9, v4, vcc_lo
	v_subrev_co_ci_u32_e64 v7, s0, 0, v7, s0
	v_cmp_le_u32_e32 vcc_lo, s34, v12
	s_delay_alu instid0(VALU_DEP_3) | instskip(SKIP_1) | instid1(VALU_DEP_4)
	v_cmp_eq_u32_e64 s0, s35, v4
	v_cndmask_b32_e64 v9, 0, -1, vcc_lo
	v_cmp_le_u32_e32 vcc_lo, s35, v7
	v_cndmask_b32_e64 v12, 0, -1, vcc_lo
	v_cmp_le_u32_e32 vcc_lo, s34, v3
	;; [unrolled: 2-line block ×3, first 2 shown]
	v_cndmask_b32_e64 v13, 0, -1, vcc_lo
	v_cmp_eq_u32_e32 vcc_lo, s35, v7
	s_delay_alu instid0(VALU_DEP_2) | instskip(SKIP_3) | instid1(VALU_DEP_3)
	v_cndmask_b32_e64 v3, v13, v3, s0
	v_cndmask_b32_e32 v7, v12, v9, vcc_lo
	v_add_co_u32 v9, vcc_lo, v5, 1
	v_add_co_ci_u32_e32 v12, vcc_lo, 0, v6, vcc_lo
	v_cmp_ne_u32_e32 vcc_lo, 0, v7
	s_delay_alu instid0(VALU_DEP_2) | instskip(SKIP_2) | instid1(VALU_DEP_3)
	v_dual_cndmask_b32 v4, v12, v11 :: v_dual_cndmask_b32 v7, v9, v8
	v_cmp_ne_u32_e32 vcc_lo, 0, v3
	v_xor_b32_e32 v3, s30, v10
	v_dual_cndmask_b32 v5, v5, v7 :: v_dual_cndmask_b32 v4, v6, v4
	s_delay_alu instid0(VALU_DEP_1) | instskip(NEXT) | instid1(VALU_DEP_2)
	v_xor_b32_e32 v5, v5, v3
	v_xor_b32_e32 v4, v4, v3
	s_delay_alu instid0(VALU_DEP_2) | instskip(NEXT) | instid1(VALU_DEP_2)
	v_sub_co_u32 v8, vcc_lo, v5, v3
	v_sub_co_ci_u32_e32 v9, vcc_lo, v4, v3, vcc_lo
.LBB7_5:                                ;   in Loop: Header=BB7_3 Depth=1
	s_and_not1_saveexec_b32 s0, s36
	s_cbranch_execz .LBB7_7
; %bb.6:                                ;   in Loop: Header=BB7_3 Depth=1
	s_sub_i32 s31, 0, s2
	v_mov_b32_e32 v9, v2
	v_mul_lo_u32 v3, s31, v18
	s_delay_alu instid0(VALU_DEP_1) | instskip(NEXT) | instid1(VALU_DEP_1)
	v_mul_hi_u32 v3, v18, v3
	v_add_nc_u32_e32 v3, v18, v3
	s_delay_alu instid0(VALU_DEP_1) | instskip(NEXT) | instid1(VALU_DEP_1)
	v_mul_hi_u32 v3, v0, v3
	v_mul_lo_u32 v4, v3, s2
	v_add_nc_u32_e32 v5, 1, v3
	s_delay_alu instid0(VALU_DEP_2) | instskip(NEXT) | instid1(VALU_DEP_1)
	v_sub_nc_u32_e32 v4, v0, v4
	v_subrev_nc_u32_e32 v6, s2, v4
	v_cmp_le_u32_e32 vcc_lo, s2, v4
	s_delay_alu instid0(VALU_DEP_2) | instskip(NEXT) | instid1(VALU_DEP_1)
	v_dual_cndmask_b32 v4, v4, v6 :: v_dual_cndmask_b32 v3, v3, v5
	v_cmp_le_u32_e32 vcc_lo, s2, v4
	s_delay_alu instid0(VALU_DEP_2) | instskip(NEXT) | instid1(VALU_DEP_1)
	v_add_nc_u32_e32 v5, 1, v3
	v_cndmask_b32_e32 v8, v3, v5, vcc_lo
.LBB7_7:                                ;   in Loop: Header=BB7_3 Depth=1
	s_or_b32 exec_lo, exec_lo, s0
	s_waitcnt lgkmcnt(0)
	v_or_b32_e32 v3, s9, v9
                                        ; implicit-def: $vgpr6_vgpr7
	s_mov_b32 s0, exec_lo
	s_delay_alu instid0(VALU_DEP_1)
	v_cmpx_ne_u64_e32 0, v[2:3]
	s_xor_b32 s31, exec_lo, s0
	s_cbranch_execz .LBB7_9
; %bb.8:                                ;   in Loop: Header=BB7_3 Depth=1
	s_ashr_i32 s34, s9, 31
	s_delay_alu instid0(SALU_CYCLE_1) | instskip(SKIP_2) | instid1(SALU_CYCLE_1)
	s_add_u32 s36, s8, s34
	s_mov_b32 s35, s34
	s_addc_u32 s37, s9, s34
	s_xor_b64 s[36:37], s[36:37], s[34:35]
	s_delay_alu instid0(SALU_CYCLE_1) | instskip(SKIP_3) | instid1(VALU_DEP_1)
	v_cvt_f32_u32_e32 v3, s36
	v_cvt_f32_u32_e32 v4, s37
	s_sub_u32 s0, 0, s36
	s_subb_u32 s35, 0, s37
	v_fmac_f32_e32 v3, 0x4f800000, v4
	s_delay_alu instid0(VALU_DEP_1) | instskip(SKIP_2) | instid1(VALU_DEP_1)
	v_rcp_f32_e32 v3, v3
	s_waitcnt_depctr 0xfff
	v_mul_f32_e32 v3, 0x5f7ffffc, v3
	v_mul_f32_e32 v4, 0x2f800000, v3
	s_delay_alu instid0(VALU_DEP_1) | instskip(NEXT) | instid1(VALU_DEP_1)
	v_trunc_f32_e32 v4, v4
	v_fmac_f32_e32 v3, 0xcf800000, v4
	v_cvt_u32_f32_e32 v4, v4
	s_delay_alu instid0(VALU_DEP_2) | instskip(NEXT) | instid1(VALU_DEP_2)
	v_cvt_u32_f32_e32 v3, v3
	v_mul_lo_u32 v5, s0, v4
	s_delay_alu instid0(VALU_DEP_2) | instskip(SKIP_1) | instid1(VALU_DEP_2)
	v_mul_hi_u32 v6, s0, v3
	v_mul_lo_u32 v7, s35, v3
	v_add_nc_u32_e32 v5, v6, v5
	v_mul_lo_u32 v6, s0, v3
	s_delay_alu instid0(VALU_DEP_2) | instskip(NEXT) | instid1(VALU_DEP_2)
	v_add_nc_u32_e32 v5, v5, v7
	v_mul_hi_u32 v7, v3, v6
	s_delay_alu instid0(VALU_DEP_2)
	v_mul_lo_u32 v10, v3, v5
	v_mul_hi_u32 v11, v3, v5
	v_mul_hi_u32 v12, v4, v6
	v_mul_lo_u32 v6, v4, v6
	v_mul_hi_u32 v13, v4, v5
	v_mul_lo_u32 v5, v4, v5
	v_add_co_u32 v7, vcc_lo, v7, v10
	v_add_co_ci_u32_e32 v10, vcc_lo, 0, v11, vcc_lo
	s_delay_alu instid0(VALU_DEP_2) | instskip(NEXT) | instid1(VALU_DEP_2)
	v_add_co_u32 v6, vcc_lo, v7, v6
	v_add_co_ci_u32_e32 v6, vcc_lo, v10, v12, vcc_lo
	v_add_co_ci_u32_e32 v7, vcc_lo, 0, v13, vcc_lo
	v_ashrrev_i32_e32 v12, 31, v9
	s_delay_alu instid0(VALU_DEP_3) | instskip(NEXT) | instid1(VALU_DEP_3)
	v_add_co_u32 v5, vcc_lo, v6, v5
	v_add_co_ci_u32_e32 v6, vcc_lo, 0, v7, vcc_lo
	s_delay_alu instid0(VALU_DEP_2) | instskip(NEXT) | instid1(VALU_DEP_2)
	v_add_co_u32 v3, vcc_lo, v3, v5
	v_add_co_ci_u32_e32 v4, vcc_lo, v4, v6, vcc_lo
	s_delay_alu instid0(VALU_DEP_2) | instskip(SKIP_1) | instid1(VALU_DEP_3)
	v_mul_hi_u32 v5, s0, v3
	v_mul_lo_u32 v7, s35, v3
	v_mul_lo_u32 v6, s0, v4
	s_delay_alu instid0(VALU_DEP_1) | instskip(SKIP_1) | instid1(VALU_DEP_2)
	v_add_nc_u32_e32 v5, v5, v6
	v_mul_lo_u32 v6, s0, v3
	v_add_nc_u32_e32 v5, v5, v7
	s_delay_alu instid0(VALU_DEP_2) | instskip(NEXT) | instid1(VALU_DEP_2)
	v_mul_hi_u32 v7, v3, v6
	v_mul_lo_u32 v10, v3, v5
	v_mul_hi_u32 v11, v3, v5
	v_mul_hi_u32 v13, v4, v6
	v_mul_lo_u32 v6, v4, v6
	v_mul_hi_u32 v14, v4, v5
	v_mul_lo_u32 v5, v4, v5
	v_add_co_u32 v7, vcc_lo, v7, v10
	v_add_co_ci_u32_e32 v10, vcc_lo, 0, v11, vcc_lo
	s_delay_alu instid0(VALU_DEP_2) | instskip(NEXT) | instid1(VALU_DEP_2)
	v_add_co_u32 v6, vcc_lo, v7, v6
	v_add_co_ci_u32_e32 v6, vcc_lo, v10, v13, vcc_lo
	v_add_co_ci_u32_e32 v7, vcc_lo, 0, v14, vcc_lo
	v_add_co_u32 v10, vcc_lo, v8, v12
	v_add_co_ci_u32_e32 v11, vcc_lo, v9, v12, vcc_lo
	s_delay_alu instid0(VALU_DEP_4) | instskip(NEXT) | instid1(VALU_DEP_4)
	v_add_co_u32 v5, vcc_lo, v6, v5
	v_add_co_ci_u32_e32 v6, vcc_lo, 0, v7, vcc_lo
	s_delay_alu instid0(VALU_DEP_4) | instskip(NEXT) | instid1(VALU_DEP_3)
	v_xor_b32_e32 v7, v10, v12
	v_add_co_u32 v10, vcc_lo, v3, v5
	s_delay_alu instid0(VALU_DEP_3) | instskip(SKIP_1) | instid1(VALU_DEP_3)
	v_add_co_ci_u32_e32 v13, vcc_lo, v4, v6, vcc_lo
	v_xor_b32_e32 v14, v11, v12
	v_mul_hi_u32 v15, v7, v10
	s_delay_alu instid0(VALU_DEP_3) | instskip(NEXT) | instid1(VALU_DEP_3)
	v_mad_u64_u32 v[3:4], null, v7, v13, 0
	v_mad_u64_u32 v[5:6], null, v14, v10, 0
	;; [unrolled: 1-line block ×3, first 2 shown]
	s_delay_alu instid0(VALU_DEP_3) | instskip(NEXT) | instid1(VALU_DEP_4)
	v_add_co_u32 v3, vcc_lo, v15, v3
	v_add_co_ci_u32_e32 v4, vcc_lo, 0, v4, vcc_lo
	s_delay_alu instid0(VALU_DEP_2) | instskip(NEXT) | instid1(VALU_DEP_2)
	v_add_co_u32 v3, vcc_lo, v3, v5
	v_add_co_ci_u32_e32 v3, vcc_lo, v4, v6, vcc_lo
	v_add_co_ci_u32_e32 v4, vcc_lo, 0, v11, vcc_lo
	s_delay_alu instid0(VALU_DEP_2) | instskip(NEXT) | instid1(VALU_DEP_2)
	v_add_co_u32 v5, vcc_lo, v3, v10
	v_add_co_ci_u32_e32 v6, vcc_lo, 0, v4, vcc_lo
	s_delay_alu instid0(VALU_DEP_2) | instskip(SKIP_1) | instid1(VALU_DEP_3)
	v_mul_lo_u32 v10, s37, v5
	v_mad_u64_u32 v[3:4], null, s36, v5, 0
	v_mul_lo_u32 v11, s36, v6
	s_delay_alu instid0(VALU_DEP_2) | instskip(NEXT) | instid1(VALU_DEP_2)
	v_sub_co_u32 v3, vcc_lo, v7, v3
	v_add3_u32 v4, v4, v11, v10
	s_delay_alu instid0(VALU_DEP_1) | instskip(NEXT) | instid1(VALU_DEP_1)
	v_sub_nc_u32_e32 v10, v14, v4
	v_subrev_co_ci_u32_e64 v7, s0, s37, v10, vcc_lo
	v_add_co_u32 v10, s0, v5, 2
	s_delay_alu instid0(VALU_DEP_1) | instskip(SKIP_3) | instid1(VALU_DEP_3)
	v_add_co_ci_u32_e64 v11, s0, 0, v6, s0
	v_sub_co_u32 v13, s0, v3, s36
	v_sub_co_ci_u32_e32 v4, vcc_lo, v14, v4, vcc_lo
	v_subrev_co_ci_u32_e64 v7, s0, 0, v7, s0
	v_cmp_le_u32_e32 vcc_lo, s36, v13
	s_delay_alu instid0(VALU_DEP_3) | instskip(SKIP_1) | instid1(VALU_DEP_4)
	v_cmp_eq_u32_e64 s0, s37, v4
	v_cndmask_b32_e64 v13, 0, -1, vcc_lo
	v_cmp_le_u32_e32 vcc_lo, s37, v7
	v_cndmask_b32_e64 v14, 0, -1, vcc_lo
	v_cmp_le_u32_e32 vcc_lo, s36, v3
	;; [unrolled: 2-line block ×3, first 2 shown]
	v_cndmask_b32_e64 v15, 0, -1, vcc_lo
	v_cmp_eq_u32_e32 vcc_lo, s37, v7
	s_delay_alu instid0(VALU_DEP_2) | instskip(SKIP_3) | instid1(VALU_DEP_3)
	v_cndmask_b32_e64 v3, v15, v3, s0
	v_cndmask_b32_e32 v7, v14, v13, vcc_lo
	v_add_co_u32 v13, vcc_lo, v5, 1
	v_add_co_ci_u32_e32 v14, vcc_lo, 0, v6, vcc_lo
	v_cmp_ne_u32_e32 vcc_lo, 0, v7
	s_delay_alu instid0(VALU_DEP_2) | instskip(SKIP_2) | instid1(VALU_DEP_3)
	v_dual_cndmask_b32 v4, v14, v11 :: v_dual_cndmask_b32 v7, v13, v10
	v_cmp_ne_u32_e32 vcc_lo, 0, v3
	v_xor_b32_e32 v3, s34, v12
	v_dual_cndmask_b32 v5, v5, v7 :: v_dual_cndmask_b32 v4, v6, v4
	s_delay_alu instid0(VALU_DEP_1) | instskip(NEXT) | instid1(VALU_DEP_2)
	v_xor_b32_e32 v5, v5, v3
	v_xor_b32_e32 v4, v4, v3
	s_delay_alu instid0(VALU_DEP_2) | instskip(NEXT) | instid1(VALU_DEP_2)
	v_sub_co_u32 v6, vcc_lo, v5, v3
	v_sub_co_ci_u32_e32 v7, vcc_lo, v4, v3, vcc_lo
.LBB7_9:                                ;   in Loop: Header=BB7_3 Depth=1
	s_and_not1_saveexec_b32 s0, s31
	s_cbranch_execz .LBB7_11
; %bb.10:                               ;   in Loop: Header=BB7_3 Depth=1
	v_cvt_f32_u32_e32 v3, s8
	s_sub_i32 s31, 0, s8
	v_mov_b32_e32 v7, v2
	s_delay_alu instid0(VALU_DEP_2) | instskip(SKIP_2) | instid1(VALU_DEP_1)
	v_rcp_iflag_f32_e32 v3, v3
	s_waitcnt_depctr 0xfff
	v_mul_f32_e32 v3, 0x4f7ffffe, v3
	v_cvt_u32_f32_e32 v3, v3
	s_delay_alu instid0(VALU_DEP_1) | instskip(NEXT) | instid1(VALU_DEP_1)
	v_mul_lo_u32 v4, s31, v3
	v_mul_hi_u32 v4, v3, v4
	s_delay_alu instid0(VALU_DEP_1) | instskip(NEXT) | instid1(VALU_DEP_1)
	v_add_nc_u32_e32 v3, v3, v4
	v_mul_hi_u32 v3, v8, v3
	s_delay_alu instid0(VALU_DEP_1) | instskip(SKIP_1) | instid1(VALU_DEP_2)
	v_mul_lo_u32 v4, v3, s8
	v_add_nc_u32_e32 v5, 1, v3
	v_sub_nc_u32_e32 v4, v8, v4
	s_delay_alu instid0(VALU_DEP_1) | instskip(SKIP_1) | instid1(VALU_DEP_2)
	v_subrev_nc_u32_e32 v6, s8, v4
	v_cmp_le_u32_e32 vcc_lo, s8, v4
	v_dual_cndmask_b32 v4, v4, v6 :: v_dual_cndmask_b32 v3, v3, v5
	s_delay_alu instid0(VALU_DEP_1) | instskip(NEXT) | instid1(VALU_DEP_2)
	v_cmp_le_u32_e32 vcc_lo, s8, v4
	v_add_nc_u32_e32 v5, 1, v3
	s_delay_alu instid0(VALU_DEP_1)
	v_cndmask_b32_e32 v6, v3, v5, vcc_lo
.LBB7_11:                               ;   in Loop: Header=BB7_3 Depth=1
	s_or_b32 exec_lo, exec_lo, s0
	v_mul_lo_u32 v5, v9, s2
	v_mul_lo_u32 v12, v8, s3
	v_mad_u64_u32 v[3:4], null, v8, s2, 0
	v_mul_lo_u32 v13, v7, s8
	v_mul_lo_u32 v14, v6, s9
	v_mad_u64_u32 v[10:11], null, v6, s8, 0
	s_mov_b64 s[34:35], s[28:29]
	s_mov_b64 s[36:37], s[26:27]
	s_delay_alu instid0(VALU_DEP_4) | instskip(SKIP_2) | instid1(VALU_DEP_3)
	v_add3_u32 v5, v4, v12, v5
	v_sub_co_u32 v4, vcc_lo, v0, v3
	s_mov_b64 s[38:39], s[24:25]
	v_add3_u32 v3, v11, v14, v13
	s_delay_alu instid0(VALU_DEP_3) | instskip(NEXT) | instid1(VALU_DEP_3)
	v_sub_co_ci_u32_e32 v5, vcc_lo, v1, v5, vcc_lo
	v_mul_lo_u32 v11, s15, v4
	v_mul_lo_u32 v12, s19, v4
	v_mad_u64_u32 v[14:15], null, s18, v4, 0
	s_delay_alu instid0(VALU_DEP_4)
	v_mul_lo_u32 v13, s14, v5
	v_mul_lo_u32 v16, s18, v5
	v_mad_u64_u32 v[21:22], null, s14, v4, 0
	v_sub_co_u32 v19, vcc_lo, v8, v10
	v_sub_co_ci_u32_e32 v20, vcc_lo, v9, v3, vcc_lo
	s_and_b32 vcc_lo, exec_lo, s1
	s_delay_alu instid0(VALU_DEP_4) | instskip(NEXT) | instid1(VALU_DEP_4)
	v_add3_u32 v15, v15, v16, v12
	v_add3_u32 v22, v22, v13, v11
	v_mul_lo_u32 v3, s13, v19
	v_mul_lo_u32 v8, s12, v20
	;; [unrolled: 1-line block ×3, first 2 shown]
	v_mad_u64_u32 v[12:13], null, s16, v19, v[14:15]
	v_mul_lo_u32 v10, s17, v19
	v_mad_u64_u32 v[16:17], null, s12, v19, v[21:22]
	s_delay_alu instid0(VALU_DEP_2) | instskip(NEXT) | instid1(VALU_DEP_2)
	v_add3_u32 v13, v10, v13, v9
	v_add3_u32 v17, v3, v17, v8
	v_mov_b32_e32 v8, v12
	s_delay_alu instid0(VALU_DEP_3) | instskip(NEXT) | instid1(VALU_DEP_3)
	v_dual_mov_b32 v10, v16 :: v_dual_mov_b32 v9, v13
	v_mov_b32_e32 v11, v17
	s_cbranch_vccnz .LBB7_28
.LBB7_12:                               ;   in Loop: Header=BB7_3 Depth=1
	v_sub_co_u32 v6, vcc_lo, v4, v19
	v_sub_co_ci_u32_e32 v7, vcc_lo, v5, v20, vcc_lo
	v_mov_b32_e32 v8, 0
	s_mov_b32 s0, exec_lo
	s_delay_alu instid0(VALU_DEP_2)
	v_cmpx_ge_i64_e64 s[4:5], v[6:7]
	s_cbranch_execz .LBB7_22
; %bb.13:                               ;   in Loop: Header=BB7_3 Depth=1
	v_mov_b32_e32 v3, 0
	s_mov_b32 s31, exec_lo
	v_cmpx_gt_i64_e64 s[10:11], v[4:5]
	s_cbranch_execz .LBB7_21
; %bb.14:                               ;   in Loop: Header=BB7_3 Depth=1
	v_add_co_u32 v8, vcc_lo, s20, v16
	v_add_co_ci_u32_e32 v9, vcc_lo, s21, v17, vcc_lo
	v_add_co_u32 v10, vcc_lo, v4, 1
	v_add_co_ci_u32_e32 v11, vcc_lo, 0, v5, vcc_lo
	global_load_u8 v3, v[8:9], off
	s_mov_b32 s34, exec_lo
	v_cmpx_gt_i64_e64 s[10:11], v[10:11]
	s_xor_b32 s34, exec_lo, s34
	s_cbranch_execz .LBB7_20
; %bb.15:                               ;   in Loop: Header=BB7_3 Depth=1
	v_add_co_u32 v8, vcc_lo, v8, s14
	v_add_co_ci_u32_e32 v9, vcc_lo, s15, v9, vcc_lo
	s_mov_b32 s35, exec_lo
	global_load_u8 v10, v[8:9], off
	s_waitcnt vmcnt(0)
	v_lshlrev_b16 v14, 8, v10
	v_add_co_u32 v10, vcc_lo, v4, 2
	v_add_co_ci_u32_e32 v11, vcc_lo, 0, v5, vcc_lo
	s_delay_alu instid0(VALU_DEP_3) | instskip(NEXT) | instid1(VALU_DEP_1)
	v_or_b32_e32 v3, v3, v14
	v_and_b32_e32 v3, 0xffff, v3
	s_delay_alu instid0(VALU_DEP_3)
	v_cmpx_gt_i64_e64 s[10:11], v[10:11]
	s_xor_b32 s35, exec_lo, s35
	s_cbranch_execz .LBB7_19
; %bb.16:                               ;   in Loop: Header=BB7_3 Depth=1
	v_add_co_u32 v8, vcc_lo, v8, s14
	v_add_co_ci_u32_e32 v9, vcc_lo, s15, v9, vcc_lo
	v_add_co_u32 v10, vcc_lo, v4, 3
	v_add_co_ci_u32_e32 v11, vcc_lo, 0, v5, vcc_lo
	global_load_u8 v14, v[8:9], off
	s_mov_b32 s36, exec_lo
	s_waitcnt vmcnt(0)
	v_lshl_or_b32 v3, v14, 16, v3
	v_cmpx_gt_i64_e64 s[10:11], v[10:11]
	s_xor_b32 s36, exec_lo, s36
	s_cbranch_execz .LBB7_18
; %bb.17:                               ;   in Loop: Header=BB7_3 Depth=1
	v_add_co_u32 v8, vcc_lo, v8, s14
	v_add_co_ci_u32_e32 v9, vcc_lo, s15, v9, vcc_lo
	global_load_u8 v8, v[8:9], off
	v_lshrrev_b32_e32 v9, 16, v3
	s_waitcnt vmcnt(0)
	v_lshlrev_b16 v8, 8, v8
	s_delay_alu instid0(VALU_DEP_1) | instskip(NEXT) | instid1(VALU_DEP_1)
	v_or_b32_e32 v8, v9, v8
	v_lshlrev_b32_e32 v8, 16, v8
	s_delay_alu instid0(VALU_DEP_1)
	v_and_or_b32 v3, 0xffff, v3, v8
.LBB7_18:                               ;   in Loop: Header=BB7_3 Depth=1
	s_or_b32 exec_lo, exec_lo, s36
.LBB7_19:                               ;   in Loop: Header=BB7_3 Depth=1
	s_delay_alu instid0(SALU_CYCLE_1)
	s_or_b32 exec_lo, exec_lo, s35
.LBB7_20:                               ;   in Loop: Header=BB7_3 Depth=1
	s_delay_alu instid0(SALU_CYCLE_1)
	s_or_b32 exec_lo, exec_lo, s34
.LBB7_21:                               ;   in Loop: Header=BB7_3 Depth=1
	s_delay_alu instid0(SALU_CYCLE_1)
	s_or_b32 exec_lo, exec_lo, s31
	v_add_co_u32 v8, vcc_lo, v6, 1
	v_add_co_ci_u32_e32 v9, vcc_lo, 0, v7, vcc_lo
	v_add_co_u32 v10, vcc_lo, v6, 2
	v_add_co_ci_u32_e32 v11, vcc_lo, 0, v7, vcc_lo
	;; [unrolled: 2-line block ×3, first 2 shown]
	v_cmp_ge_i64_e32 vcc_lo, s[4:5], v[8:9]
	s_waitcnt vmcnt(0)
	v_lshrrev_b32_e32 v15, 8, v3
	v_lshrrev_b32_e32 v14, 16, v3
	;; [unrolled: 1-line block ×3, first 2 shown]
	v_and_b32_e32 v3, 0xff, v3
	s_delay_alu instid0(VALU_DEP_4) | instskip(SKIP_3) | instid1(VALU_DEP_4)
	v_cndmask_b32_e32 v8, 0, v15, vcc_lo
	v_cmp_ge_i64_e32 vcc_lo, s[4:5], v[10:11]
	v_cndmask_b32_e32 v9, 0, v14, vcc_lo
	v_cmp_ge_i64_e32 vcc_lo, s[4:5], v[6:7]
	v_lshlrev_b16 v7, 8, v8
	s_delay_alu instid0(VALU_DEP_3) | instskip(SKIP_1) | instid1(VALU_DEP_3)
	v_and_b32_e32 v8, 0xff, v9
	v_cndmask_b32_e32 v6, 0, v16, vcc_lo
	v_or_b32_e32 v3, v3, v7
	s_delay_alu instid0(VALU_DEP_2) | instskip(NEXT) | instid1(VALU_DEP_2)
	v_lshlrev_b16 v6, 8, v6
	v_and_b32_e32 v3, 0xffff, v3
	s_delay_alu instid0(VALU_DEP_2) | instskip(NEXT) | instid1(VALU_DEP_1)
	v_or_b32_e32 v6, v8, v6
	v_lshlrev_b32_e32 v6, 16, v6
	s_delay_alu instid0(VALU_DEP_1)
	v_or_b32_e32 v8, v3, v6
.LBB7_22:                               ;   in Loop: Header=BB7_3 Depth=1
	s_or_b32 exec_lo, exec_lo, s0
	s_delay_alu instid0(SALU_CYCLE_1)
	s_mov_b32 s0, exec_lo
	v_cmpx_gt_i64_e64 s[10:11], v[4:5]
	s_cbranch_execz .LBB7_2
; %bb.23:                               ;   in Loop: Header=BB7_3 Depth=1
	v_add_co_u32 v9, vcc_lo, v4, 1
	v_add_co_ci_u32_e32 v10, vcc_lo, 0, v5, vcc_lo
	v_add_co_u32 v6, vcc_lo, s22, v12
	v_add_co_ci_u32_e32 v7, vcc_lo, s23, v13, vcc_lo
	s_mov_b32 s31, exec_lo
	global_store_b8 v[6:7], v8, off
	v_cmpx_gt_i64_e64 s[10:11], v[9:10]
	s_xor_b32 s31, exec_lo, s31
	s_cbranch_execz .LBB7_2
; %bb.24:                               ;   in Loop: Header=BB7_3 Depth=1
	v_add_co_u32 v9, vcc_lo, v4, 2
	v_add_co_ci_u32_e32 v10, vcc_lo, 0, v5, vcc_lo
	v_add_co_u32 v6, vcc_lo, v6, s18
	v_lshrrev_b32_e32 v3, 8, v8
	v_add_co_ci_u32_e32 v7, vcc_lo, s19, v7, vcc_lo
	s_mov_b32 s31, exec_lo
	global_store_b8 v[6:7], v3, off
	v_cmpx_gt_i64_e64 s[10:11], v[9:10]
	s_xor_b32 s31, exec_lo, s31
	s_cbranch_execz .LBB7_2
; %bb.25:                               ;   in Loop: Header=BB7_3 Depth=1
	v_add_co_u32 v9, vcc_lo, v4, 3
	v_add_co_ci_u32_e32 v10, vcc_lo, 0, v5, vcc_lo
	v_add_co_u32 v3, vcc_lo, v6, s18
	v_add_co_ci_u32_e32 v4, vcc_lo, s19, v7, vcc_lo
	s_mov_b32 s31, exec_lo
	global_store_d16_hi_b8 v[3:4], v8, off
	v_cmpx_gt_i64_e64 s[10:11], v[9:10]
	s_xor_b32 s31, exec_lo, s31
	s_cbranch_execz .LBB7_2
; %bb.26:                               ;   in Loop: Header=BB7_3 Depth=1
	v_add_co_u32 v3, vcc_lo, v3, s18
	v_lshrrev_b32_e32 v5, 24, v8
	v_add_co_ci_u32_e32 v4, vcc_lo, s19, v4, vcc_lo
	global_store_b8 v[3:4], v5, off
	s_branch .LBB7_2
.LBB7_27:                               ;   in Loop: Header=BB7_28 Depth=2
	s_or_b32 exec_lo, exec_lo, s0
	s_delay_alu instid0(VALU_DEP_1) | instskip(NEXT) | instid1(VALU_DEP_2)
	v_mul_lo_u32 v3, v15, s40
	v_mul_lo_u32 v16, v14, s41
	s_load_b64 s[42:43], s[36:37], 0xc8
	v_mad_u64_u32 v[12:13], null, v14, s40, 0
	s_load_b64 s[40:41], s[38:39], 0x0
	s_add_u32 s38, s38, -8
	s_addc_u32 s39, s39, -1
	s_add_u32 s36, s36, -8
	s_addc_u32 s37, s37, -1
	s_add_u32 s34, s34, -1
	s_delay_alu instid0(VALU_DEP_1) | instskip(SKIP_2) | instid1(VALU_DEP_2)
	v_add3_u32 v3, v13, v16, v3
	v_sub_co_u32 v6, vcc_lo, v6, v12
	s_addc_u32 s35, s35, -1
	v_sub_co_ci_u32_e32 v3, vcc_lo, v7, v3, vcc_lo
	v_cmp_lt_i64_e64 s0, s[34:35], 1
	s_waitcnt lgkmcnt(0)
	s_delay_alu instid0(VALU_DEP_2)
	v_mul_lo_u32 v7, s42, v3
	v_mul_lo_u32 v21, s43, v6
	v_mad_u64_u32 v[16:17], null, s42, v6, v[10:11]
	v_mul_lo_u32 v3, s40, v3
	v_mul_lo_u32 v10, s41, v6
	v_mad_u64_u32 v[12:13], null, s40, v6, v[8:9]
	s_and_b32 vcc_lo, exec_lo, s0
	s_delay_alu instid0(VALU_DEP_4) | instskip(SKIP_1) | instid1(VALU_DEP_3)
	v_add3_u32 v17, v21, v17, v7
	v_dual_mov_b32 v6, v14 :: v_dual_mov_b32 v7, v15
	v_add3_u32 v13, v10, v13, v3
	s_delay_alu instid0(VALU_DEP_4) | instskip(NEXT) | instid1(VALU_DEP_4)
	v_mov_b32_e32 v8, v12
	v_dual_mov_b32 v10, v16 :: v_dual_mov_b32 v11, v17
	s_delay_alu instid0(VALU_DEP_3)
	v_mov_b32_e32 v9, v13
	s_cbranch_vccnz .LBB7_12
.LBB7_28:                               ;   Parent Loop BB7_3 Depth=1
                                        ; =>  This Inner Loop Header: Depth=2
	s_load_b64 s[40:41], s[36:37], 0x0
                                        ; implicit-def: $vgpr14_vgpr15
	s_mov_b32 s0, exec_lo
	s_waitcnt lgkmcnt(0)
	v_or_b32_e32 v3, s41, v7
	s_delay_alu instid0(VALU_DEP_1)
	v_cmpx_ne_u64_e32 0, v[2:3]
	s_xor_b32 s31, exec_lo, s0
	s_cbranch_execz .LBB7_30
; %bb.29:                               ;   in Loop: Header=BB7_28 Depth=2
	s_ashr_i32 s42, s41, 31
	s_delay_alu instid0(SALU_CYCLE_1) | instskip(SKIP_2) | instid1(SALU_CYCLE_1)
	s_add_u32 s44, s40, s42
	s_mov_b32 s43, s42
	s_addc_u32 s45, s41, s42
	s_xor_b64 s[44:45], s[44:45], s[42:43]
	s_delay_alu instid0(SALU_CYCLE_1) | instskip(SKIP_3) | instid1(VALU_DEP_1)
	v_cvt_f32_u32_e32 v3, s44
	v_cvt_f32_u32_e32 v12, s45
	s_sub_u32 s0, 0, s44
	s_subb_u32 s43, 0, s45
	v_fmac_f32_e32 v3, 0x4f800000, v12
	s_delay_alu instid0(VALU_DEP_1) | instskip(SKIP_2) | instid1(VALU_DEP_1)
	v_rcp_f32_e32 v3, v3
	s_waitcnt_depctr 0xfff
	v_mul_f32_e32 v3, 0x5f7ffffc, v3
	v_mul_f32_e32 v12, 0x2f800000, v3
	s_delay_alu instid0(VALU_DEP_1) | instskip(NEXT) | instid1(VALU_DEP_1)
	v_trunc_f32_e32 v12, v12
	v_fmac_f32_e32 v3, 0xcf800000, v12
	v_cvt_u32_f32_e32 v12, v12
	s_delay_alu instid0(VALU_DEP_2) | instskip(NEXT) | instid1(VALU_DEP_2)
	v_cvt_u32_f32_e32 v3, v3
	v_mul_lo_u32 v13, s0, v12
	s_delay_alu instid0(VALU_DEP_2) | instskip(SKIP_1) | instid1(VALU_DEP_2)
	v_mul_hi_u32 v14, s0, v3
	v_mul_lo_u32 v15, s43, v3
	v_add_nc_u32_e32 v13, v14, v13
	v_mul_lo_u32 v14, s0, v3
	s_delay_alu instid0(VALU_DEP_2) | instskip(NEXT) | instid1(VALU_DEP_2)
	v_add_nc_u32_e32 v13, v13, v15
	v_mul_hi_u32 v15, v3, v14
	s_delay_alu instid0(VALU_DEP_2)
	v_mul_lo_u32 v16, v3, v13
	v_mul_hi_u32 v17, v3, v13
	v_mul_hi_u32 v21, v12, v14
	v_mul_lo_u32 v14, v12, v14
	v_mul_hi_u32 v22, v12, v13
	v_mul_lo_u32 v13, v12, v13
	v_add_co_u32 v15, vcc_lo, v15, v16
	v_add_co_ci_u32_e32 v16, vcc_lo, 0, v17, vcc_lo
	s_delay_alu instid0(VALU_DEP_2) | instskip(NEXT) | instid1(VALU_DEP_2)
	v_add_co_u32 v14, vcc_lo, v15, v14
	v_add_co_ci_u32_e32 v14, vcc_lo, v16, v21, vcc_lo
	v_add_co_ci_u32_e32 v15, vcc_lo, 0, v22, vcc_lo
	v_ashrrev_i32_e32 v21, 31, v7
	s_delay_alu instid0(VALU_DEP_3) | instskip(NEXT) | instid1(VALU_DEP_3)
	v_add_co_u32 v13, vcc_lo, v14, v13
	v_add_co_ci_u32_e32 v14, vcc_lo, 0, v15, vcc_lo
	s_delay_alu instid0(VALU_DEP_2) | instskip(NEXT) | instid1(VALU_DEP_2)
	v_add_co_u32 v3, vcc_lo, v3, v13
	v_add_co_ci_u32_e32 v12, vcc_lo, v12, v14, vcc_lo
	s_delay_alu instid0(VALU_DEP_2) | instskip(SKIP_1) | instid1(VALU_DEP_3)
	v_mul_hi_u32 v13, s0, v3
	v_mul_lo_u32 v15, s43, v3
	v_mul_lo_u32 v14, s0, v12
	s_delay_alu instid0(VALU_DEP_1) | instskip(SKIP_1) | instid1(VALU_DEP_2)
	v_add_nc_u32_e32 v13, v13, v14
	v_mul_lo_u32 v14, s0, v3
	v_add_nc_u32_e32 v13, v13, v15
	s_delay_alu instid0(VALU_DEP_2) | instskip(NEXT) | instid1(VALU_DEP_2)
	v_mul_hi_u32 v15, v3, v14
	v_mul_lo_u32 v16, v3, v13
	v_mul_hi_u32 v17, v3, v13
	v_mul_hi_u32 v22, v12, v14
	v_mul_lo_u32 v14, v12, v14
	v_mul_hi_u32 v23, v12, v13
	v_mul_lo_u32 v13, v12, v13
	v_add_co_u32 v15, vcc_lo, v15, v16
	v_add_co_ci_u32_e32 v16, vcc_lo, 0, v17, vcc_lo
	s_delay_alu instid0(VALU_DEP_2) | instskip(NEXT) | instid1(VALU_DEP_2)
	v_add_co_u32 v14, vcc_lo, v15, v14
	v_add_co_ci_u32_e32 v14, vcc_lo, v16, v22, vcc_lo
	v_add_co_ci_u32_e32 v15, vcc_lo, 0, v23, vcc_lo
	v_add_co_u32 v16, vcc_lo, v6, v21
	v_add_co_ci_u32_e32 v17, vcc_lo, v7, v21, vcc_lo
	s_delay_alu instid0(VALU_DEP_4) | instskip(NEXT) | instid1(VALU_DEP_4)
	v_add_co_u32 v13, vcc_lo, v14, v13
	v_add_co_ci_u32_e32 v14, vcc_lo, 0, v15, vcc_lo
	s_delay_alu instid0(VALU_DEP_4) | instskip(NEXT) | instid1(VALU_DEP_3)
	v_xor_b32_e32 v22, v16, v21
	v_add_co_u32 v3, vcc_lo, v3, v13
	s_delay_alu instid0(VALU_DEP_3) | instskip(SKIP_1) | instid1(VALU_DEP_3)
	v_add_co_ci_u32_e32 v23, vcc_lo, v12, v14, vcc_lo
	v_xor_b32_e32 v24, v17, v21
	v_mul_hi_u32 v25, v22, v3
	s_delay_alu instid0(VALU_DEP_3) | instskip(NEXT) | instid1(VALU_DEP_3)
	v_mad_u64_u32 v[12:13], null, v22, v23, 0
	v_mad_u64_u32 v[14:15], null, v24, v3, 0
	;; [unrolled: 1-line block ×3, first 2 shown]
	s_delay_alu instid0(VALU_DEP_3) | instskip(NEXT) | instid1(VALU_DEP_4)
	v_add_co_u32 v3, vcc_lo, v25, v12
	v_add_co_ci_u32_e32 v12, vcc_lo, 0, v13, vcc_lo
	s_delay_alu instid0(VALU_DEP_2) | instskip(NEXT) | instid1(VALU_DEP_2)
	v_add_co_u32 v3, vcc_lo, v3, v14
	v_add_co_ci_u32_e32 v3, vcc_lo, v12, v15, vcc_lo
	v_add_co_ci_u32_e32 v12, vcc_lo, 0, v17, vcc_lo
	s_delay_alu instid0(VALU_DEP_2) | instskip(NEXT) | instid1(VALU_DEP_2)
	v_add_co_u32 v3, vcc_lo, v3, v16
	v_add_co_ci_u32_e32 v14, vcc_lo, 0, v12, vcc_lo
	s_delay_alu instid0(VALU_DEP_2) | instskip(SKIP_1) | instid1(VALU_DEP_3)
	v_mul_lo_u32 v15, s45, v3
	v_mad_u64_u32 v[12:13], null, s44, v3, 0
	v_mul_lo_u32 v16, s44, v14
	s_delay_alu instid0(VALU_DEP_2) | instskip(NEXT) | instid1(VALU_DEP_2)
	v_sub_co_u32 v12, vcc_lo, v22, v12
	v_add3_u32 v13, v13, v16, v15
	s_delay_alu instid0(VALU_DEP_1) | instskip(NEXT) | instid1(VALU_DEP_1)
	v_sub_nc_u32_e32 v15, v24, v13
	v_subrev_co_ci_u32_e64 v15, s0, s45, v15, vcc_lo
	v_add_co_u32 v16, s0, v3, 2
	s_delay_alu instid0(VALU_DEP_1) | instskip(SKIP_3) | instid1(VALU_DEP_3)
	v_add_co_ci_u32_e64 v17, s0, 0, v14, s0
	v_sub_co_u32 v22, s0, v12, s44
	v_sub_co_ci_u32_e32 v13, vcc_lo, v24, v13, vcc_lo
	v_subrev_co_ci_u32_e64 v15, s0, 0, v15, s0
	v_cmp_le_u32_e32 vcc_lo, s44, v22
	s_delay_alu instid0(VALU_DEP_3) | instskip(SKIP_1) | instid1(VALU_DEP_4)
	v_cmp_eq_u32_e64 s0, s45, v13
	v_cndmask_b32_e64 v22, 0, -1, vcc_lo
	v_cmp_le_u32_e32 vcc_lo, s45, v15
	v_cndmask_b32_e64 v23, 0, -1, vcc_lo
	v_cmp_le_u32_e32 vcc_lo, s44, v12
	;; [unrolled: 2-line block ×3, first 2 shown]
	v_cndmask_b32_e64 v24, 0, -1, vcc_lo
	v_cmp_eq_u32_e32 vcc_lo, s45, v15
	s_delay_alu instid0(VALU_DEP_2) | instskip(SKIP_3) | instid1(VALU_DEP_3)
	v_cndmask_b32_e64 v12, v24, v12, s0
	v_cndmask_b32_e32 v15, v23, v22, vcc_lo
	v_add_co_u32 v22, vcc_lo, v3, 1
	v_add_co_ci_u32_e32 v23, vcc_lo, 0, v14, vcc_lo
	v_cmp_ne_u32_e32 vcc_lo, 0, v15
	s_delay_alu instid0(VALU_DEP_2) | instskip(NEXT) | instid1(VALU_DEP_4)
	v_cndmask_b32_e32 v13, v23, v17, vcc_lo
	v_cndmask_b32_e32 v15, v22, v16, vcc_lo
	v_cmp_ne_u32_e32 vcc_lo, 0, v12
	v_xor_b32_e32 v12, s42, v21
	s_delay_alu instid0(VALU_DEP_3) | instskip(SKIP_1) | instid1(VALU_DEP_2)
	v_cndmask_b32_e32 v3, v3, v15, vcc_lo
	v_cndmask_b32_e32 v13, v14, v13, vcc_lo
	v_xor_b32_e32 v3, v3, v12
	s_delay_alu instid0(VALU_DEP_2) | instskip(NEXT) | instid1(VALU_DEP_2)
	v_xor_b32_e32 v13, v13, v12
	v_sub_co_u32 v14, vcc_lo, v3, v12
	s_delay_alu instid0(VALU_DEP_2)
	v_sub_co_ci_u32_e32 v15, vcc_lo, v13, v12, vcc_lo
.LBB7_30:                               ;   in Loop: Header=BB7_28 Depth=2
	s_and_not1_saveexec_b32 s0, s31
	s_cbranch_execz .LBB7_27
; %bb.31:                               ;   in Loop: Header=BB7_28 Depth=2
	v_cvt_f32_u32_e32 v3, s40
	s_sub_i32 s31, 0, s40
	v_mov_b32_e32 v15, v2
	s_delay_alu instid0(VALU_DEP_2) | instskip(SKIP_2) | instid1(VALU_DEP_1)
	v_rcp_iflag_f32_e32 v3, v3
	s_waitcnt_depctr 0xfff
	v_mul_f32_e32 v3, 0x4f7ffffe, v3
	v_cvt_u32_f32_e32 v3, v3
	s_delay_alu instid0(VALU_DEP_1) | instskip(NEXT) | instid1(VALU_DEP_1)
	v_mul_lo_u32 v12, s31, v3
	v_mul_hi_u32 v12, v3, v12
	s_delay_alu instid0(VALU_DEP_1) | instskip(NEXT) | instid1(VALU_DEP_1)
	v_add_nc_u32_e32 v3, v3, v12
	v_mul_hi_u32 v3, v6, v3
	s_delay_alu instid0(VALU_DEP_1) | instskip(SKIP_1) | instid1(VALU_DEP_2)
	v_mul_lo_u32 v12, v3, s40
	v_add_nc_u32_e32 v13, 1, v3
	v_sub_nc_u32_e32 v12, v6, v12
	s_delay_alu instid0(VALU_DEP_1) | instskip(SKIP_1) | instid1(VALU_DEP_2)
	v_subrev_nc_u32_e32 v14, s40, v12
	v_cmp_le_u32_e32 vcc_lo, s40, v12
	v_dual_cndmask_b32 v12, v12, v14 :: v_dual_cndmask_b32 v3, v3, v13
	s_delay_alu instid0(VALU_DEP_1) | instskip(NEXT) | instid1(VALU_DEP_2)
	v_cmp_le_u32_e32 vcc_lo, s40, v12
	v_add_nc_u32_e32 v13, 1, v3
	s_delay_alu instid0(VALU_DEP_1)
	v_cndmask_b32_e32 v14, v3, v13, vcc_lo
	s_branch .LBB7_27
.LBB7_32:
	s_nop 0
	s_sendmsg sendmsg(MSG_DEALLOC_VGPRS)
	s_endpgm
	.section	.rodata,"a",@progbits
	.p2align	6, 0x0
	.amdhsa_kernel _ZN2at6native16triu_tril_kernelIalLb0ELi4ELb0EEEvNS_4cuda6detail10TensorInfoIT_T0_EENS4_IKS5_S6_EEllS6_
		.amdhsa_group_segment_fixed_size 0
		.amdhsa_private_segment_fixed_size 0
		.amdhsa_kernarg_size 1112
		.amdhsa_user_sgpr_count 15
		.amdhsa_user_sgpr_dispatch_ptr 0
		.amdhsa_user_sgpr_queue_ptr 0
		.amdhsa_user_sgpr_kernarg_segment_ptr 1
		.amdhsa_user_sgpr_dispatch_id 0
		.amdhsa_user_sgpr_private_segment_size 0
		.amdhsa_wavefront_size32 1
		.amdhsa_uses_dynamic_stack 0
		.amdhsa_enable_private_segment 0
		.amdhsa_system_sgpr_workgroup_id_x 1
		.amdhsa_system_sgpr_workgroup_id_y 0
		.amdhsa_system_sgpr_workgroup_id_z 0
		.amdhsa_system_sgpr_workgroup_info 0
		.amdhsa_system_vgpr_workitem_id 0
		.amdhsa_next_free_vgpr 26
		.amdhsa_next_free_sgpr 47
		.amdhsa_reserve_vcc 1
		.amdhsa_float_round_mode_32 0
		.amdhsa_float_round_mode_16_64 0
		.amdhsa_float_denorm_mode_32 3
		.amdhsa_float_denorm_mode_16_64 3
		.amdhsa_dx10_clamp 1
		.amdhsa_ieee_mode 1
		.amdhsa_fp16_overflow 0
		.amdhsa_workgroup_processor_mode 1
		.amdhsa_memory_ordered 1
		.amdhsa_forward_progress 0
		.amdhsa_shared_vgpr_count 0
		.amdhsa_exception_fp_ieee_invalid_op 0
		.amdhsa_exception_fp_denorm_src 0
		.amdhsa_exception_fp_ieee_div_zero 0
		.amdhsa_exception_fp_ieee_overflow 0
		.amdhsa_exception_fp_ieee_underflow 0
		.amdhsa_exception_fp_ieee_inexact 0
		.amdhsa_exception_int_div_zero 0
	.end_amdhsa_kernel
	.section	.text._ZN2at6native16triu_tril_kernelIalLb0ELi4ELb0EEEvNS_4cuda6detail10TensorInfoIT_T0_EENS4_IKS5_S6_EEllS6_,"axG",@progbits,_ZN2at6native16triu_tril_kernelIalLb0ELi4ELb0EEEvNS_4cuda6detail10TensorInfoIT_T0_EENS4_IKS5_S6_EEllS6_,comdat
.Lfunc_end7:
	.size	_ZN2at6native16triu_tril_kernelIalLb0ELi4ELb0EEEvNS_4cuda6detail10TensorInfoIT_T0_EENS4_IKS5_S6_EEllS6_, .Lfunc_end7-_ZN2at6native16triu_tril_kernelIalLb0ELi4ELb0EEEvNS_4cuda6detail10TensorInfoIT_T0_EENS4_IKS5_S6_EEllS6_
                                        ; -- End function
	.section	.AMDGPU.csdata,"",@progbits
; Kernel info:
; codeLenInByte = 4548
; NumSgprs: 49
; NumVgprs: 26
; ScratchSize: 0
; MemoryBound: 0
; FloatMode: 240
; IeeeMode: 1
; LDSByteSize: 0 bytes/workgroup (compile time only)
; SGPRBlocks: 6
; VGPRBlocks: 3
; NumSGPRsForWavesPerEU: 49
; NumVGPRsForWavesPerEU: 26
; Occupancy: 16
; WaveLimiterHint : 0
; COMPUTE_PGM_RSRC2:SCRATCH_EN: 0
; COMPUTE_PGM_RSRC2:USER_SGPR: 15
; COMPUTE_PGM_RSRC2:TRAP_HANDLER: 0
; COMPUTE_PGM_RSRC2:TGID_X_EN: 1
; COMPUTE_PGM_RSRC2:TGID_Y_EN: 0
; COMPUTE_PGM_RSRC2:TGID_Z_EN: 0
; COMPUTE_PGM_RSRC2:TIDIG_COMP_CNT: 0
	.section	.text._ZN2at6native16triu_tril_kernelIiiLb0ELi2ELb1EEEvNS_4cuda6detail10TensorInfoIT_T0_EENS4_IKS5_S6_EEllS6_,"axG",@progbits,_ZN2at6native16triu_tril_kernelIiiLb0ELi2ELb1EEEvNS_4cuda6detail10TensorInfoIT_T0_EENS4_IKS5_S6_EEllS6_,comdat
	.protected	_ZN2at6native16triu_tril_kernelIiiLb0ELi2ELb1EEEvNS_4cuda6detail10TensorInfoIT_T0_EENS4_IKS5_S6_EEllS6_ ; -- Begin function _ZN2at6native16triu_tril_kernelIiiLb0ELi2ELb1EEEvNS_4cuda6detail10TensorInfoIT_T0_EENS4_IKS5_S6_EEllS6_
	.globl	_ZN2at6native16triu_tril_kernelIiiLb0ELi2ELb1EEEvNS_4cuda6detail10TensorInfoIT_T0_EENS4_IKS5_S6_EEllS6_
	.p2align	8
	.type	_ZN2at6native16triu_tril_kernelIiiLb0ELi2ELb1EEEvNS_4cuda6detail10TensorInfoIT_T0_EENS4_IKS5_S6_EEllS6_,@function
_ZN2at6native16triu_tril_kernelIiiLb0ELi2ELb1EEEvNS_4cuda6detail10TensorInfoIT_T0_EENS4_IKS5_S6_EEllS6_: ; @_ZN2at6native16triu_tril_kernelIiiLb0ELi2ELb1EEEvNS_4cuda6detail10TensorInfoIT_T0_EENS4_IKS5_S6_EEllS6_
; %bb.0:
	s_clause 0x1
	s_load_b32 s2, s[0:1], 0x1d4
	s_load_b128 s[4:7], s[0:1], 0x1b0
	v_mov_b32_e32 v2, 0
	s_add_u32 s8, s0, 0x1c8
	s_addc_u32 s9, s1, 0
	s_delay_alu instid0(VALU_DEP_1) | instskip(SKIP_3) | instid1(VALU_DEP_1)
	v_mov_b32_e32 v1, v2
	s_waitcnt lgkmcnt(0)
	s_and_b32 s14, s2, 0xffff
	s_mov_b32 s2, exec_lo
	v_mad_u64_u32 v[3:4], null, s14, s15, v[0:1]
	s_delay_alu instid0(VALU_DEP_1) | instskip(NEXT) | instid1(VALU_DEP_1)
	v_lshlrev_b64 v[0:1], 1, v[3:4]
	v_cmpx_gt_i64_e64 s[6:7], v[0:1]
	s_cbranch_execz .LBB8_64
; %bb.1:
	s_clause 0x2
	s_load_b32 s24, s[0:1], 0x1c0
	s_load_b32 s16, s[0:1], 0x1a8
	s_load_b64 s[2:3], s[0:1], 0x0
	s_load_b32 s19, s[8:9], 0x0
	s_mov_b32 s38, 0
	s_waitcnt lgkmcnt(0)
	s_ashr_i32 s25, s24, 31
	s_ashr_i32 s17, s16, 31
	s_add_u32 s26, s0, 0xe0
	s_addc_u32 s27, s1, 0
	s_lshl_b64 s[10:11], s[16:17], 2
	v_cvt_f32_u32_e32 v3, s24
	s_add_u32 s15, s10, -8
	s_addc_u32 s18, s11, -1
	s_add_u32 s12, s26, s15
	s_addc_u32 s13, s27, s18
	v_rcp_iflag_f32_e32 v3, v3
	s_load_b32 s28, s[12:13], 0x0
	s_mul_i32 s19, s19, s14
	v_cmp_gt_i64_e64 s37, s[16:17], 2
	s_waitcnt_depctr 0xfff
	v_mul_f32_e32 v3, 0x4f7ffffe, v3
	s_delay_alu instid0(VALU_DEP_1)
	v_cvt_u32_f32_e32 v3, v3
	s_waitcnt lgkmcnt(0)
	s_ashr_i32 s29, s28, 31
	s_add_u32 s12, s10, -4
	s_addc_u32 s13, s11, -1
	s_add_u32 s30, s0, 0x6c
	s_addc_u32 s1, s1, 0
	s_add_u32 s8, s30, s12
	s_addc_u32 s9, s1, s13
	;; [unrolled: 2-line block ×3, first 2 shown]
	s_add_i32 s31, s16, -3
	s_add_u32 s12, s26, s12
	s_addc_u32 s13, s27, s13
	s_add_i32 s0, s16, 6
	s_lshl_b32 s34, s19, 1
	s_and_b32 s33, s0, 7
	s_mov_b32 s15, 0
	s_cmp_lg_u32 s33, 0
	s_cselect_b32 s35, -1, 0
	s_cmp_gt_u32 s31, 6
	s_cselect_b32 s36, -1, 0
	s_sub_i32 s0, 0, s24
	s_delay_alu instid0(SALU_CYCLE_1) | instskip(NEXT) | instid1(VALU_DEP_1)
	v_mul_lo_u32 v4, s0, v3
	v_mul_hi_u32 v4, v3, v4
	s_delay_alu instid0(VALU_DEP_1)
	v_add_nc_u32_e32 v25, v3, v4
	s_branch .LBB8_3
.LBB8_2:                                ;   in Loop: Header=BB8_3 Depth=1
	s_or_b32 exec_lo, exec_lo, s39
	v_add_co_u32 v0, vcc_lo, v0, s34
	v_add_co_ci_u32_e32 v1, vcc_lo, 0, v1, vcc_lo
	s_delay_alu instid0(VALU_DEP_1) | instskip(SKIP_1) | instid1(SALU_CYCLE_1)
	v_cmp_le_i64_e32 vcc_lo, s[6:7], v[0:1]
	s_or_b32 s38, vcc_lo, s38
	s_and_not1_b32 exec_lo, exec_lo, s38
	s_cbranch_execz .LBB8_64
.LBB8_3:                                ; =>This Loop Header: Depth=1
                                        ;     Child Loop BB8_15 Depth 2
                                        ;     Child Loop BB8_24 Depth 2
	v_or_b32_e32 v3, s25, v1
                                        ; implicit-def: $vgpr4_vgpr5
	s_mov_b32 s0, exec_lo
	s_delay_alu instid0(VALU_DEP_1)
	v_cmpx_ne_u64_e32 0, v[2:3]
	s_xor_b32 s14, exec_lo, s0
	s_cbranch_execz .LBB8_5
; %bb.4:                                ;   in Loop: Header=BB8_3 Depth=1
	s_add_u32 s18, s24, s25
	s_mov_b32 s16, s25
	s_mov_b32 s17, s25
	s_addc_u32 s19, s25, s25
	s_delay_alu instid0(SALU_CYCLE_1) | instskip(NEXT) | instid1(SALU_CYCLE_1)
	s_xor_b64 s[18:19], s[18:19], s[16:17]
	v_cvt_f32_u32_e32 v3, s18
	v_cvt_f32_u32_e32 v4, s19
	s_sub_u32 s0, 0, s18
	s_subb_u32 s20, 0, s19
	s_delay_alu instid0(VALU_DEP_1) | instskip(NEXT) | instid1(VALU_DEP_1)
	v_fmac_f32_e32 v3, 0x4f800000, v4
	v_rcp_f32_e32 v3, v3
	s_waitcnt_depctr 0xfff
	v_mul_f32_e32 v3, 0x5f7ffffc, v3
	s_delay_alu instid0(VALU_DEP_1) | instskip(NEXT) | instid1(VALU_DEP_1)
	v_mul_f32_e32 v4, 0x2f800000, v3
	v_trunc_f32_e32 v4, v4
	s_delay_alu instid0(VALU_DEP_1) | instskip(SKIP_1) | instid1(VALU_DEP_2)
	v_fmac_f32_e32 v3, 0xcf800000, v4
	v_cvt_u32_f32_e32 v4, v4
	v_cvt_u32_f32_e32 v3, v3
	s_delay_alu instid0(VALU_DEP_2) | instskip(NEXT) | instid1(VALU_DEP_2)
	v_mul_lo_u32 v5, s0, v4
	v_mul_hi_u32 v6, s0, v3
	v_mul_lo_u32 v7, s20, v3
	s_delay_alu instid0(VALU_DEP_2) | instskip(SKIP_1) | instid1(VALU_DEP_2)
	v_add_nc_u32_e32 v5, v6, v5
	v_mul_lo_u32 v6, s0, v3
	v_add_nc_u32_e32 v5, v5, v7
	s_delay_alu instid0(VALU_DEP_2) | instskip(NEXT) | instid1(VALU_DEP_2)
	v_mul_hi_u32 v7, v3, v6
	v_mul_lo_u32 v8, v3, v5
	v_mul_hi_u32 v9, v3, v5
	v_mul_hi_u32 v10, v4, v6
	v_mul_lo_u32 v6, v4, v6
	v_mul_hi_u32 v11, v4, v5
	v_mul_lo_u32 v5, v4, v5
	v_add_co_u32 v7, vcc_lo, v7, v8
	v_add_co_ci_u32_e32 v8, vcc_lo, 0, v9, vcc_lo
	s_delay_alu instid0(VALU_DEP_2) | instskip(NEXT) | instid1(VALU_DEP_2)
	v_add_co_u32 v6, vcc_lo, v7, v6
	v_add_co_ci_u32_e32 v6, vcc_lo, v8, v10, vcc_lo
	v_add_co_ci_u32_e32 v7, vcc_lo, 0, v11, vcc_lo
	v_ashrrev_i32_e32 v10, 31, v1
	s_delay_alu instid0(VALU_DEP_3) | instskip(NEXT) | instid1(VALU_DEP_3)
	v_add_co_u32 v5, vcc_lo, v6, v5
	v_add_co_ci_u32_e32 v6, vcc_lo, 0, v7, vcc_lo
	s_delay_alu instid0(VALU_DEP_2) | instskip(NEXT) | instid1(VALU_DEP_2)
	v_add_co_u32 v3, vcc_lo, v3, v5
	v_add_co_ci_u32_e32 v4, vcc_lo, v4, v6, vcc_lo
	s_delay_alu instid0(VALU_DEP_2) | instskip(SKIP_1) | instid1(VALU_DEP_3)
	v_mul_hi_u32 v5, s0, v3
	v_mul_lo_u32 v7, s20, v3
	v_mul_lo_u32 v6, s0, v4
	s_delay_alu instid0(VALU_DEP_1) | instskip(SKIP_1) | instid1(VALU_DEP_2)
	v_add_nc_u32_e32 v5, v5, v6
	v_mul_lo_u32 v6, s0, v3
	v_add_nc_u32_e32 v5, v5, v7
	s_delay_alu instid0(VALU_DEP_2) | instskip(NEXT) | instid1(VALU_DEP_2)
	v_mul_hi_u32 v7, v3, v6
	v_mul_lo_u32 v8, v3, v5
	v_mul_hi_u32 v9, v3, v5
	v_mul_hi_u32 v11, v4, v6
	v_mul_lo_u32 v6, v4, v6
	v_mul_hi_u32 v12, v4, v5
	v_mul_lo_u32 v5, v4, v5
	v_add_co_u32 v7, vcc_lo, v7, v8
	v_add_co_ci_u32_e32 v8, vcc_lo, 0, v9, vcc_lo
	s_delay_alu instid0(VALU_DEP_2) | instskip(NEXT) | instid1(VALU_DEP_2)
	v_add_co_u32 v6, vcc_lo, v7, v6
	v_add_co_ci_u32_e32 v6, vcc_lo, v8, v11, vcc_lo
	v_add_co_ci_u32_e32 v7, vcc_lo, 0, v12, vcc_lo
	v_add_co_u32 v8, vcc_lo, v0, v10
	v_add_co_ci_u32_e32 v9, vcc_lo, v1, v10, vcc_lo
	s_delay_alu instid0(VALU_DEP_4) | instskip(NEXT) | instid1(VALU_DEP_4)
	v_add_co_u32 v5, vcc_lo, v6, v5
	v_add_co_ci_u32_e32 v6, vcc_lo, 0, v7, vcc_lo
	s_delay_alu instid0(VALU_DEP_4) | instskip(NEXT) | instid1(VALU_DEP_3)
	v_xor_b32_e32 v11, v8, v10
	v_add_co_u32 v7, vcc_lo, v3, v5
	s_delay_alu instid0(VALU_DEP_3) | instskip(SKIP_1) | instid1(VALU_DEP_3)
	v_add_co_ci_u32_e32 v12, vcc_lo, v4, v6, vcc_lo
	v_xor_b32_e32 v9, v9, v10
	v_mul_hi_u32 v13, v11, v7
	s_delay_alu instid0(VALU_DEP_3) | instskip(NEXT) | instid1(VALU_DEP_3)
	v_mad_u64_u32 v[3:4], null, v11, v12, 0
	v_mad_u64_u32 v[5:6], null, v9, v7, 0
	;; [unrolled: 1-line block ×3, first 2 shown]
	s_delay_alu instid0(VALU_DEP_3) | instskip(NEXT) | instid1(VALU_DEP_4)
	v_add_co_u32 v3, vcc_lo, v13, v3
	v_add_co_ci_u32_e32 v4, vcc_lo, 0, v4, vcc_lo
	s_delay_alu instid0(VALU_DEP_2) | instskip(NEXT) | instid1(VALU_DEP_2)
	v_add_co_u32 v3, vcc_lo, v3, v5
	v_add_co_ci_u32_e32 v3, vcc_lo, v4, v6, vcc_lo
	v_add_co_ci_u32_e32 v4, vcc_lo, 0, v8, vcc_lo
	s_delay_alu instid0(VALU_DEP_2) | instskip(NEXT) | instid1(VALU_DEP_2)
	v_add_co_u32 v5, vcc_lo, v3, v7
	v_add_co_ci_u32_e32 v6, vcc_lo, 0, v4, vcc_lo
	s_delay_alu instid0(VALU_DEP_2) | instskip(SKIP_1) | instid1(VALU_DEP_3)
	v_mul_lo_u32 v7, s19, v5
	v_mad_u64_u32 v[3:4], null, s18, v5, 0
	v_mul_lo_u32 v8, s18, v6
	s_delay_alu instid0(VALU_DEP_2) | instskip(NEXT) | instid1(VALU_DEP_2)
	v_sub_co_u32 v3, vcc_lo, v11, v3
	v_add3_u32 v4, v4, v8, v7
	s_delay_alu instid0(VALU_DEP_1) | instskip(NEXT) | instid1(VALU_DEP_1)
	v_sub_nc_u32_e32 v7, v9, v4
	v_subrev_co_ci_u32_e64 v7, s0, s19, v7, vcc_lo
	v_add_co_u32 v8, s0, v5, 2
	s_delay_alu instid0(VALU_DEP_1) | instskip(SKIP_3) | instid1(VALU_DEP_3)
	v_add_co_ci_u32_e64 v11, s0, 0, v6, s0
	v_sub_co_u32 v12, s0, v3, s18
	v_sub_co_ci_u32_e32 v4, vcc_lo, v9, v4, vcc_lo
	v_subrev_co_ci_u32_e64 v7, s0, 0, v7, s0
	v_cmp_le_u32_e32 vcc_lo, s18, v12
	s_delay_alu instid0(VALU_DEP_3) | instskip(SKIP_1) | instid1(VALU_DEP_4)
	v_cmp_eq_u32_e64 s0, s19, v4
	v_cndmask_b32_e64 v9, 0, -1, vcc_lo
	v_cmp_le_u32_e32 vcc_lo, s19, v7
	v_cndmask_b32_e64 v12, 0, -1, vcc_lo
	v_cmp_le_u32_e32 vcc_lo, s18, v3
	;; [unrolled: 2-line block ×3, first 2 shown]
	v_cndmask_b32_e64 v13, 0, -1, vcc_lo
	v_cmp_eq_u32_e32 vcc_lo, s19, v7
	s_delay_alu instid0(VALU_DEP_2) | instskip(SKIP_3) | instid1(VALU_DEP_3)
	v_cndmask_b32_e64 v3, v13, v3, s0
	v_cndmask_b32_e32 v7, v12, v9, vcc_lo
	v_add_co_u32 v9, vcc_lo, v5, 1
	v_add_co_ci_u32_e32 v12, vcc_lo, 0, v6, vcc_lo
	v_cmp_ne_u32_e32 vcc_lo, 0, v7
	s_delay_alu instid0(VALU_DEP_2) | instskip(SKIP_2) | instid1(VALU_DEP_3)
	v_dual_cndmask_b32 v4, v12, v11 :: v_dual_cndmask_b32 v7, v9, v8
	v_cmp_ne_u32_e32 vcc_lo, 0, v3
	v_xor_b32_e32 v3, s16, v10
	v_dual_cndmask_b32 v5, v5, v7 :: v_dual_cndmask_b32 v4, v6, v4
	v_xor_b32_e32 v6, s17, v10
	s_delay_alu instid0(VALU_DEP_2) | instskip(NEXT) | instid1(VALU_DEP_2)
	v_xor_b32_e32 v5, v5, v3
	v_xor_b32_e32 v7, v4, v6
	s_delay_alu instid0(VALU_DEP_2) | instskip(NEXT) | instid1(VALU_DEP_2)
	v_sub_co_u32 v4, vcc_lo, v5, v3
	v_sub_co_ci_u32_e32 v5, vcc_lo, v7, v6, vcc_lo
.LBB8_5:                                ;   in Loop: Header=BB8_3 Depth=1
	s_and_not1_saveexec_b32 s0, s14
; %bb.6:                                ;   in Loop: Header=BB8_3 Depth=1
	v_mul_hi_u32 v3, v0, v25
	s_delay_alu instid0(VALU_DEP_1) | instskip(NEXT) | instid1(VALU_DEP_1)
	v_mul_lo_u32 v4, v3, s24
	v_sub_nc_u32_e32 v4, v0, v4
	s_delay_alu instid0(VALU_DEP_1) | instskip(SKIP_1) | instid1(VALU_DEP_2)
	v_subrev_nc_u32_e32 v6, s24, v4
	v_cmp_le_u32_e32 vcc_lo, s24, v4
	v_dual_cndmask_b32 v4, v4, v6 :: v_dual_add_nc_u32 v5, 1, v3
	s_delay_alu instid0(VALU_DEP_1) | instskip(NEXT) | instid1(VALU_DEP_2)
	v_cndmask_b32_e32 v3, v3, v5, vcc_lo
	v_cmp_le_u32_e32 vcc_lo, s24, v4
	s_delay_alu instid0(VALU_DEP_2) | instskip(NEXT) | instid1(VALU_DEP_1)
	v_add_nc_u32_e32 v5, 1, v3
	v_dual_cndmask_b32 v4, v3, v5 :: v_dual_mov_b32 v5, v2
; %bb.7:                                ;   in Loop: Header=BB8_3 Depth=1
	s_or_b32 exec_lo, exec_lo, s0
	s_delay_alu instid0(VALU_DEP_1) | instskip(SKIP_1) | instid1(VALU_DEP_1)
	v_or_b32_e32 v3, s29, v5
                                        ; implicit-def: $vgpr7_vgpr8
	s_mov_b32 s0, exec_lo
	v_cmpx_ne_u64_e32 0, v[2:3]
	s_xor_b32 s14, exec_lo, s0
	s_cbranch_execz .LBB8_9
; %bb.8:                                ;   in Loop: Header=BB8_3 Depth=1
	s_add_u32 s18, s28, s29
	s_mov_b32 s16, s29
	s_mov_b32 s17, s29
	s_addc_u32 s19, s29, s29
	s_delay_alu instid0(SALU_CYCLE_1) | instskip(NEXT) | instid1(SALU_CYCLE_1)
	s_xor_b64 s[18:19], s[18:19], s[16:17]
	v_cvt_f32_u32_e32 v3, s18
	v_cvt_f32_u32_e32 v6, s19
	s_sub_u32 s0, 0, s18
	s_subb_u32 s20, 0, s19
	s_delay_alu instid0(VALU_DEP_1) | instskip(NEXT) | instid1(VALU_DEP_1)
	v_fmac_f32_e32 v3, 0x4f800000, v6
	v_rcp_f32_e32 v3, v3
	s_waitcnt_depctr 0xfff
	v_mul_f32_e32 v3, 0x5f7ffffc, v3
	s_delay_alu instid0(VALU_DEP_1) | instskip(NEXT) | instid1(VALU_DEP_1)
	v_mul_f32_e32 v6, 0x2f800000, v3
	v_trunc_f32_e32 v6, v6
	s_delay_alu instid0(VALU_DEP_1) | instskip(SKIP_1) | instid1(VALU_DEP_2)
	v_fmac_f32_e32 v3, 0xcf800000, v6
	v_cvt_u32_f32_e32 v6, v6
	v_cvt_u32_f32_e32 v3, v3
	s_delay_alu instid0(VALU_DEP_2) | instskip(NEXT) | instid1(VALU_DEP_2)
	v_mul_lo_u32 v7, s0, v6
	v_mul_hi_u32 v8, s0, v3
	v_mul_lo_u32 v9, s20, v3
	s_delay_alu instid0(VALU_DEP_2) | instskip(SKIP_1) | instid1(VALU_DEP_2)
	v_add_nc_u32_e32 v7, v8, v7
	v_mul_lo_u32 v8, s0, v3
	v_add_nc_u32_e32 v7, v7, v9
	s_delay_alu instid0(VALU_DEP_2) | instskip(NEXT) | instid1(VALU_DEP_2)
	v_mul_hi_u32 v9, v3, v8
	v_mul_lo_u32 v10, v3, v7
	v_mul_hi_u32 v11, v3, v7
	v_mul_hi_u32 v12, v6, v8
	v_mul_lo_u32 v8, v6, v8
	v_mul_hi_u32 v13, v6, v7
	v_mul_lo_u32 v7, v6, v7
	v_add_co_u32 v9, vcc_lo, v9, v10
	v_add_co_ci_u32_e32 v10, vcc_lo, 0, v11, vcc_lo
	s_delay_alu instid0(VALU_DEP_2) | instskip(NEXT) | instid1(VALU_DEP_2)
	v_add_co_u32 v8, vcc_lo, v9, v8
	v_add_co_ci_u32_e32 v8, vcc_lo, v10, v12, vcc_lo
	v_add_co_ci_u32_e32 v9, vcc_lo, 0, v13, vcc_lo
	v_ashrrev_i32_e32 v12, 31, v5
	s_delay_alu instid0(VALU_DEP_3) | instskip(NEXT) | instid1(VALU_DEP_3)
	v_add_co_u32 v7, vcc_lo, v8, v7
	v_add_co_ci_u32_e32 v8, vcc_lo, 0, v9, vcc_lo
	s_delay_alu instid0(VALU_DEP_2) | instskip(NEXT) | instid1(VALU_DEP_2)
	v_add_co_u32 v3, vcc_lo, v3, v7
	v_add_co_ci_u32_e32 v6, vcc_lo, v6, v8, vcc_lo
	s_delay_alu instid0(VALU_DEP_2) | instskip(SKIP_1) | instid1(VALU_DEP_3)
	v_mul_hi_u32 v7, s0, v3
	v_mul_lo_u32 v9, s20, v3
	v_mul_lo_u32 v8, s0, v6
	s_delay_alu instid0(VALU_DEP_1) | instskip(SKIP_1) | instid1(VALU_DEP_2)
	v_add_nc_u32_e32 v7, v7, v8
	v_mul_lo_u32 v8, s0, v3
	v_add_nc_u32_e32 v7, v7, v9
	s_delay_alu instid0(VALU_DEP_2) | instskip(NEXT) | instid1(VALU_DEP_2)
	v_mul_hi_u32 v9, v3, v8
	v_mul_lo_u32 v10, v3, v7
	v_mul_hi_u32 v11, v3, v7
	v_mul_hi_u32 v13, v6, v8
	v_mul_lo_u32 v8, v6, v8
	v_mul_hi_u32 v14, v6, v7
	v_mul_lo_u32 v7, v6, v7
	v_add_co_u32 v9, vcc_lo, v9, v10
	v_add_co_ci_u32_e32 v10, vcc_lo, 0, v11, vcc_lo
	s_delay_alu instid0(VALU_DEP_2) | instskip(NEXT) | instid1(VALU_DEP_2)
	v_add_co_u32 v8, vcc_lo, v9, v8
	v_add_co_ci_u32_e32 v8, vcc_lo, v10, v13, vcc_lo
	v_add_co_ci_u32_e32 v9, vcc_lo, 0, v14, vcc_lo
	v_add_co_u32 v10, vcc_lo, v4, v12
	v_add_co_ci_u32_e32 v5, vcc_lo, v5, v12, vcc_lo
	s_delay_alu instid0(VALU_DEP_4) | instskip(NEXT) | instid1(VALU_DEP_4)
	v_add_co_u32 v7, vcc_lo, v8, v7
	v_add_co_ci_u32_e32 v8, vcc_lo, 0, v9, vcc_lo
	s_delay_alu instid0(VALU_DEP_4) | instskip(NEXT) | instid1(VALU_DEP_3)
	v_xor_b32_e32 v11, v10, v12
	v_add_co_u32 v3, vcc_lo, v3, v7
	s_delay_alu instid0(VALU_DEP_3) | instskip(SKIP_1) | instid1(VALU_DEP_3)
	v_add_co_ci_u32_e32 v13, vcc_lo, v6, v8, vcc_lo
	v_xor_b32_e32 v14, v5, v12
	v_mul_hi_u32 v15, v11, v3
	s_delay_alu instid0(VALU_DEP_3) | instskip(NEXT) | instid1(VALU_DEP_3)
	v_mad_u64_u32 v[5:6], null, v11, v13, 0
	v_mad_u64_u32 v[7:8], null, v14, v3, 0
	;; [unrolled: 1-line block ×3, first 2 shown]
	s_delay_alu instid0(VALU_DEP_3) | instskip(NEXT) | instid1(VALU_DEP_4)
	v_add_co_u32 v3, vcc_lo, v15, v5
	v_add_co_ci_u32_e32 v5, vcc_lo, 0, v6, vcc_lo
	s_delay_alu instid0(VALU_DEP_2) | instskip(NEXT) | instid1(VALU_DEP_2)
	v_add_co_u32 v3, vcc_lo, v3, v7
	v_add_co_ci_u32_e32 v3, vcc_lo, v5, v8, vcc_lo
	v_add_co_ci_u32_e32 v5, vcc_lo, 0, v10, vcc_lo
	s_delay_alu instid0(VALU_DEP_2) | instskip(NEXT) | instid1(VALU_DEP_2)
	v_add_co_u32 v3, vcc_lo, v3, v9
	v_add_co_ci_u32_e32 v7, vcc_lo, 0, v5, vcc_lo
	s_delay_alu instid0(VALU_DEP_2) | instskip(SKIP_1) | instid1(VALU_DEP_3)
	v_mul_lo_u32 v8, s19, v3
	v_mad_u64_u32 v[5:6], null, s18, v3, 0
	v_mul_lo_u32 v9, s18, v7
	s_delay_alu instid0(VALU_DEP_2) | instskip(NEXT) | instid1(VALU_DEP_2)
	v_sub_co_u32 v5, vcc_lo, v11, v5
	v_add3_u32 v6, v6, v9, v8
	s_delay_alu instid0(VALU_DEP_1) | instskip(NEXT) | instid1(VALU_DEP_1)
	v_sub_nc_u32_e32 v8, v14, v6
	v_subrev_co_ci_u32_e64 v8, s0, s19, v8, vcc_lo
	v_add_co_u32 v9, s0, v3, 2
	s_delay_alu instid0(VALU_DEP_1) | instskip(SKIP_3) | instid1(VALU_DEP_3)
	v_add_co_ci_u32_e64 v10, s0, 0, v7, s0
	v_sub_co_u32 v11, s0, v5, s18
	v_sub_co_ci_u32_e32 v6, vcc_lo, v14, v6, vcc_lo
	v_subrev_co_ci_u32_e64 v8, s0, 0, v8, s0
	v_cmp_le_u32_e32 vcc_lo, s18, v11
	s_delay_alu instid0(VALU_DEP_3) | instskip(SKIP_1) | instid1(VALU_DEP_4)
	v_cmp_eq_u32_e64 s0, s19, v6
	v_cndmask_b32_e64 v11, 0, -1, vcc_lo
	v_cmp_le_u32_e32 vcc_lo, s19, v8
	v_cndmask_b32_e64 v13, 0, -1, vcc_lo
	v_cmp_le_u32_e32 vcc_lo, s18, v5
	;; [unrolled: 2-line block ×3, first 2 shown]
	v_cndmask_b32_e64 v14, 0, -1, vcc_lo
	v_cmp_eq_u32_e32 vcc_lo, s19, v8
	s_delay_alu instid0(VALU_DEP_2) | instskip(SKIP_3) | instid1(VALU_DEP_3)
	v_cndmask_b32_e64 v5, v14, v5, s0
	v_cndmask_b32_e32 v8, v13, v11, vcc_lo
	v_add_co_u32 v11, vcc_lo, v3, 1
	v_add_co_ci_u32_e32 v13, vcc_lo, 0, v7, vcc_lo
	v_cmp_ne_u32_e32 vcc_lo, 0, v8
	s_delay_alu instid0(VALU_DEP_3) | instskip(NEXT) | instid1(VALU_DEP_3)
	v_cndmask_b32_e32 v8, v11, v9, vcc_lo
	v_cndmask_b32_e32 v6, v13, v10, vcc_lo
	v_cmp_ne_u32_e32 vcc_lo, 0, v5
	v_xor_b32_e32 v5, s16, v12
	s_delay_alu instid0(VALU_DEP_4) | instskip(NEXT) | instid1(VALU_DEP_4)
	v_cndmask_b32_e32 v3, v3, v8, vcc_lo
	v_cndmask_b32_e32 v6, v7, v6, vcc_lo
	v_xor_b32_e32 v8, s17, v12
	s_delay_alu instid0(VALU_DEP_3) | instskip(NEXT) | instid1(VALU_DEP_2)
	v_xor_b32_e32 v3, v3, v5
	v_xor_b32_e32 v6, v6, v8
	s_delay_alu instid0(VALU_DEP_2) | instskip(NEXT) | instid1(VALU_DEP_2)
	v_sub_co_u32 v7, vcc_lo, v3, v5
	v_sub_co_ci_u32_e32 v8, vcc_lo, v6, v8, vcc_lo
.LBB8_9:                                ;   in Loop: Header=BB8_3 Depth=1
	s_and_not1_saveexec_b32 s0, s14
	s_cbranch_execz .LBB8_11
; %bb.10:                               ;   in Loop: Header=BB8_3 Depth=1
	v_cvt_f32_u32_e32 v3, s28
	s_sub_i32 s14, 0, s28
	v_mov_b32_e32 v8, v2
	s_delay_alu instid0(VALU_DEP_2) | instskip(SKIP_2) | instid1(VALU_DEP_1)
	v_rcp_iflag_f32_e32 v3, v3
	s_waitcnt_depctr 0xfff
	v_mul_f32_e32 v3, 0x4f7ffffe, v3
	v_cvt_u32_f32_e32 v3, v3
	s_delay_alu instid0(VALU_DEP_1) | instskip(NEXT) | instid1(VALU_DEP_1)
	v_mul_lo_u32 v5, s14, v3
	v_mul_hi_u32 v5, v3, v5
	s_delay_alu instid0(VALU_DEP_1) | instskip(NEXT) | instid1(VALU_DEP_1)
	v_add_nc_u32_e32 v3, v3, v5
	v_mul_hi_u32 v3, v4, v3
	s_delay_alu instid0(VALU_DEP_1) | instskip(SKIP_1) | instid1(VALU_DEP_2)
	v_mul_lo_u32 v5, v3, s28
	v_add_nc_u32_e32 v6, 1, v3
	v_sub_nc_u32_e32 v5, v4, v5
	s_delay_alu instid0(VALU_DEP_1) | instskip(SKIP_1) | instid1(VALU_DEP_2)
	v_subrev_nc_u32_e32 v7, s28, v5
	v_cmp_le_u32_e32 vcc_lo, s28, v5
	v_cndmask_b32_e32 v5, v5, v7, vcc_lo
	v_cndmask_b32_e32 v3, v3, v6, vcc_lo
	s_delay_alu instid0(VALU_DEP_2) | instskip(NEXT) | instid1(VALU_DEP_2)
	v_cmp_le_u32_e32 vcc_lo, s28, v5
	v_add_nc_u32_e32 v6, 1, v3
	s_delay_alu instid0(VALU_DEP_1)
	v_cndmask_b32_e32 v7, v3, v6, vcc_lo
.LBB8_11:                               ;   in Loop: Header=BB8_3 Depth=1
	s_or_b32 exec_lo, exec_lo, s0
	v_mad_u64_u32 v[5:6], null, v4, s24, 0
	s_delay_alu instid0(VALU_DEP_2) | instskip(SKIP_1) | instid1(VALU_DEP_2)
	v_mad_u64_u32 v[9:10], null, v7, s28, 0
	s_mov_b32 s39, exec_lo
	v_sub_co_u32 v27, null, v0, v5
	s_delay_alu instid0(VALU_DEP_2) | instskip(NEXT) | instid1(VALU_DEP_1)
	v_sub_co_u32 v26, null, v4, v9
	v_sub_nc_u32_e32 v6, v27, v26
	s_delay_alu instid0(VALU_DEP_1) | instskip(NEXT) | instid1(VALU_DEP_1)
	v_add_nc_u32_e32 v3, 2, v6
	v_ashrrev_i32_e32 v4, 31, v3
	s_delay_alu instid0(VALU_DEP_1)
	v_cmpx_lt_i64_e64 s[4:5], v[3:4]
	s_cbranch_execz .LBB8_2
; %bb.12:                               ;   in Loop: Header=BB8_3 Depth=1
	s_clause 0x1
	s_load_b32 s40, s[8:9], 0x0
	s_load_b32 s0, s[10:11], 0x0
	s_and_not1_b32 vcc_lo, exec_lo, s37
	s_waitcnt lgkmcnt(0)
	v_mul_lo_u32 v3, s40, v27
	s_delay_alu instid0(VALU_DEP_1)
	v_mad_u64_u32 v[4:5], null, s0, v26, v[3:4]
	s_cbranch_vccnz .LBB8_58
; %bb.13:                               ;   in Loop: Header=BB8_3 Depth=1
	s_and_not1_b32 vcc_lo, exec_lo, s35
	s_cbranch_vccnz .LBB8_21
; %bb.14:                               ;   in Loop: Header=BB8_3 Depth=1
	v_dual_mov_b32 v10, v8 :: v_dual_mov_b32 v9, v7
	s_mov_b32 s22, s33
	s_mov_b32 s14, s31
.LBB8_15:                               ;   Parent Loop BB8_3 Depth=1
                                        ; =>  This Inner Loop Header: Depth=2
	s_delay_alu instid0(SALU_CYCLE_1) | instskip(NEXT) | instid1(SALU_CYCLE_1)
	s_lshl_b64 s[16:17], s[14:15], 2
                                        ; implicit-def: $vgpr7_vgpr8
	s_add_u32 s18, s26, s16
	s_addc_u32 s19, s27, s17
	s_load_b32 s23, s[18:19], 0x0
	s_mov_b32 s18, exec_lo
	s_waitcnt lgkmcnt(0)
	s_ashr_i32 s0, s23, 31
	s_delay_alu instid0(SALU_CYCLE_1) | instskip(NEXT) | instid1(VALU_DEP_1)
	v_or_b32_e32 v3, s0, v10
	v_cmpx_ne_u64_e32 0, v[2:3]
	s_xor_b32 s41, exec_lo, s18
	s_cbranch_execz .LBB8_17
; %bb.16:                               ;   in Loop: Header=BB8_15 Depth=2
	s_add_u32 s20, s23, s0
	s_mov_b32 s18, s0
	s_mov_b32 s19, s0
	s_addc_u32 s21, s0, s0
	s_delay_alu instid0(SALU_CYCLE_1) | instskip(NEXT) | instid1(SALU_CYCLE_1)
	s_xor_b64 s[20:21], s[20:21], s[18:19]
	v_cvt_f32_u32_e32 v3, s20
	v_cvt_f32_u32_e32 v5, s21
	s_sub_u32 s0, 0, s20
	s_subb_u32 s42, 0, s21
	s_delay_alu instid0(VALU_DEP_1) | instskip(NEXT) | instid1(VALU_DEP_1)
	v_fmac_f32_e32 v3, 0x4f800000, v5
	v_rcp_f32_e32 v3, v3
	s_waitcnt_depctr 0xfff
	v_mul_f32_e32 v3, 0x5f7ffffc, v3
	s_delay_alu instid0(VALU_DEP_1) | instskip(NEXT) | instid1(VALU_DEP_1)
	v_mul_f32_e32 v5, 0x2f800000, v3
	v_trunc_f32_e32 v5, v5
	s_delay_alu instid0(VALU_DEP_1) | instskip(SKIP_1) | instid1(VALU_DEP_2)
	v_fmac_f32_e32 v3, 0xcf800000, v5
	v_cvt_u32_f32_e32 v5, v5
	v_cvt_u32_f32_e32 v3, v3
	s_delay_alu instid0(VALU_DEP_2) | instskip(NEXT) | instid1(VALU_DEP_2)
	v_mul_lo_u32 v7, s0, v5
	v_mul_hi_u32 v8, s0, v3
	v_mul_lo_u32 v11, s42, v3
	s_delay_alu instid0(VALU_DEP_2) | instskip(SKIP_1) | instid1(VALU_DEP_2)
	v_add_nc_u32_e32 v7, v8, v7
	v_mul_lo_u32 v8, s0, v3
	v_add_nc_u32_e32 v7, v7, v11
	s_delay_alu instid0(VALU_DEP_2) | instskip(NEXT) | instid1(VALU_DEP_2)
	v_mul_hi_u32 v11, v3, v8
	v_mul_lo_u32 v12, v3, v7
	v_mul_hi_u32 v13, v3, v7
	v_mul_hi_u32 v14, v5, v8
	v_mul_lo_u32 v8, v5, v8
	v_mul_hi_u32 v15, v5, v7
	v_mul_lo_u32 v7, v5, v7
	v_add_co_u32 v11, vcc_lo, v11, v12
	v_add_co_ci_u32_e32 v12, vcc_lo, 0, v13, vcc_lo
	s_delay_alu instid0(VALU_DEP_2) | instskip(NEXT) | instid1(VALU_DEP_2)
	v_add_co_u32 v8, vcc_lo, v11, v8
	v_add_co_ci_u32_e32 v8, vcc_lo, v12, v14, vcc_lo
	v_add_co_ci_u32_e32 v11, vcc_lo, 0, v15, vcc_lo
	v_ashrrev_i32_e32 v14, 31, v10
	s_delay_alu instid0(VALU_DEP_3) | instskip(NEXT) | instid1(VALU_DEP_3)
	v_add_co_u32 v7, vcc_lo, v8, v7
	v_add_co_ci_u32_e32 v8, vcc_lo, 0, v11, vcc_lo
	s_delay_alu instid0(VALU_DEP_2) | instskip(NEXT) | instid1(VALU_DEP_2)
	v_add_co_u32 v3, vcc_lo, v3, v7
	v_add_co_ci_u32_e32 v5, vcc_lo, v5, v8, vcc_lo
	s_delay_alu instid0(VALU_DEP_2) | instskip(SKIP_1) | instid1(VALU_DEP_3)
	v_mul_hi_u32 v7, s0, v3
	v_mul_lo_u32 v11, s42, v3
	v_mul_lo_u32 v8, s0, v5
	s_delay_alu instid0(VALU_DEP_1) | instskip(SKIP_1) | instid1(VALU_DEP_2)
	v_add_nc_u32_e32 v7, v7, v8
	v_mul_lo_u32 v8, s0, v3
	v_add_nc_u32_e32 v7, v7, v11
	s_delay_alu instid0(VALU_DEP_2) | instskip(NEXT) | instid1(VALU_DEP_2)
	v_mul_hi_u32 v11, v3, v8
	v_mul_lo_u32 v12, v3, v7
	v_mul_hi_u32 v13, v3, v7
	v_mul_hi_u32 v15, v5, v8
	v_mul_lo_u32 v8, v5, v8
	v_mul_hi_u32 v16, v5, v7
	v_mul_lo_u32 v7, v5, v7
	v_add_co_u32 v11, vcc_lo, v11, v12
	v_add_co_ci_u32_e32 v12, vcc_lo, 0, v13, vcc_lo
	s_delay_alu instid0(VALU_DEP_2) | instskip(NEXT) | instid1(VALU_DEP_2)
	v_add_co_u32 v8, vcc_lo, v11, v8
	v_add_co_ci_u32_e32 v8, vcc_lo, v12, v15, vcc_lo
	v_add_co_ci_u32_e32 v11, vcc_lo, 0, v16, vcc_lo
	v_add_co_u32 v12, vcc_lo, v9, v14
	v_add_co_ci_u32_e32 v10, vcc_lo, v10, v14, vcc_lo
	s_delay_alu instid0(VALU_DEP_4) | instskip(NEXT) | instid1(VALU_DEP_4)
	v_add_co_u32 v7, vcc_lo, v8, v7
	v_add_co_ci_u32_e32 v8, vcc_lo, 0, v11, vcc_lo
	s_delay_alu instid0(VALU_DEP_4) | instskip(NEXT) | instid1(VALU_DEP_3)
	v_xor_b32_e32 v15, v12, v14
	v_add_co_u32 v3, vcc_lo, v3, v7
	s_delay_alu instid0(VALU_DEP_3) | instskip(SKIP_1) | instid1(VALU_DEP_3)
	v_add_co_ci_u32_e32 v5, vcc_lo, v5, v8, vcc_lo
	v_xor_b32_e32 v16, v10, v14
	v_mul_hi_u32 v17, v15, v3
	s_delay_alu instid0(VALU_DEP_3) | instskip(NEXT) | instid1(VALU_DEP_3)
	v_mad_u64_u32 v[7:8], null, v15, v5, 0
	v_mad_u64_u32 v[10:11], null, v16, v3, 0
	;; [unrolled: 1-line block ×3, first 2 shown]
	s_delay_alu instid0(VALU_DEP_3) | instskip(NEXT) | instid1(VALU_DEP_4)
	v_add_co_u32 v3, vcc_lo, v17, v7
	v_add_co_ci_u32_e32 v5, vcc_lo, 0, v8, vcc_lo
	s_delay_alu instid0(VALU_DEP_2) | instskip(NEXT) | instid1(VALU_DEP_2)
	v_add_co_u32 v3, vcc_lo, v3, v10
	v_add_co_ci_u32_e32 v3, vcc_lo, v5, v11, vcc_lo
	v_add_co_ci_u32_e32 v5, vcc_lo, 0, v13, vcc_lo
	s_delay_alu instid0(VALU_DEP_2) | instskip(NEXT) | instid1(VALU_DEP_2)
	v_add_co_u32 v3, vcc_lo, v3, v12
	v_add_co_ci_u32_e32 v5, vcc_lo, 0, v5, vcc_lo
	s_delay_alu instid0(VALU_DEP_2) | instskip(SKIP_1) | instid1(VALU_DEP_3)
	v_mul_lo_u32 v10, s21, v3
	v_mad_u64_u32 v[7:8], null, s20, v3, 0
	v_mul_lo_u32 v11, s20, v5
	s_delay_alu instid0(VALU_DEP_2) | instskip(NEXT) | instid1(VALU_DEP_2)
	v_sub_co_u32 v7, vcc_lo, v15, v7
	v_add3_u32 v8, v8, v11, v10
	s_delay_alu instid0(VALU_DEP_1) | instskip(NEXT) | instid1(VALU_DEP_1)
	v_sub_nc_u32_e32 v10, v16, v8
	v_subrev_co_ci_u32_e64 v10, s0, s21, v10, vcc_lo
	v_add_co_u32 v11, s0, v3, 2
	s_delay_alu instid0(VALU_DEP_1) | instskip(SKIP_3) | instid1(VALU_DEP_3)
	v_add_co_ci_u32_e64 v12, s0, 0, v5, s0
	v_sub_co_u32 v13, s0, v7, s20
	v_sub_co_ci_u32_e32 v8, vcc_lo, v16, v8, vcc_lo
	v_subrev_co_ci_u32_e64 v10, s0, 0, v10, s0
	v_cmp_le_u32_e32 vcc_lo, s20, v13
	s_delay_alu instid0(VALU_DEP_3) | instskip(SKIP_1) | instid1(VALU_DEP_4)
	v_cmp_eq_u32_e64 s0, s21, v8
	v_cndmask_b32_e64 v13, 0, -1, vcc_lo
	v_cmp_le_u32_e32 vcc_lo, s21, v10
	v_cndmask_b32_e64 v15, 0, -1, vcc_lo
	v_cmp_le_u32_e32 vcc_lo, s20, v7
	;; [unrolled: 2-line block ×3, first 2 shown]
	v_cndmask_b32_e64 v16, 0, -1, vcc_lo
	v_cmp_eq_u32_e32 vcc_lo, s21, v10
	s_delay_alu instid0(VALU_DEP_2) | instskip(SKIP_3) | instid1(VALU_DEP_3)
	v_cndmask_b32_e64 v7, v16, v7, s0
	v_cndmask_b32_e32 v10, v15, v13, vcc_lo
	v_add_co_u32 v13, vcc_lo, v3, 1
	v_add_co_ci_u32_e32 v15, vcc_lo, 0, v5, vcc_lo
	v_cmp_ne_u32_e32 vcc_lo, 0, v10
	s_delay_alu instid0(VALU_DEP_3) | instskip(NEXT) | instid1(VALU_DEP_3)
	v_cndmask_b32_e32 v10, v13, v11, vcc_lo
	v_cndmask_b32_e32 v8, v15, v12, vcc_lo
	v_cmp_ne_u32_e32 vcc_lo, 0, v7
	v_xor_b32_e32 v7, s18, v14
	s_delay_alu instid0(VALU_DEP_4) | instskip(NEXT) | instid1(VALU_DEP_4)
	v_cndmask_b32_e32 v3, v3, v10, vcc_lo
	v_cndmask_b32_e32 v5, v5, v8, vcc_lo
	v_xor_b32_e32 v8, s19, v14
	s_delay_alu instid0(VALU_DEP_3) | instskip(NEXT) | instid1(VALU_DEP_2)
	v_xor_b32_e32 v3, v3, v7
	v_xor_b32_e32 v5, v5, v8
	s_delay_alu instid0(VALU_DEP_2) | instskip(NEXT) | instid1(VALU_DEP_2)
	v_sub_co_u32 v7, vcc_lo, v3, v7
	v_sub_co_ci_u32_e32 v8, vcc_lo, v5, v8, vcc_lo
.LBB8_17:                               ;   in Loop: Header=BB8_15 Depth=2
	s_and_not1_saveexec_b32 s0, s41
	s_cbranch_execz .LBB8_19
; %bb.18:                               ;   in Loop: Header=BB8_15 Depth=2
	v_cvt_f32_u32_e32 v3, s23
	s_sub_i32 s18, 0, s23
	s_delay_alu instid0(VALU_DEP_1) | instskip(SKIP_2) | instid1(VALU_DEP_1)
	v_rcp_iflag_f32_e32 v3, v3
	s_waitcnt_depctr 0xfff
	v_mul_f32_e32 v3, 0x4f7ffffe, v3
	v_cvt_u32_f32_e32 v3, v3
	s_delay_alu instid0(VALU_DEP_1) | instskip(NEXT) | instid1(VALU_DEP_1)
	v_mul_lo_u32 v5, s18, v3
	v_mul_hi_u32 v5, v3, v5
	s_delay_alu instid0(VALU_DEP_1) | instskip(NEXT) | instid1(VALU_DEP_1)
	v_add_nc_u32_e32 v3, v3, v5
	v_mul_hi_u32 v3, v9, v3
	s_delay_alu instid0(VALU_DEP_1) | instskip(SKIP_1) | instid1(VALU_DEP_2)
	v_mul_lo_u32 v5, v3, s23
	v_add_nc_u32_e32 v7, 1, v3
	v_sub_nc_u32_e32 v5, v9, v5
	s_delay_alu instid0(VALU_DEP_1) | instskip(SKIP_1) | instid1(VALU_DEP_2)
	v_subrev_nc_u32_e32 v8, s23, v5
	v_cmp_le_u32_e32 vcc_lo, s23, v5
	v_dual_cndmask_b32 v5, v5, v8 :: v_dual_mov_b32 v8, v2
	v_cndmask_b32_e32 v3, v3, v7, vcc_lo
	s_delay_alu instid0(VALU_DEP_2) | instskip(NEXT) | instid1(VALU_DEP_2)
	v_cmp_le_u32_e32 vcc_lo, s23, v5
	v_add_nc_u32_e32 v7, 1, v3
	s_delay_alu instid0(VALU_DEP_1)
	v_cndmask_b32_e32 v7, v3, v7, vcc_lo
.LBB8_19:                               ;   in Loop: Header=BB8_15 Depth=2
	s_or_b32 exec_lo, exec_lo, s0
	s_add_u32 s16, s30, s16
	s_addc_u32 s17, s1, s17
	s_delay_alu instid0(VALU_DEP_1) | instskip(SKIP_4) | instid1(VALU_DEP_1)
	v_mul_lo_u32 v3, v7, s23
	s_load_b32 s0, s[16:17], 0x0
	s_add_i32 s22, s22, -1
	s_add_i32 s14, s14, -1
	s_cmp_lg_u32 s22, 0
	v_sub_nc_u32_e32 v3, v9, v3
	s_waitcnt lgkmcnt(0)
	s_delay_alu instid0(VALU_DEP_1) | instskip(NEXT) | instid1(VALU_DEP_1)
	v_mad_u64_u32 v[9:10], null, s0, v3, v[4:5]
	v_mov_b32_e32 v4, v9
	s_cbranch_scc0 .LBB8_22
; %bb.20:                               ;   in Loop: Header=BB8_15 Depth=2
	v_dual_mov_b32 v10, v8 :: v_dual_mov_b32 v9, v7
	s_branch .LBB8_15
.LBB8_21:                               ;   in Loop: Header=BB8_3 Depth=1
	s_mov_b32 s14, s31
.LBB8_22:                               ;   in Loop: Header=BB8_3 Depth=1
	s_and_not1_b32 vcc_lo, exec_lo, s36
	s_cbranch_vccnz .LBB8_58
; %bb.23:                               ;   in Loop: Header=BB8_3 Depth=1
	s_add_i32 s16, s14, -7
.LBB8_24:                               ;   Parent Loop BB8_3 Depth=1
                                        ; =>  This Inner Loop Header: Depth=2
	s_delay_alu instid0(SALU_CYCLE_1) | instskip(NEXT) | instid1(SALU_CYCLE_1)
	s_add_i32 s14, s16, 7
                                        ; implicit-def: $vgpr9_vgpr10
	s_lshl_b64 s[18:19], s[14:15], 2
	s_mov_b32 s14, exec_lo
	s_add_u32 s20, s26, s18
	s_addc_u32 s21, s27, s19
	s_load_b32 s41, s[20:21], 0x0
	s_waitcnt lgkmcnt(0)
	s_ashr_i32 s0, s41, 31
	s_delay_alu instid0(SALU_CYCLE_1) | instskip(NEXT) | instid1(VALU_DEP_1)
	v_or_b32_e32 v3, s0, v8
	v_cmpx_ne_u64_e32 0, v[2:3]
	s_xor_b32 s14, exec_lo, s14
	s_cbranch_execz .LBB8_26
; %bb.25:                               ;   in Loop: Header=BB8_24 Depth=2
	s_add_u32 s22, s41, s0
	s_mov_b32 s20, s0
	s_mov_b32 s21, s0
	s_addc_u32 s23, s0, s0
	s_delay_alu instid0(SALU_CYCLE_1) | instskip(NEXT) | instid1(SALU_CYCLE_1)
	s_xor_b64 s[22:23], s[22:23], s[20:21]
	v_cvt_f32_u32_e32 v3, s22
	v_cvt_f32_u32_e32 v5, s23
	s_sub_u32 s0, 0, s22
	s_subb_u32 s17, 0, s23
	s_delay_alu instid0(VALU_DEP_1) | instskip(NEXT) | instid1(VALU_DEP_1)
	v_fmac_f32_e32 v3, 0x4f800000, v5
	v_rcp_f32_e32 v3, v3
	s_waitcnt_depctr 0xfff
	v_mul_f32_e32 v3, 0x5f7ffffc, v3
	s_delay_alu instid0(VALU_DEP_1) | instskip(NEXT) | instid1(VALU_DEP_1)
	v_mul_f32_e32 v5, 0x2f800000, v3
	v_trunc_f32_e32 v5, v5
	s_delay_alu instid0(VALU_DEP_1) | instskip(SKIP_1) | instid1(VALU_DEP_2)
	v_fmac_f32_e32 v3, 0xcf800000, v5
	v_cvt_u32_f32_e32 v5, v5
	v_cvt_u32_f32_e32 v3, v3
	s_delay_alu instid0(VALU_DEP_2) | instskip(NEXT) | instid1(VALU_DEP_2)
	v_mul_lo_u32 v9, s0, v5
	v_mul_hi_u32 v10, s0, v3
	v_mul_lo_u32 v11, s17, v3
	s_delay_alu instid0(VALU_DEP_2) | instskip(SKIP_1) | instid1(VALU_DEP_2)
	v_add_nc_u32_e32 v9, v10, v9
	v_mul_lo_u32 v10, s0, v3
	v_add_nc_u32_e32 v9, v9, v11
	s_delay_alu instid0(VALU_DEP_2) | instskip(NEXT) | instid1(VALU_DEP_2)
	v_mul_hi_u32 v11, v3, v10
	v_mul_lo_u32 v12, v3, v9
	v_mul_hi_u32 v13, v3, v9
	v_mul_hi_u32 v14, v5, v10
	v_mul_lo_u32 v10, v5, v10
	v_mul_hi_u32 v15, v5, v9
	v_mul_lo_u32 v9, v5, v9
	v_add_co_u32 v11, vcc_lo, v11, v12
	v_add_co_ci_u32_e32 v12, vcc_lo, 0, v13, vcc_lo
	s_delay_alu instid0(VALU_DEP_2) | instskip(NEXT) | instid1(VALU_DEP_2)
	v_add_co_u32 v10, vcc_lo, v11, v10
	v_add_co_ci_u32_e32 v10, vcc_lo, v12, v14, vcc_lo
	v_add_co_ci_u32_e32 v11, vcc_lo, 0, v15, vcc_lo
	v_ashrrev_i32_e32 v14, 31, v8
	s_delay_alu instid0(VALU_DEP_3) | instskip(NEXT) | instid1(VALU_DEP_3)
	v_add_co_u32 v9, vcc_lo, v10, v9
	v_add_co_ci_u32_e32 v10, vcc_lo, 0, v11, vcc_lo
	s_delay_alu instid0(VALU_DEP_2) | instskip(NEXT) | instid1(VALU_DEP_2)
	v_add_co_u32 v3, vcc_lo, v3, v9
	v_add_co_ci_u32_e32 v5, vcc_lo, v5, v10, vcc_lo
	s_delay_alu instid0(VALU_DEP_2) | instskip(SKIP_1) | instid1(VALU_DEP_3)
	v_mul_hi_u32 v9, s0, v3
	v_mul_lo_u32 v11, s17, v3
	v_mul_lo_u32 v10, s0, v5
	s_delay_alu instid0(VALU_DEP_1) | instskip(SKIP_1) | instid1(VALU_DEP_2)
	v_add_nc_u32_e32 v9, v9, v10
	v_mul_lo_u32 v10, s0, v3
	v_add_nc_u32_e32 v9, v9, v11
	s_delay_alu instid0(VALU_DEP_2) | instskip(NEXT) | instid1(VALU_DEP_2)
	v_mul_hi_u32 v11, v3, v10
	v_mul_lo_u32 v12, v3, v9
	v_mul_hi_u32 v13, v3, v9
	v_mul_hi_u32 v15, v5, v10
	v_mul_lo_u32 v10, v5, v10
	v_mul_hi_u32 v16, v5, v9
	v_mul_lo_u32 v9, v5, v9
	v_add_co_u32 v11, vcc_lo, v11, v12
	v_add_co_ci_u32_e32 v12, vcc_lo, 0, v13, vcc_lo
	s_delay_alu instid0(VALU_DEP_2) | instskip(NEXT) | instid1(VALU_DEP_2)
	v_add_co_u32 v10, vcc_lo, v11, v10
	v_add_co_ci_u32_e32 v10, vcc_lo, v12, v15, vcc_lo
	v_add_co_ci_u32_e32 v11, vcc_lo, 0, v16, vcc_lo
	v_add_co_u32 v12, vcc_lo, v7, v14
	v_add_co_ci_u32_e32 v8, vcc_lo, v8, v14, vcc_lo
	s_delay_alu instid0(VALU_DEP_4) | instskip(NEXT) | instid1(VALU_DEP_4)
	v_add_co_u32 v9, vcc_lo, v10, v9
	v_add_co_ci_u32_e32 v10, vcc_lo, 0, v11, vcc_lo
	s_delay_alu instid0(VALU_DEP_4) | instskip(NEXT) | instid1(VALU_DEP_3)
	v_xor_b32_e32 v15, v12, v14
	v_add_co_u32 v3, vcc_lo, v3, v9
	s_delay_alu instid0(VALU_DEP_3) | instskip(SKIP_1) | instid1(VALU_DEP_3)
	v_add_co_ci_u32_e32 v5, vcc_lo, v5, v10, vcc_lo
	v_xor_b32_e32 v16, v8, v14
	v_mul_hi_u32 v17, v15, v3
	s_delay_alu instid0(VALU_DEP_3) | instskip(NEXT) | instid1(VALU_DEP_3)
	v_mad_u64_u32 v[8:9], null, v15, v5, 0
	v_mad_u64_u32 v[10:11], null, v16, v3, 0
	;; [unrolled: 1-line block ×3, first 2 shown]
	s_delay_alu instid0(VALU_DEP_3) | instskip(NEXT) | instid1(VALU_DEP_4)
	v_add_co_u32 v3, vcc_lo, v17, v8
	v_add_co_ci_u32_e32 v5, vcc_lo, 0, v9, vcc_lo
	s_delay_alu instid0(VALU_DEP_2) | instskip(NEXT) | instid1(VALU_DEP_2)
	v_add_co_u32 v3, vcc_lo, v3, v10
	v_add_co_ci_u32_e32 v3, vcc_lo, v5, v11, vcc_lo
	v_add_co_ci_u32_e32 v5, vcc_lo, 0, v13, vcc_lo
	s_delay_alu instid0(VALU_DEP_2) | instskip(NEXT) | instid1(VALU_DEP_2)
	v_add_co_u32 v3, vcc_lo, v3, v12
	v_add_co_ci_u32_e32 v5, vcc_lo, 0, v5, vcc_lo
	s_delay_alu instid0(VALU_DEP_2) | instskip(SKIP_1) | instid1(VALU_DEP_3)
	v_mul_lo_u32 v10, s23, v3
	v_mad_u64_u32 v[8:9], null, s22, v3, 0
	v_mul_lo_u32 v11, s22, v5
	s_delay_alu instid0(VALU_DEP_2) | instskip(NEXT) | instid1(VALU_DEP_2)
	v_sub_co_u32 v8, vcc_lo, v15, v8
	v_add3_u32 v9, v9, v11, v10
	s_delay_alu instid0(VALU_DEP_1) | instskip(NEXT) | instid1(VALU_DEP_1)
	v_sub_nc_u32_e32 v10, v16, v9
	v_subrev_co_ci_u32_e64 v10, s0, s23, v10, vcc_lo
	v_add_co_u32 v11, s0, v3, 2
	s_delay_alu instid0(VALU_DEP_1) | instskip(SKIP_3) | instid1(VALU_DEP_3)
	v_add_co_ci_u32_e64 v12, s0, 0, v5, s0
	v_sub_co_u32 v13, s0, v8, s22
	v_sub_co_ci_u32_e32 v9, vcc_lo, v16, v9, vcc_lo
	v_subrev_co_ci_u32_e64 v10, s0, 0, v10, s0
	v_cmp_le_u32_e32 vcc_lo, s22, v13
	s_delay_alu instid0(VALU_DEP_3) | instskip(SKIP_1) | instid1(VALU_DEP_4)
	v_cmp_eq_u32_e64 s0, s23, v9
	v_cndmask_b32_e64 v13, 0, -1, vcc_lo
	v_cmp_le_u32_e32 vcc_lo, s23, v10
	v_cndmask_b32_e64 v15, 0, -1, vcc_lo
	v_cmp_le_u32_e32 vcc_lo, s22, v8
	;; [unrolled: 2-line block ×3, first 2 shown]
	v_cndmask_b32_e64 v16, 0, -1, vcc_lo
	v_cmp_eq_u32_e32 vcc_lo, s23, v10
	s_delay_alu instid0(VALU_DEP_2) | instskip(SKIP_3) | instid1(VALU_DEP_3)
	v_cndmask_b32_e64 v8, v16, v8, s0
	v_cndmask_b32_e32 v10, v15, v13, vcc_lo
	v_add_co_u32 v13, vcc_lo, v3, 1
	v_add_co_ci_u32_e32 v15, vcc_lo, 0, v5, vcc_lo
	v_cmp_ne_u32_e32 vcc_lo, 0, v10
	s_delay_alu instid0(VALU_DEP_2) | instskip(SKIP_2) | instid1(VALU_DEP_3)
	v_dual_cndmask_b32 v9, v15, v12 :: v_dual_cndmask_b32 v10, v13, v11
	v_cmp_ne_u32_e32 vcc_lo, 0, v8
	v_xor_b32_e32 v8, s20, v14
	v_cndmask_b32_e32 v3, v3, v10, vcc_lo
	s_delay_alu instid0(VALU_DEP_4) | instskip(SKIP_1) | instid1(VALU_DEP_3)
	v_cndmask_b32_e32 v5, v5, v9, vcc_lo
	v_xor_b32_e32 v10, s21, v14
	v_xor_b32_e32 v3, v3, v8
	s_delay_alu instid0(VALU_DEP_2) | instskip(NEXT) | instid1(VALU_DEP_2)
	v_xor_b32_e32 v5, v5, v10
	v_sub_co_u32 v9, vcc_lo, v3, v8
	s_delay_alu instid0(VALU_DEP_2)
	v_sub_co_ci_u32_e32 v10, vcc_lo, v5, v10, vcc_lo
.LBB8_26:                               ;   in Loop: Header=BB8_24 Depth=2
	s_and_not1_saveexec_b32 s0, s14
	s_cbranch_execz .LBB8_28
; %bb.27:                               ;   in Loop: Header=BB8_24 Depth=2
	v_cvt_f32_u32_e32 v3, s41
	s_sub_i32 s14, 0, s41
	v_mov_b32_e32 v10, v2
	s_delay_alu instid0(VALU_DEP_2) | instskip(SKIP_2) | instid1(VALU_DEP_1)
	v_rcp_iflag_f32_e32 v3, v3
	s_waitcnt_depctr 0xfff
	v_mul_f32_e32 v3, 0x4f7ffffe, v3
	v_cvt_u32_f32_e32 v3, v3
	s_delay_alu instid0(VALU_DEP_1) | instskip(NEXT) | instid1(VALU_DEP_1)
	v_mul_lo_u32 v5, s14, v3
	v_mul_hi_u32 v5, v3, v5
	s_delay_alu instid0(VALU_DEP_1) | instskip(NEXT) | instid1(VALU_DEP_1)
	v_add_nc_u32_e32 v3, v3, v5
	v_mul_hi_u32 v3, v7, v3
	s_delay_alu instid0(VALU_DEP_1) | instskip(NEXT) | instid1(VALU_DEP_1)
	v_mul_lo_u32 v5, v3, s41
	v_sub_nc_u32_e32 v5, v7, v5
	s_delay_alu instid0(VALU_DEP_1) | instskip(SKIP_1) | instid1(VALU_DEP_2)
	v_subrev_nc_u32_e32 v9, s41, v5
	v_cmp_le_u32_e32 vcc_lo, s41, v5
	v_dual_cndmask_b32 v5, v5, v9 :: v_dual_add_nc_u32 v8, 1, v3
	s_delay_alu instid0(VALU_DEP_1) | instskip(NEXT) | instid1(VALU_DEP_2)
	v_cndmask_b32_e32 v3, v3, v8, vcc_lo
	v_cmp_le_u32_e32 vcc_lo, s41, v5
	s_delay_alu instid0(VALU_DEP_2) | instskip(NEXT) | instid1(VALU_DEP_1)
	v_add_nc_u32_e32 v8, 1, v3
	v_cndmask_b32_e32 v9, v3, v8, vcc_lo
.LBB8_28:                               ;   in Loop: Header=BB8_24 Depth=2
	s_or_b32 exec_lo, exec_lo, s0
	s_add_u32 s20, s30, s18
	s_addc_u32 s21, s1, s19
	s_add_i32 s14, s16, 6
                                        ; implicit-def: $vgpr11_vgpr12
	s_delay_alu instid0(SALU_CYCLE_1)
	s_lshl_b64 s[18:19], s[14:15], 2
	s_mov_b32 s14, exec_lo
	s_add_u32 s22, s26, s18
	s_addc_u32 s23, s27, s19
	s_clause 0x1
	s_load_b32 s43, s[22:23], 0x0
	s_load_b32 s42, s[20:21], 0x0
	s_waitcnt lgkmcnt(0)
	s_ashr_i32 s0, s43, 31
	s_delay_alu instid0(SALU_CYCLE_1) | instskip(NEXT) | instid1(VALU_DEP_1)
	v_or_b32_e32 v3, s0, v10
	v_cmpx_ne_u64_e32 0, v[2:3]
	s_xor_b32 s14, exec_lo, s14
	s_cbranch_execz .LBB8_30
; %bb.29:                               ;   in Loop: Header=BB8_24 Depth=2
	s_add_u32 s22, s43, s0
	s_mov_b32 s20, s0
	s_mov_b32 s21, s0
	s_addc_u32 s23, s0, s0
	s_delay_alu instid0(SALU_CYCLE_1) | instskip(NEXT) | instid1(SALU_CYCLE_1)
	s_xor_b64 s[22:23], s[22:23], s[20:21]
	v_cvt_f32_u32_e32 v3, s22
	v_cvt_f32_u32_e32 v5, s23
	s_sub_u32 s0, 0, s22
	s_subb_u32 s17, 0, s23
	s_delay_alu instid0(VALU_DEP_1) | instskip(NEXT) | instid1(VALU_DEP_1)
	v_fmac_f32_e32 v3, 0x4f800000, v5
	v_rcp_f32_e32 v3, v3
	s_waitcnt_depctr 0xfff
	v_mul_f32_e32 v3, 0x5f7ffffc, v3
	s_delay_alu instid0(VALU_DEP_1) | instskip(NEXT) | instid1(VALU_DEP_1)
	v_mul_f32_e32 v5, 0x2f800000, v3
	v_trunc_f32_e32 v5, v5
	s_delay_alu instid0(VALU_DEP_1) | instskip(SKIP_1) | instid1(VALU_DEP_2)
	v_fmac_f32_e32 v3, 0xcf800000, v5
	v_cvt_u32_f32_e32 v5, v5
	v_cvt_u32_f32_e32 v3, v3
	s_delay_alu instid0(VALU_DEP_2) | instskip(NEXT) | instid1(VALU_DEP_2)
	v_mul_lo_u32 v8, s0, v5
	v_mul_hi_u32 v11, s0, v3
	v_mul_lo_u32 v12, s17, v3
	s_delay_alu instid0(VALU_DEP_2) | instskip(SKIP_1) | instid1(VALU_DEP_2)
	v_add_nc_u32_e32 v8, v11, v8
	v_mul_lo_u32 v11, s0, v3
	v_add_nc_u32_e32 v8, v8, v12
	s_delay_alu instid0(VALU_DEP_2) | instskip(NEXT) | instid1(VALU_DEP_2)
	v_mul_hi_u32 v12, v3, v11
	v_mul_lo_u32 v13, v3, v8
	v_mul_hi_u32 v14, v3, v8
	v_mul_hi_u32 v15, v5, v11
	v_mul_lo_u32 v11, v5, v11
	v_mul_hi_u32 v16, v5, v8
	v_mul_lo_u32 v8, v5, v8
	v_add_co_u32 v12, vcc_lo, v12, v13
	v_add_co_ci_u32_e32 v13, vcc_lo, 0, v14, vcc_lo
	s_delay_alu instid0(VALU_DEP_2) | instskip(NEXT) | instid1(VALU_DEP_2)
	v_add_co_u32 v11, vcc_lo, v12, v11
	v_add_co_ci_u32_e32 v11, vcc_lo, v13, v15, vcc_lo
	v_add_co_ci_u32_e32 v12, vcc_lo, 0, v16, vcc_lo
	v_ashrrev_i32_e32 v16, 31, v10
	s_delay_alu instid0(VALU_DEP_3) | instskip(NEXT) | instid1(VALU_DEP_3)
	v_add_co_u32 v8, vcc_lo, v11, v8
	v_add_co_ci_u32_e32 v11, vcc_lo, 0, v12, vcc_lo
	s_delay_alu instid0(VALU_DEP_2) | instskip(NEXT) | instid1(VALU_DEP_2)
	v_add_co_u32 v3, vcc_lo, v3, v8
	v_add_co_ci_u32_e32 v5, vcc_lo, v5, v11, vcc_lo
	s_delay_alu instid0(VALU_DEP_2) | instskip(SKIP_1) | instid1(VALU_DEP_3)
	v_mul_hi_u32 v8, s0, v3
	v_mul_lo_u32 v12, s17, v3
	v_mul_lo_u32 v11, s0, v5
	s_delay_alu instid0(VALU_DEP_1) | instskip(SKIP_1) | instid1(VALU_DEP_2)
	v_add_nc_u32_e32 v8, v8, v11
	v_mul_lo_u32 v11, s0, v3
	v_add_nc_u32_e32 v8, v8, v12
	s_delay_alu instid0(VALU_DEP_2) | instskip(NEXT) | instid1(VALU_DEP_2)
	v_mul_hi_u32 v12, v3, v11
	v_mul_lo_u32 v13, v3, v8
	v_mul_hi_u32 v14, v3, v8
	v_mul_hi_u32 v15, v5, v11
	v_mul_lo_u32 v11, v5, v11
	v_mul_hi_u32 v17, v5, v8
	v_mul_lo_u32 v8, v5, v8
	v_add_co_u32 v12, vcc_lo, v12, v13
	v_add_co_ci_u32_e32 v13, vcc_lo, 0, v14, vcc_lo
	s_delay_alu instid0(VALU_DEP_2) | instskip(NEXT) | instid1(VALU_DEP_2)
	v_add_co_u32 v11, vcc_lo, v12, v11
	v_add_co_ci_u32_e32 v11, vcc_lo, v13, v15, vcc_lo
	v_add_co_ci_u32_e32 v12, vcc_lo, 0, v17, vcc_lo
	v_add_co_u32 v13, vcc_lo, v9, v16
	v_add_co_ci_u32_e32 v10, vcc_lo, v10, v16, vcc_lo
	s_delay_alu instid0(VALU_DEP_4) | instskip(NEXT) | instid1(VALU_DEP_4)
	v_add_co_u32 v8, vcc_lo, v11, v8
	v_add_co_ci_u32_e32 v11, vcc_lo, 0, v12, vcc_lo
	s_delay_alu instid0(VALU_DEP_4) | instskip(NEXT) | instid1(VALU_DEP_3)
	v_xor_b32_e32 v17, v13, v16
	v_add_co_u32 v3, vcc_lo, v3, v8
	s_delay_alu instid0(VALU_DEP_3) | instskip(SKIP_1) | instid1(VALU_DEP_3)
	v_add_co_ci_u32_e32 v5, vcc_lo, v5, v11, vcc_lo
	v_xor_b32_e32 v8, v10, v16
	v_mul_hi_u32 v18, v17, v3
	s_delay_alu instid0(VALU_DEP_3) | instskip(NEXT) | instid1(VALU_DEP_3)
	v_mad_u64_u32 v[10:11], null, v17, v5, 0
	v_mad_u64_u32 v[12:13], null, v8, v3, 0
	;; [unrolled: 1-line block ×3, first 2 shown]
	s_delay_alu instid0(VALU_DEP_3) | instskip(NEXT) | instid1(VALU_DEP_4)
	v_add_co_u32 v3, vcc_lo, v18, v10
	v_add_co_ci_u32_e32 v5, vcc_lo, 0, v11, vcc_lo
	s_delay_alu instid0(VALU_DEP_2) | instskip(NEXT) | instid1(VALU_DEP_2)
	v_add_co_u32 v3, vcc_lo, v3, v12
	v_add_co_ci_u32_e32 v3, vcc_lo, v5, v13, vcc_lo
	v_add_co_ci_u32_e32 v5, vcc_lo, 0, v15, vcc_lo
	s_delay_alu instid0(VALU_DEP_2) | instskip(NEXT) | instid1(VALU_DEP_2)
	v_add_co_u32 v3, vcc_lo, v3, v14
	v_add_co_ci_u32_e32 v5, vcc_lo, 0, v5, vcc_lo
	s_delay_alu instid0(VALU_DEP_2) | instskip(SKIP_1) | instid1(VALU_DEP_3)
	v_mul_lo_u32 v12, s23, v3
	v_mad_u64_u32 v[10:11], null, s22, v3, 0
	v_mul_lo_u32 v13, s22, v5
	s_delay_alu instid0(VALU_DEP_2) | instskip(NEXT) | instid1(VALU_DEP_2)
	v_sub_co_u32 v10, vcc_lo, v17, v10
	v_add3_u32 v11, v11, v13, v12
	s_delay_alu instid0(VALU_DEP_1) | instskip(NEXT) | instid1(VALU_DEP_1)
	v_sub_nc_u32_e32 v12, v8, v11
	v_subrev_co_ci_u32_e64 v12, s0, s23, v12, vcc_lo
	v_add_co_u32 v13, s0, v3, 2
	s_delay_alu instid0(VALU_DEP_1) | instskip(SKIP_3) | instid1(VALU_DEP_3)
	v_add_co_ci_u32_e64 v14, s0, 0, v5, s0
	v_sub_co_u32 v15, s0, v10, s22
	v_sub_co_ci_u32_e32 v8, vcc_lo, v8, v11, vcc_lo
	v_subrev_co_ci_u32_e64 v12, s0, 0, v12, s0
	v_cmp_le_u32_e32 vcc_lo, s22, v15
	s_delay_alu instid0(VALU_DEP_3) | instskip(SKIP_1) | instid1(VALU_DEP_4)
	v_cmp_eq_u32_e64 s0, s23, v8
	v_cndmask_b32_e64 v11, 0, -1, vcc_lo
	v_cmp_le_u32_e32 vcc_lo, s23, v12
	v_cndmask_b32_e64 v15, 0, -1, vcc_lo
	v_cmp_le_u32_e32 vcc_lo, s22, v10
	;; [unrolled: 2-line block ×3, first 2 shown]
	v_cndmask_b32_e64 v17, 0, -1, vcc_lo
	v_cmp_eq_u32_e32 vcc_lo, s23, v12
	s_delay_alu instid0(VALU_DEP_2) | instskip(SKIP_3) | instid1(VALU_DEP_3)
	v_cndmask_b32_e64 v8, v17, v10, s0
	v_cndmask_b32_e32 v11, v15, v11, vcc_lo
	v_add_co_u32 v12, vcc_lo, v3, 1
	v_add_co_ci_u32_e32 v15, vcc_lo, 0, v5, vcc_lo
	v_cmp_ne_u32_e32 vcc_lo, 0, v11
	s_delay_alu instid0(VALU_DEP_2) | instskip(SKIP_2) | instid1(VALU_DEP_3)
	v_dual_cndmask_b32 v10, v15, v14 :: v_dual_cndmask_b32 v11, v12, v13
	v_cmp_ne_u32_e32 vcc_lo, 0, v8
	v_xor_b32_e32 v8, s20, v16
	v_cndmask_b32_e32 v3, v3, v11, vcc_lo
	s_delay_alu instid0(VALU_DEP_4) | instskip(SKIP_1) | instid1(VALU_DEP_3)
	v_cndmask_b32_e32 v5, v5, v10, vcc_lo
	v_xor_b32_e32 v10, s21, v16
	v_xor_b32_e32 v3, v3, v8
	s_delay_alu instid0(VALU_DEP_2) | instskip(NEXT) | instid1(VALU_DEP_2)
	v_xor_b32_e32 v5, v5, v10
	v_sub_co_u32 v11, vcc_lo, v3, v8
	s_delay_alu instid0(VALU_DEP_2)
	v_sub_co_ci_u32_e32 v12, vcc_lo, v5, v10, vcc_lo
.LBB8_30:                               ;   in Loop: Header=BB8_24 Depth=2
	s_and_not1_saveexec_b32 s0, s14
	s_cbranch_execz .LBB8_32
; %bb.31:                               ;   in Loop: Header=BB8_24 Depth=2
	v_cvt_f32_u32_e32 v3, s43
	s_sub_i32 s14, 0, s43
	v_mov_b32_e32 v12, v2
	s_delay_alu instid0(VALU_DEP_2) | instskip(SKIP_2) | instid1(VALU_DEP_1)
	v_rcp_iflag_f32_e32 v3, v3
	s_waitcnt_depctr 0xfff
	v_mul_f32_e32 v3, 0x4f7ffffe, v3
	v_cvt_u32_f32_e32 v3, v3
	s_delay_alu instid0(VALU_DEP_1) | instskip(NEXT) | instid1(VALU_DEP_1)
	v_mul_lo_u32 v5, s14, v3
	v_mul_hi_u32 v5, v3, v5
	s_delay_alu instid0(VALU_DEP_1) | instskip(NEXT) | instid1(VALU_DEP_1)
	v_add_nc_u32_e32 v3, v3, v5
	v_mul_hi_u32 v3, v9, v3
	s_delay_alu instid0(VALU_DEP_1) | instskip(NEXT) | instid1(VALU_DEP_1)
	v_mul_lo_u32 v5, v3, s43
	v_sub_nc_u32_e32 v5, v9, v5
	s_delay_alu instid0(VALU_DEP_1) | instskip(SKIP_1) | instid1(VALU_DEP_2)
	v_subrev_nc_u32_e32 v10, s43, v5
	v_cmp_le_u32_e32 vcc_lo, s43, v5
	v_dual_cndmask_b32 v5, v5, v10 :: v_dual_add_nc_u32 v8, 1, v3
	s_delay_alu instid0(VALU_DEP_1) | instskip(NEXT) | instid1(VALU_DEP_2)
	v_cndmask_b32_e32 v3, v3, v8, vcc_lo
	v_cmp_le_u32_e32 vcc_lo, s43, v5
	s_delay_alu instid0(VALU_DEP_2) | instskip(NEXT) | instid1(VALU_DEP_1)
	v_add_nc_u32_e32 v8, 1, v3
	v_cndmask_b32_e32 v11, v3, v8, vcc_lo
.LBB8_32:                               ;   in Loop: Header=BB8_24 Depth=2
	s_or_b32 exec_lo, exec_lo, s0
	s_add_u32 s20, s30, s18
	s_addc_u32 s21, s1, s19
	s_add_i32 s14, s16, 5
                                        ; implicit-def: $vgpr13_vgpr14
	s_delay_alu instid0(SALU_CYCLE_1)
	s_lshl_b64 s[18:19], s[14:15], 2
	s_mov_b32 s14, exec_lo
	s_add_u32 s22, s26, s18
	s_addc_u32 s23, s27, s19
	s_clause 0x1
	s_load_b32 s45, s[22:23], 0x0
	s_load_b32 s44, s[20:21], 0x0
	s_waitcnt lgkmcnt(0)
	s_ashr_i32 s0, s45, 31
	s_delay_alu instid0(SALU_CYCLE_1) | instskip(NEXT) | instid1(VALU_DEP_1)
	v_or_b32_e32 v3, s0, v12
	v_cmpx_ne_u64_e32 0, v[2:3]
	s_xor_b32 s14, exec_lo, s14
	s_cbranch_execz .LBB8_34
; %bb.33:                               ;   in Loop: Header=BB8_24 Depth=2
	s_add_u32 s22, s45, s0
	s_mov_b32 s20, s0
	s_mov_b32 s21, s0
	s_addc_u32 s23, s0, s0
	v_ashrrev_i32_e32 v18, 31, v12
	s_xor_b64 s[22:23], s[22:23], s[20:21]
	s_delay_alu instid0(SALU_CYCLE_1) | instskip(SKIP_3) | instid1(VALU_DEP_1)
	v_cvt_f32_u32_e32 v3, s22
	v_cvt_f32_u32_e32 v5, s23
	s_sub_u32 s0, 0, s22
	s_subb_u32 s17, 0, s23
	v_fmac_f32_e32 v3, 0x4f800000, v5
	s_delay_alu instid0(VALU_DEP_1) | instskip(SKIP_2) | instid1(VALU_DEP_1)
	v_rcp_f32_e32 v3, v3
	s_waitcnt_depctr 0xfff
	v_mul_f32_e32 v3, 0x5f7ffffc, v3
	v_mul_f32_e32 v5, 0x2f800000, v3
	s_delay_alu instid0(VALU_DEP_1) | instskip(NEXT) | instid1(VALU_DEP_1)
	v_trunc_f32_e32 v5, v5
	v_fmac_f32_e32 v3, 0xcf800000, v5
	v_cvt_u32_f32_e32 v5, v5
	s_delay_alu instid0(VALU_DEP_2) | instskip(NEXT) | instid1(VALU_DEP_2)
	v_cvt_u32_f32_e32 v3, v3
	v_mul_lo_u32 v8, s0, v5
	s_delay_alu instid0(VALU_DEP_2) | instskip(SKIP_1) | instid1(VALU_DEP_2)
	v_mul_hi_u32 v10, s0, v3
	v_mul_lo_u32 v13, s17, v3
	v_add_nc_u32_e32 v8, v10, v8
	v_mul_lo_u32 v10, s0, v3
	s_delay_alu instid0(VALU_DEP_2) | instskip(NEXT) | instid1(VALU_DEP_2)
	v_add_nc_u32_e32 v8, v8, v13
	v_mul_hi_u32 v13, v3, v10
	s_delay_alu instid0(VALU_DEP_2)
	v_mul_lo_u32 v14, v3, v8
	v_mul_hi_u32 v15, v3, v8
	v_mul_hi_u32 v16, v5, v10
	v_mul_lo_u32 v10, v5, v10
	v_mul_hi_u32 v17, v5, v8
	v_mul_lo_u32 v8, v5, v8
	v_add_co_u32 v13, vcc_lo, v13, v14
	v_add_co_ci_u32_e32 v14, vcc_lo, 0, v15, vcc_lo
	s_delay_alu instid0(VALU_DEP_2) | instskip(NEXT) | instid1(VALU_DEP_2)
	v_add_co_u32 v10, vcc_lo, v13, v10
	v_add_co_ci_u32_e32 v10, vcc_lo, v14, v16, vcc_lo
	v_add_co_ci_u32_e32 v13, vcc_lo, 0, v17, vcc_lo
	s_delay_alu instid0(VALU_DEP_2) | instskip(NEXT) | instid1(VALU_DEP_2)
	v_add_co_u32 v8, vcc_lo, v10, v8
	v_add_co_ci_u32_e32 v10, vcc_lo, 0, v13, vcc_lo
	s_delay_alu instid0(VALU_DEP_2) | instskip(NEXT) | instid1(VALU_DEP_2)
	v_add_co_u32 v3, vcc_lo, v3, v8
	v_add_co_ci_u32_e32 v5, vcc_lo, v5, v10, vcc_lo
	s_delay_alu instid0(VALU_DEP_2) | instskip(SKIP_1) | instid1(VALU_DEP_3)
	v_mul_hi_u32 v8, s0, v3
	v_mul_lo_u32 v13, s17, v3
	v_mul_lo_u32 v10, s0, v5
	s_delay_alu instid0(VALU_DEP_1) | instskip(SKIP_1) | instid1(VALU_DEP_2)
	v_add_nc_u32_e32 v8, v8, v10
	v_mul_lo_u32 v10, s0, v3
	v_add_nc_u32_e32 v8, v8, v13
	s_delay_alu instid0(VALU_DEP_2) | instskip(NEXT) | instid1(VALU_DEP_2)
	v_mul_hi_u32 v13, v3, v10
	v_mul_lo_u32 v14, v3, v8
	v_mul_hi_u32 v15, v3, v8
	v_mul_hi_u32 v16, v5, v10
	v_mul_lo_u32 v10, v5, v10
	v_mul_hi_u32 v17, v5, v8
	v_mul_lo_u32 v8, v5, v8
	v_add_co_u32 v13, vcc_lo, v13, v14
	v_add_co_ci_u32_e32 v14, vcc_lo, 0, v15, vcc_lo
	s_delay_alu instid0(VALU_DEP_2) | instskip(NEXT) | instid1(VALU_DEP_2)
	v_add_co_u32 v10, vcc_lo, v13, v10
	v_add_co_ci_u32_e32 v10, vcc_lo, v14, v16, vcc_lo
	v_add_co_ci_u32_e32 v13, vcc_lo, 0, v17, vcc_lo
	v_add_co_u32 v14, vcc_lo, v11, v18
	v_add_co_ci_u32_e32 v12, vcc_lo, v12, v18, vcc_lo
	s_delay_alu instid0(VALU_DEP_4) | instskip(NEXT) | instid1(VALU_DEP_4)
	v_add_co_u32 v8, vcc_lo, v10, v8
	v_add_co_ci_u32_e32 v10, vcc_lo, 0, v13, vcc_lo
	s_delay_alu instid0(VALU_DEP_4) | instskip(NEXT) | instid1(VALU_DEP_3)
	v_xor_b32_e32 v19, v14, v18
	v_add_co_u32 v3, vcc_lo, v3, v8
	s_delay_alu instid0(VALU_DEP_3) | instskip(SKIP_1) | instid1(VALU_DEP_3)
	v_add_co_ci_u32_e32 v5, vcc_lo, v5, v10, vcc_lo
	v_xor_b32_e32 v8, v12, v18
	v_mul_hi_u32 v10, v19, v3
	s_delay_alu instid0(VALU_DEP_3) | instskip(NEXT) | instid1(VALU_DEP_3)
	v_mad_u64_u32 v[12:13], null, v19, v5, 0
	v_mad_u64_u32 v[14:15], null, v8, v3, 0
	;; [unrolled: 1-line block ×3, first 2 shown]
	s_delay_alu instid0(VALU_DEP_3) | instskip(NEXT) | instid1(VALU_DEP_4)
	v_add_co_u32 v3, vcc_lo, v10, v12
	v_add_co_ci_u32_e32 v5, vcc_lo, 0, v13, vcc_lo
	s_delay_alu instid0(VALU_DEP_2) | instskip(NEXT) | instid1(VALU_DEP_2)
	v_add_co_u32 v3, vcc_lo, v3, v14
	v_add_co_ci_u32_e32 v3, vcc_lo, v5, v15, vcc_lo
	v_add_co_ci_u32_e32 v5, vcc_lo, 0, v17, vcc_lo
	s_delay_alu instid0(VALU_DEP_2) | instskip(NEXT) | instid1(VALU_DEP_2)
	v_add_co_u32 v3, vcc_lo, v3, v16
	v_add_co_ci_u32_e32 v5, vcc_lo, 0, v5, vcc_lo
	s_delay_alu instid0(VALU_DEP_2) | instskip(SKIP_1) | instid1(VALU_DEP_3)
	v_mul_lo_u32 v10, s23, v3
	v_mad_u64_u32 v[12:13], null, s22, v3, 0
	v_mul_lo_u32 v14, s22, v5
	s_delay_alu instid0(VALU_DEP_2) | instskip(NEXT) | instid1(VALU_DEP_2)
	v_sub_co_u32 v12, vcc_lo, v19, v12
	v_add3_u32 v10, v13, v14, v10
	s_delay_alu instid0(VALU_DEP_1) | instskip(NEXT) | instid1(VALU_DEP_1)
	v_sub_nc_u32_e32 v13, v8, v10
	v_subrev_co_ci_u32_e64 v13, s0, s23, v13, vcc_lo
	v_add_co_u32 v14, s0, v3, 2
	s_delay_alu instid0(VALU_DEP_1) | instskip(SKIP_3) | instid1(VALU_DEP_3)
	v_add_co_ci_u32_e64 v15, s0, 0, v5, s0
	v_sub_co_u32 v16, s0, v12, s22
	v_sub_co_ci_u32_e32 v8, vcc_lo, v8, v10, vcc_lo
	v_subrev_co_ci_u32_e64 v13, s0, 0, v13, s0
	v_cmp_le_u32_e32 vcc_lo, s22, v16
	s_delay_alu instid0(VALU_DEP_3) | instskip(SKIP_1) | instid1(VALU_DEP_4)
	v_cmp_eq_u32_e64 s0, s23, v8
	v_cndmask_b32_e64 v10, 0, -1, vcc_lo
	v_cmp_le_u32_e32 vcc_lo, s23, v13
	v_cndmask_b32_e64 v16, 0, -1, vcc_lo
	v_cmp_le_u32_e32 vcc_lo, s22, v12
	;; [unrolled: 2-line block ×3, first 2 shown]
	v_cndmask_b32_e64 v17, 0, -1, vcc_lo
	v_cmp_eq_u32_e32 vcc_lo, s23, v13
	s_delay_alu instid0(VALU_DEP_2) | instskip(SKIP_3) | instid1(VALU_DEP_3)
	v_cndmask_b32_e64 v8, v17, v12, s0
	v_cndmask_b32_e32 v10, v16, v10, vcc_lo
	v_add_co_u32 v13, vcc_lo, v3, 1
	v_add_co_ci_u32_e32 v16, vcc_lo, 0, v5, vcc_lo
	v_cmp_ne_u32_e32 vcc_lo, 0, v10
	s_delay_alu instid0(VALU_DEP_3) | instskip(NEXT) | instid1(VALU_DEP_3)
	v_cndmask_b32_e32 v12, v13, v14, vcc_lo
	v_cndmask_b32_e32 v10, v16, v15, vcc_lo
	v_cmp_ne_u32_e32 vcc_lo, 0, v8
	v_xor_b32_e32 v8, s20, v18
	s_delay_alu instid0(VALU_DEP_4) | instskip(NEXT) | instid1(VALU_DEP_4)
	v_cndmask_b32_e32 v3, v3, v12, vcc_lo
	v_cndmask_b32_e32 v5, v5, v10, vcc_lo
	v_xor_b32_e32 v10, s21, v18
	s_delay_alu instid0(VALU_DEP_3) | instskip(NEXT) | instid1(VALU_DEP_2)
	v_xor_b32_e32 v3, v3, v8
	v_xor_b32_e32 v5, v5, v10
	s_delay_alu instid0(VALU_DEP_2) | instskip(NEXT) | instid1(VALU_DEP_2)
	v_sub_co_u32 v13, vcc_lo, v3, v8
	v_sub_co_ci_u32_e32 v14, vcc_lo, v5, v10, vcc_lo
.LBB8_34:                               ;   in Loop: Header=BB8_24 Depth=2
	s_and_not1_saveexec_b32 s0, s14
	s_cbranch_execz .LBB8_36
; %bb.35:                               ;   in Loop: Header=BB8_24 Depth=2
	v_cvt_f32_u32_e32 v3, s45
	s_sub_i32 s14, 0, s45
	v_mov_b32_e32 v14, v2
	s_delay_alu instid0(VALU_DEP_2) | instskip(SKIP_2) | instid1(VALU_DEP_1)
	v_rcp_iflag_f32_e32 v3, v3
	s_waitcnt_depctr 0xfff
	v_mul_f32_e32 v3, 0x4f7ffffe, v3
	v_cvt_u32_f32_e32 v3, v3
	s_delay_alu instid0(VALU_DEP_1) | instskip(NEXT) | instid1(VALU_DEP_1)
	v_mul_lo_u32 v5, s14, v3
	v_mul_hi_u32 v5, v3, v5
	s_delay_alu instid0(VALU_DEP_1) | instskip(NEXT) | instid1(VALU_DEP_1)
	v_add_nc_u32_e32 v3, v3, v5
	v_mul_hi_u32 v3, v11, v3
	s_delay_alu instid0(VALU_DEP_1) | instskip(NEXT) | instid1(VALU_DEP_1)
	v_mul_lo_u32 v5, v3, s45
	v_sub_nc_u32_e32 v5, v11, v5
	s_delay_alu instid0(VALU_DEP_1) | instskip(SKIP_1) | instid1(VALU_DEP_2)
	v_subrev_nc_u32_e32 v10, s45, v5
	v_cmp_le_u32_e32 vcc_lo, s45, v5
	v_dual_cndmask_b32 v5, v5, v10 :: v_dual_add_nc_u32 v8, 1, v3
	s_delay_alu instid0(VALU_DEP_1) | instskip(NEXT) | instid1(VALU_DEP_2)
	v_cndmask_b32_e32 v3, v3, v8, vcc_lo
	v_cmp_le_u32_e32 vcc_lo, s45, v5
	s_delay_alu instid0(VALU_DEP_2) | instskip(NEXT) | instid1(VALU_DEP_1)
	v_add_nc_u32_e32 v8, 1, v3
	v_cndmask_b32_e32 v13, v3, v8, vcc_lo
.LBB8_36:                               ;   in Loop: Header=BB8_24 Depth=2
	s_or_b32 exec_lo, exec_lo, s0
	s_add_u32 s20, s30, s18
	s_addc_u32 s21, s1, s19
	s_add_i32 s14, s16, 4
                                        ; implicit-def: $vgpr15_vgpr16
	s_delay_alu instid0(SALU_CYCLE_1)
	s_lshl_b64 s[18:19], s[14:15], 2
	s_mov_b32 s14, exec_lo
	s_add_u32 s22, s26, s18
	s_addc_u32 s23, s27, s19
	s_clause 0x1
	s_load_b32 s47, s[22:23], 0x0
	s_load_b32 s46, s[20:21], 0x0
	s_waitcnt lgkmcnt(0)
	s_ashr_i32 s0, s47, 31
	s_delay_alu instid0(SALU_CYCLE_1) | instskip(NEXT) | instid1(VALU_DEP_1)
	v_or_b32_e32 v3, s0, v14
	v_cmpx_ne_u64_e32 0, v[2:3]
	s_xor_b32 s14, exec_lo, s14
	s_cbranch_execz .LBB8_38
; %bb.37:                               ;   in Loop: Header=BB8_24 Depth=2
	s_add_u32 s22, s47, s0
	s_mov_b32 s20, s0
	s_mov_b32 s21, s0
	s_addc_u32 s23, s0, s0
	v_ashrrev_i32_e32 v20, 31, v14
	s_xor_b64 s[22:23], s[22:23], s[20:21]
	s_delay_alu instid0(SALU_CYCLE_1) | instskip(SKIP_3) | instid1(VALU_DEP_1)
	v_cvt_f32_u32_e32 v3, s22
	v_cvt_f32_u32_e32 v5, s23
	s_sub_u32 s0, 0, s22
	s_subb_u32 s17, 0, s23
	v_fmac_f32_e32 v3, 0x4f800000, v5
	s_delay_alu instid0(VALU_DEP_1) | instskip(SKIP_2) | instid1(VALU_DEP_1)
	v_rcp_f32_e32 v3, v3
	s_waitcnt_depctr 0xfff
	v_mul_f32_e32 v3, 0x5f7ffffc, v3
	v_mul_f32_e32 v5, 0x2f800000, v3
	s_delay_alu instid0(VALU_DEP_1) | instskip(NEXT) | instid1(VALU_DEP_1)
	v_trunc_f32_e32 v5, v5
	v_fmac_f32_e32 v3, 0xcf800000, v5
	v_cvt_u32_f32_e32 v5, v5
	s_delay_alu instid0(VALU_DEP_2) | instskip(NEXT) | instid1(VALU_DEP_2)
	v_cvt_u32_f32_e32 v3, v3
	v_mul_lo_u32 v8, s0, v5
	s_delay_alu instid0(VALU_DEP_2) | instskip(SKIP_1) | instid1(VALU_DEP_2)
	v_mul_hi_u32 v10, s0, v3
	v_mul_lo_u32 v12, s17, v3
	v_add_nc_u32_e32 v8, v10, v8
	v_mul_lo_u32 v10, s0, v3
	s_delay_alu instid0(VALU_DEP_2) | instskip(NEXT) | instid1(VALU_DEP_2)
	v_add_nc_u32_e32 v8, v8, v12
	v_mul_hi_u32 v12, v3, v10
	s_delay_alu instid0(VALU_DEP_2)
	v_mul_lo_u32 v15, v3, v8
	v_mul_hi_u32 v16, v3, v8
	v_mul_hi_u32 v17, v5, v10
	v_mul_lo_u32 v10, v5, v10
	v_mul_hi_u32 v18, v5, v8
	v_mul_lo_u32 v8, v5, v8
	v_add_co_u32 v12, vcc_lo, v12, v15
	v_add_co_ci_u32_e32 v15, vcc_lo, 0, v16, vcc_lo
	s_delay_alu instid0(VALU_DEP_2) | instskip(NEXT) | instid1(VALU_DEP_2)
	v_add_co_u32 v10, vcc_lo, v12, v10
	v_add_co_ci_u32_e32 v10, vcc_lo, v15, v17, vcc_lo
	v_add_co_ci_u32_e32 v12, vcc_lo, 0, v18, vcc_lo
	s_delay_alu instid0(VALU_DEP_2) | instskip(NEXT) | instid1(VALU_DEP_2)
	v_add_co_u32 v8, vcc_lo, v10, v8
	v_add_co_ci_u32_e32 v10, vcc_lo, 0, v12, vcc_lo
	s_delay_alu instid0(VALU_DEP_2) | instskip(NEXT) | instid1(VALU_DEP_2)
	v_add_co_u32 v3, vcc_lo, v3, v8
	v_add_co_ci_u32_e32 v5, vcc_lo, v5, v10, vcc_lo
	s_delay_alu instid0(VALU_DEP_2) | instskip(SKIP_1) | instid1(VALU_DEP_3)
	v_mul_hi_u32 v8, s0, v3
	v_mul_lo_u32 v12, s17, v3
	v_mul_lo_u32 v10, s0, v5
	s_delay_alu instid0(VALU_DEP_1) | instskip(SKIP_1) | instid1(VALU_DEP_2)
	v_add_nc_u32_e32 v8, v8, v10
	v_mul_lo_u32 v10, s0, v3
	v_add_nc_u32_e32 v8, v8, v12
	s_delay_alu instid0(VALU_DEP_2) | instskip(NEXT) | instid1(VALU_DEP_2)
	v_mul_hi_u32 v12, v3, v10
	v_mul_lo_u32 v15, v3, v8
	v_mul_hi_u32 v16, v3, v8
	v_mul_hi_u32 v17, v5, v10
	v_mul_lo_u32 v10, v5, v10
	v_mul_hi_u32 v18, v5, v8
	v_mul_lo_u32 v8, v5, v8
	v_add_co_u32 v12, vcc_lo, v12, v15
	v_add_co_ci_u32_e32 v15, vcc_lo, 0, v16, vcc_lo
	s_delay_alu instid0(VALU_DEP_2) | instskip(NEXT) | instid1(VALU_DEP_2)
	v_add_co_u32 v10, vcc_lo, v12, v10
	v_add_co_ci_u32_e32 v10, vcc_lo, v15, v17, vcc_lo
	v_add_co_ci_u32_e32 v12, vcc_lo, 0, v18, vcc_lo
	v_add_co_u32 v15, vcc_lo, v13, v20
	v_add_co_ci_u32_e32 v14, vcc_lo, v14, v20, vcc_lo
	s_delay_alu instid0(VALU_DEP_4) | instskip(NEXT) | instid1(VALU_DEP_4)
	v_add_co_u32 v8, vcc_lo, v10, v8
	v_add_co_ci_u32_e32 v10, vcc_lo, 0, v12, vcc_lo
	s_delay_alu instid0(VALU_DEP_4) | instskip(NEXT) | instid1(VALU_DEP_3)
	v_xor_b32_e32 v12, v15, v20
	v_add_co_u32 v3, vcc_lo, v3, v8
	s_delay_alu instid0(VALU_DEP_3) | instskip(SKIP_1) | instid1(VALU_DEP_3)
	v_add_co_ci_u32_e32 v5, vcc_lo, v5, v10, vcc_lo
	v_xor_b32_e32 v8, v14, v20
	v_mul_hi_u32 v10, v12, v3
	s_delay_alu instid0(VALU_DEP_3) | instskip(NEXT) | instid1(VALU_DEP_3)
	v_mad_u64_u32 v[14:15], null, v12, v5, 0
	v_mad_u64_u32 v[16:17], null, v8, v3, 0
	;; [unrolled: 1-line block ×3, first 2 shown]
	s_delay_alu instid0(VALU_DEP_3) | instskip(NEXT) | instid1(VALU_DEP_4)
	v_add_co_u32 v3, vcc_lo, v10, v14
	v_add_co_ci_u32_e32 v5, vcc_lo, 0, v15, vcc_lo
	s_delay_alu instid0(VALU_DEP_2) | instskip(NEXT) | instid1(VALU_DEP_2)
	v_add_co_u32 v3, vcc_lo, v3, v16
	v_add_co_ci_u32_e32 v3, vcc_lo, v5, v17, vcc_lo
	v_add_co_ci_u32_e32 v5, vcc_lo, 0, v19, vcc_lo
	s_delay_alu instid0(VALU_DEP_2) | instskip(NEXT) | instid1(VALU_DEP_2)
	v_add_co_u32 v3, vcc_lo, v3, v18
	v_add_co_ci_u32_e32 v5, vcc_lo, 0, v5, vcc_lo
	s_delay_alu instid0(VALU_DEP_2) | instskip(SKIP_1) | instid1(VALU_DEP_3)
	v_mul_lo_u32 v10, s23, v3
	v_mad_u64_u32 v[14:15], null, s22, v3, 0
	v_mul_lo_u32 v16, s22, v5
	s_delay_alu instid0(VALU_DEP_2) | instskip(NEXT) | instid1(VALU_DEP_2)
	v_sub_co_u32 v12, vcc_lo, v12, v14
	v_add3_u32 v10, v15, v16, v10
	s_delay_alu instid0(VALU_DEP_1) | instskip(NEXT) | instid1(VALU_DEP_1)
	v_sub_nc_u32_e32 v15, v8, v10
	v_subrev_co_ci_u32_e64 v14, s0, s23, v15, vcc_lo
	v_add_co_u32 v15, s0, v3, 2
	s_delay_alu instid0(VALU_DEP_1) | instskip(SKIP_3) | instid1(VALU_DEP_3)
	v_add_co_ci_u32_e64 v16, s0, 0, v5, s0
	v_sub_co_u32 v17, s0, v12, s22
	v_sub_co_ci_u32_e32 v8, vcc_lo, v8, v10, vcc_lo
	v_subrev_co_ci_u32_e64 v14, s0, 0, v14, s0
	v_cmp_le_u32_e32 vcc_lo, s22, v17
	s_delay_alu instid0(VALU_DEP_3) | instskip(SKIP_1) | instid1(VALU_DEP_4)
	v_cmp_eq_u32_e64 s0, s23, v8
	v_cndmask_b32_e64 v10, 0, -1, vcc_lo
	v_cmp_le_u32_e32 vcc_lo, s23, v14
	v_cndmask_b32_e64 v17, 0, -1, vcc_lo
	v_cmp_le_u32_e32 vcc_lo, s22, v12
	;; [unrolled: 2-line block ×3, first 2 shown]
	v_cndmask_b32_e64 v18, 0, -1, vcc_lo
	v_cmp_eq_u32_e32 vcc_lo, s23, v14
	s_delay_alu instid0(VALU_DEP_2) | instskip(SKIP_3) | instid1(VALU_DEP_3)
	v_cndmask_b32_e64 v8, v18, v12, s0
	v_cndmask_b32_e32 v10, v17, v10, vcc_lo
	v_add_co_u32 v14, vcc_lo, v3, 1
	v_add_co_ci_u32_e32 v17, vcc_lo, 0, v5, vcc_lo
	v_cmp_ne_u32_e32 vcc_lo, 0, v10
	s_delay_alu instid0(VALU_DEP_2) | instskip(NEXT) | instid1(VALU_DEP_4)
	v_cndmask_b32_e32 v10, v17, v16, vcc_lo
	v_cndmask_b32_e32 v12, v14, v15, vcc_lo
	v_cmp_ne_u32_e32 vcc_lo, 0, v8
	v_xor_b32_e32 v8, s20, v20
	s_delay_alu instid0(VALU_DEP_4) | instskip(NEXT) | instid1(VALU_DEP_4)
	v_cndmask_b32_e32 v5, v5, v10, vcc_lo
	v_cndmask_b32_e32 v3, v3, v12, vcc_lo
	v_xor_b32_e32 v10, s21, v20
	s_delay_alu instid0(VALU_DEP_2) | instskip(NEXT) | instid1(VALU_DEP_2)
	v_xor_b32_e32 v3, v3, v8
	v_xor_b32_e32 v5, v5, v10
	s_delay_alu instid0(VALU_DEP_2) | instskip(NEXT) | instid1(VALU_DEP_2)
	v_sub_co_u32 v15, vcc_lo, v3, v8
	v_sub_co_ci_u32_e32 v16, vcc_lo, v5, v10, vcc_lo
.LBB8_38:                               ;   in Loop: Header=BB8_24 Depth=2
	s_and_not1_saveexec_b32 s0, s14
	s_cbranch_execz .LBB8_40
; %bb.39:                               ;   in Loop: Header=BB8_24 Depth=2
	v_cvt_f32_u32_e32 v3, s47
	s_sub_i32 s14, 0, s47
	v_mov_b32_e32 v16, v2
	s_delay_alu instid0(VALU_DEP_2) | instskip(SKIP_2) | instid1(VALU_DEP_1)
	v_rcp_iflag_f32_e32 v3, v3
	s_waitcnt_depctr 0xfff
	v_mul_f32_e32 v3, 0x4f7ffffe, v3
	v_cvt_u32_f32_e32 v3, v3
	s_delay_alu instid0(VALU_DEP_1) | instskip(NEXT) | instid1(VALU_DEP_1)
	v_mul_lo_u32 v5, s14, v3
	v_mul_hi_u32 v5, v3, v5
	s_delay_alu instid0(VALU_DEP_1) | instskip(NEXT) | instid1(VALU_DEP_1)
	v_add_nc_u32_e32 v3, v3, v5
	v_mul_hi_u32 v3, v13, v3
	s_delay_alu instid0(VALU_DEP_1) | instskip(NEXT) | instid1(VALU_DEP_1)
	v_mul_lo_u32 v5, v3, s47
	v_sub_nc_u32_e32 v5, v13, v5
	s_delay_alu instid0(VALU_DEP_1) | instskip(SKIP_1) | instid1(VALU_DEP_2)
	v_subrev_nc_u32_e32 v10, s47, v5
	v_cmp_le_u32_e32 vcc_lo, s47, v5
	v_dual_cndmask_b32 v5, v5, v10 :: v_dual_add_nc_u32 v8, 1, v3
	s_delay_alu instid0(VALU_DEP_1) | instskip(NEXT) | instid1(VALU_DEP_2)
	v_cndmask_b32_e32 v3, v3, v8, vcc_lo
	v_cmp_le_u32_e32 vcc_lo, s47, v5
	s_delay_alu instid0(VALU_DEP_2) | instskip(NEXT) | instid1(VALU_DEP_1)
	v_add_nc_u32_e32 v8, 1, v3
	v_cndmask_b32_e32 v15, v3, v8, vcc_lo
.LBB8_40:                               ;   in Loop: Header=BB8_24 Depth=2
	s_or_b32 exec_lo, exec_lo, s0
	s_add_u32 s20, s30, s18
	s_addc_u32 s21, s1, s19
	s_add_i32 s14, s16, 3
                                        ; implicit-def: $vgpr17_vgpr18
	s_delay_alu instid0(SALU_CYCLE_1)
	s_lshl_b64 s[18:19], s[14:15], 2
	s_mov_b32 s14, exec_lo
	s_add_u32 s22, s26, s18
	s_addc_u32 s23, s27, s19
	s_clause 0x1
	s_load_b32 s49, s[22:23], 0x0
	s_load_b32 s48, s[20:21], 0x0
	s_waitcnt lgkmcnt(0)
	s_ashr_i32 s0, s49, 31
	s_delay_alu instid0(SALU_CYCLE_1) | instskip(NEXT) | instid1(VALU_DEP_1)
	v_or_b32_e32 v3, s0, v16
	v_cmpx_ne_u64_e32 0, v[2:3]
	s_xor_b32 s14, exec_lo, s14
	s_cbranch_execz .LBB8_42
; %bb.41:                               ;   in Loop: Header=BB8_24 Depth=2
	s_add_u32 s22, s49, s0
	s_mov_b32 s20, s0
	s_mov_b32 s21, s0
	s_addc_u32 s23, s0, s0
	v_ashrrev_i32_e32 v22, 31, v16
	s_xor_b64 s[22:23], s[22:23], s[20:21]
	s_delay_alu instid0(SALU_CYCLE_1) | instskip(SKIP_3) | instid1(VALU_DEP_1)
	v_cvt_f32_u32_e32 v3, s22
	v_cvt_f32_u32_e32 v5, s23
	s_sub_u32 s0, 0, s22
	s_subb_u32 s17, 0, s23
	v_fmac_f32_e32 v3, 0x4f800000, v5
	s_delay_alu instid0(VALU_DEP_1) | instskip(SKIP_2) | instid1(VALU_DEP_1)
	v_rcp_f32_e32 v3, v3
	s_waitcnt_depctr 0xfff
	v_mul_f32_e32 v3, 0x5f7ffffc, v3
	v_mul_f32_e32 v5, 0x2f800000, v3
	s_delay_alu instid0(VALU_DEP_1) | instskip(NEXT) | instid1(VALU_DEP_1)
	v_trunc_f32_e32 v5, v5
	v_fmac_f32_e32 v3, 0xcf800000, v5
	v_cvt_u32_f32_e32 v5, v5
	s_delay_alu instid0(VALU_DEP_2) | instskip(NEXT) | instid1(VALU_DEP_2)
	v_cvt_u32_f32_e32 v3, v3
	v_mul_lo_u32 v8, s0, v5
	s_delay_alu instid0(VALU_DEP_2) | instskip(SKIP_1) | instid1(VALU_DEP_2)
	v_mul_hi_u32 v10, s0, v3
	v_mul_lo_u32 v12, s17, v3
	v_add_nc_u32_e32 v8, v10, v8
	v_mul_lo_u32 v10, s0, v3
	s_delay_alu instid0(VALU_DEP_2) | instskip(NEXT) | instid1(VALU_DEP_2)
	v_add_nc_u32_e32 v8, v8, v12
	v_mul_hi_u32 v12, v3, v10
	s_delay_alu instid0(VALU_DEP_2)
	v_mul_lo_u32 v14, v3, v8
	v_mul_hi_u32 v17, v3, v8
	v_mul_hi_u32 v18, v5, v10
	v_mul_lo_u32 v10, v5, v10
	v_mul_hi_u32 v19, v5, v8
	v_mul_lo_u32 v8, v5, v8
	v_add_co_u32 v12, vcc_lo, v12, v14
	v_add_co_ci_u32_e32 v14, vcc_lo, 0, v17, vcc_lo
	s_delay_alu instid0(VALU_DEP_2) | instskip(NEXT) | instid1(VALU_DEP_2)
	v_add_co_u32 v10, vcc_lo, v12, v10
	v_add_co_ci_u32_e32 v10, vcc_lo, v14, v18, vcc_lo
	v_add_co_ci_u32_e32 v12, vcc_lo, 0, v19, vcc_lo
	s_delay_alu instid0(VALU_DEP_2) | instskip(NEXT) | instid1(VALU_DEP_2)
	v_add_co_u32 v8, vcc_lo, v10, v8
	v_add_co_ci_u32_e32 v10, vcc_lo, 0, v12, vcc_lo
	s_delay_alu instid0(VALU_DEP_2) | instskip(NEXT) | instid1(VALU_DEP_2)
	v_add_co_u32 v3, vcc_lo, v3, v8
	v_add_co_ci_u32_e32 v5, vcc_lo, v5, v10, vcc_lo
	s_delay_alu instid0(VALU_DEP_2) | instskip(SKIP_1) | instid1(VALU_DEP_3)
	v_mul_hi_u32 v8, s0, v3
	v_mul_lo_u32 v12, s17, v3
	v_mul_lo_u32 v10, s0, v5
	s_delay_alu instid0(VALU_DEP_1) | instskip(SKIP_1) | instid1(VALU_DEP_2)
	v_add_nc_u32_e32 v8, v8, v10
	v_mul_lo_u32 v10, s0, v3
	v_add_nc_u32_e32 v8, v8, v12
	s_delay_alu instid0(VALU_DEP_2) | instskip(NEXT) | instid1(VALU_DEP_2)
	v_mul_hi_u32 v12, v3, v10
	v_mul_lo_u32 v14, v3, v8
	v_mul_hi_u32 v17, v3, v8
	v_mul_hi_u32 v18, v5, v10
	v_mul_lo_u32 v10, v5, v10
	v_mul_hi_u32 v19, v5, v8
	v_mul_lo_u32 v8, v5, v8
	v_add_co_u32 v12, vcc_lo, v12, v14
	v_add_co_ci_u32_e32 v14, vcc_lo, 0, v17, vcc_lo
	s_delay_alu instid0(VALU_DEP_2) | instskip(NEXT) | instid1(VALU_DEP_2)
	v_add_co_u32 v10, vcc_lo, v12, v10
	v_add_co_ci_u32_e32 v10, vcc_lo, v14, v18, vcc_lo
	v_add_co_ci_u32_e32 v12, vcc_lo, 0, v19, vcc_lo
	v_add_co_u32 v14, vcc_lo, v15, v22
	v_add_co_ci_u32_e32 v16, vcc_lo, v16, v22, vcc_lo
	s_delay_alu instid0(VALU_DEP_4) | instskip(NEXT) | instid1(VALU_DEP_4)
	v_add_co_u32 v8, vcc_lo, v10, v8
	v_add_co_ci_u32_e32 v10, vcc_lo, 0, v12, vcc_lo
	s_delay_alu instid0(VALU_DEP_4) | instskip(NEXT) | instid1(VALU_DEP_3)
	v_xor_b32_e32 v12, v14, v22
	v_add_co_u32 v3, vcc_lo, v3, v8
	s_delay_alu instid0(VALU_DEP_3) | instskip(SKIP_1) | instid1(VALU_DEP_3)
	v_add_co_ci_u32_e32 v5, vcc_lo, v5, v10, vcc_lo
	v_xor_b32_e32 v8, v16, v22
	v_mul_hi_u32 v10, v12, v3
	s_delay_alu instid0(VALU_DEP_3) | instskip(NEXT) | instid1(VALU_DEP_3)
	v_mad_u64_u32 v[16:17], null, v12, v5, 0
	v_mad_u64_u32 v[18:19], null, v8, v3, 0
	;; [unrolled: 1-line block ×3, first 2 shown]
	s_delay_alu instid0(VALU_DEP_3) | instskip(NEXT) | instid1(VALU_DEP_4)
	v_add_co_u32 v3, vcc_lo, v10, v16
	v_add_co_ci_u32_e32 v5, vcc_lo, 0, v17, vcc_lo
	s_delay_alu instid0(VALU_DEP_2) | instskip(NEXT) | instid1(VALU_DEP_2)
	v_add_co_u32 v3, vcc_lo, v3, v18
	v_add_co_ci_u32_e32 v3, vcc_lo, v5, v19, vcc_lo
	v_add_co_ci_u32_e32 v5, vcc_lo, 0, v21, vcc_lo
	s_delay_alu instid0(VALU_DEP_2) | instskip(NEXT) | instid1(VALU_DEP_2)
	v_add_co_u32 v3, vcc_lo, v3, v20
	v_add_co_ci_u32_e32 v5, vcc_lo, 0, v5, vcc_lo
	s_delay_alu instid0(VALU_DEP_2) | instskip(SKIP_1) | instid1(VALU_DEP_3)
	v_mul_lo_u32 v10, s23, v3
	v_mad_u64_u32 v[16:17], null, s22, v3, 0
	v_mul_lo_u32 v14, s22, v5
	s_delay_alu instid0(VALU_DEP_2) | instskip(NEXT) | instid1(VALU_DEP_2)
	v_sub_co_u32 v12, vcc_lo, v12, v16
	v_add3_u32 v10, v17, v14, v10
	s_delay_alu instid0(VALU_DEP_1) | instskip(NEXT) | instid1(VALU_DEP_1)
	v_sub_nc_u32_e32 v14, v8, v10
	v_subrev_co_ci_u32_e64 v14, s0, s23, v14, vcc_lo
	v_add_co_u32 v16, s0, v3, 2
	s_delay_alu instid0(VALU_DEP_1) | instskip(SKIP_3) | instid1(VALU_DEP_3)
	v_add_co_ci_u32_e64 v17, s0, 0, v5, s0
	v_sub_co_u32 v18, s0, v12, s22
	v_sub_co_ci_u32_e32 v8, vcc_lo, v8, v10, vcc_lo
	v_subrev_co_ci_u32_e64 v14, s0, 0, v14, s0
	v_cmp_le_u32_e32 vcc_lo, s22, v18
	s_delay_alu instid0(VALU_DEP_3) | instskip(SKIP_1) | instid1(VALU_DEP_4)
	v_cmp_eq_u32_e64 s0, s23, v8
	v_cndmask_b32_e64 v10, 0, -1, vcc_lo
	v_cmp_le_u32_e32 vcc_lo, s23, v14
	v_cndmask_b32_e64 v18, 0, -1, vcc_lo
	v_cmp_le_u32_e32 vcc_lo, s22, v12
	;; [unrolled: 2-line block ×3, first 2 shown]
	v_cndmask_b32_e64 v19, 0, -1, vcc_lo
	v_cmp_eq_u32_e32 vcc_lo, s23, v14
	s_delay_alu instid0(VALU_DEP_2) | instskip(SKIP_3) | instid1(VALU_DEP_3)
	v_cndmask_b32_e64 v8, v19, v12, s0
	v_cndmask_b32_e32 v10, v18, v10, vcc_lo
	v_add_co_u32 v14, vcc_lo, v3, 1
	v_add_co_ci_u32_e32 v18, vcc_lo, 0, v5, vcc_lo
	v_cmp_ne_u32_e32 vcc_lo, 0, v10
	s_delay_alu instid0(VALU_DEP_2) | instskip(NEXT) | instid1(VALU_DEP_4)
	v_cndmask_b32_e32 v10, v18, v17, vcc_lo
	v_cndmask_b32_e32 v12, v14, v16, vcc_lo
	v_cmp_ne_u32_e32 vcc_lo, 0, v8
	v_xor_b32_e32 v8, s20, v22
	s_delay_alu instid0(VALU_DEP_4) | instskip(NEXT) | instid1(VALU_DEP_4)
	v_cndmask_b32_e32 v5, v5, v10, vcc_lo
	v_cndmask_b32_e32 v3, v3, v12, vcc_lo
	v_xor_b32_e32 v10, s21, v22
	s_delay_alu instid0(VALU_DEP_2) | instskip(NEXT) | instid1(VALU_DEP_2)
	v_xor_b32_e32 v3, v3, v8
	v_xor_b32_e32 v5, v5, v10
	s_delay_alu instid0(VALU_DEP_2) | instskip(NEXT) | instid1(VALU_DEP_2)
	v_sub_co_u32 v17, vcc_lo, v3, v8
	v_sub_co_ci_u32_e32 v18, vcc_lo, v5, v10, vcc_lo
.LBB8_42:                               ;   in Loop: Header=BB8_24 Depth=2
	s_and_not1_saveexec_b32 s0, s14
	s_cbranch_execz .LBB8_44
; %bb.43:                               ;   in Loop: Header=BB8_24 Depth=2
	v_cvt_f32_u32_e32 v3, s49
	s_sub_i32 s14, 0, s49
	v_mov_b32_e32 v18, v2
	s_delay_alu instid0(VALU_DEP_2) | instskip(SKIP_2) | instid1(VALU_DEP_1)
	v_rcp_iflag_f32_e32 v3, v3
	s_waitcnt_depctr 0xfff
	v_mul_f32_e32 v3, 0x4f7ffffe, v3
	v_cvt_u32_f32_e32 v3, v3
	s_delay_alu instid0(VALU_DEP_1) | instskip(NEXT) | instid1(VALU_DEP_1)
	v_mul_lo_u32 v5, s14, v3
	v_mul_hi_u32 v5, v3, v5
	s_delay_alu instid0(VALU_DEP_1) | instskip(NEXT) | instid1(VALU_DEP_1)
	v_add_nc_u32_e32 v3, v3, v5
	v_mul_hi_u32 v3, v15, v3
	s_delay_alu instid0(VALU_DEP_1) | instskip(NEXT) | instid1(VALU_DEP_1)
	v_mul_lo_u32 v5, v3, s49
	v_sub_nc_u32_e32 v5, v15, v5
	s_delay_alu instid0(VALU_DEP_1) | instskip(SKIP_1) | instid1(VALU_DEP_2)
	v_subrev_nc_u32_e32 v10, s49, v5
	v_cmp_le_u32_e32 vcc_lo, s49, v5
	v_dual_cndmask_b32 v5, v5, v10 :: v_dual_add_nc_u32 v8, 1, v3
	s_delay_alu instid0(VALU_DEP_1) | instskip(NEXT) | instid1(VALU_DEP_2)
	v_cndmask_b32_e32 v3, v3, v8, vcc_lo
	v_cmp_le_u32_e32 vcc_lo, s49, v5
	s_delay_alu instid0(VALU_DEP_2) | instskip(NEXT) | instid1(VALU_DEP_1)
	v_add_nc_u32_e32 v8, 1, v3
	v_cndmask_b32_e32 v17, v3, v8, vcc_lo
.LBB8_44:                               ;   in Loop: Header=BB8_24 Depth=2
	s_or_b32 exec_lo, exec_lo, s0
	s_add_u32 s20, s30, s18
	s_addc_u32 s21, s1, s19
	s_add_i32 s14, s16, 2
                                        ; implicit-def: $vgpr19_vgpr20
	s_delay_alu instid0(SALU_CYCLE_1)
	s_lshl_b64 s[18:19], s[14:15], 2
	s_mov_b32 s14, exec_lo
	s_add_u32 s22, s26, s18
	s_addc_u32 s23, s27, s19
	s_clause 0x1
	s_load_b32 s51, s[22:23], 0x0
	s_load_b32 s50, s[20:21], 0x0
	s_waitcnt lgkmcnt(0)
	s_ashr_i32 s0, s51, 31
	s_delay_alu instid0(SALU_CYCLE_1) | instskip(NEXT) | instid1(VALU_DEP_1)
	v_or_b32_e32 v3, s0, v18
	v_cmpx_ne_u64_e32 0, v[2:3]
	s_xor_b32 s14, exec_lo, s14
	s_cbranch_execz .LBB8_46
; %bb.45:                               ;   in Loop: Header=BB8_24 Depth=2
	s_add_u32 s22, s51, s0
	s_mov_b32 s20, s0
	s_mov_b32 s21, s0
	s_addc_u32 s23, s0, s0
	v_ashrrev_i32_e32 v24, 31, v18
	s_xor_b64 s[22:23], s[22:23], s[20:21]
	s_delay_alu instid0(SALU_CYCLE_1) | instskip(SKIP_3) | instid1(VALU_DEP_1)
	v_cvt_f32_u32_e32 v3, s22
	v_cvt_f32_u32_e32 v5, s23
	s_sub_u32 s0, 0, s22
	s_subb_u32 s17, 0, s23
	v_fmac_f32_e32 v3, 0x4f800000, v5
	s_delay_alu instid0(VALU_DEP_1) | instskip(SKIP_2) | instid1(VALU_DEP_1)
	v_rcp_f32_e32 v3, v3
	s_waitcnt_depctr 0xfff
	v_mul_f32_e32 v3, 0x5f7ffffc, v3
	v_mul_f32_e32 v5, 0x2f800000, v3
	s_delay_alu instid0(VALU_DEP_1) | instskip(NEXT) | instid1(VALU_DEP_1)
	v_trunc_f32_e32 v5, v5
	v_fmac_f32_e32 v3, 0xcf800000, v5
	v_cvt_u32_f32_e32 v5, v5
	s_delay_alu instid0(VALU_DEP_2) | instskip(NEXT) | instid1(VALU_DEP_2)
	v_cvt_u32_f32_e32 v3, v3
	v_mul_lo_u32 v8, s0, v5
	s_delay_alu instid0(VALU_DEP_2) | instskip(SKIP_1) | instid1(VALU_DEP_2)
	v_mul_hi_u32 v10, s0, v3
	v_mul_lo_u32 v12, s17, v3
	v_add_nc_u32_e32 v8, v10, v8
	v_mul_lo_u32 v10, s0, v3
	s_delay_alu instid0(VALU_DEP_2) | instskip(NEXT) | instid1(VALU_DEP_2)
	v_add_nc_u32_e32 v8, v8, v12
	v_mul_hi_u32 v12, v3, v10
	s_delay_alu instid0(VALU_DEP_2)
	v_mul_lo_u32 v14, v3, v8
	v_mul_hi_u32 v16, v3, v8
	v_mul_hi_u32 v19, v5, v10
	v_mul_lo_u32 v10, v5, v10
	v_mul_hi_u32 v20, v5, v8
	v_mul_lo_u32 v8, v5, v8
	v_add_co_u32 v12, vcc_lo, v12, v14
	v_add_co_ci_u32_e32 v14, vcc_lo, 0, v16, vcc_lo
	s_delay_alu instid0(VALU_DEP_2) | instskip(NEXT) | instid1(VALU_DEP_2)
	v_add_co_u32 v10, vcc_lo, v12, v10
	v_add_co_ci_u32_e32 v10, vcc_lo, v14, v19, vcc_lo
	v_add_co_ci_u32_e32 v12, vcc_lo, 0, v20, vcc_lo
	s_delay_alu instid0(VALU_DEP_2) | instskip(NEXT) | instid1(VALU_DEP_2)
	v_add_co_u32 v8, vcc_lo, v10, v8
	v_add_co_ci_u32_e32 v10, vcc_lo, 0, v12, vcc_lo
	s_delay_alu instid0(VALU_DEP_2) | instskip(NEXT) | instid1(VALU_DEP_2)
	v_add_co_u32 v3, vcc_lo, v3, v8
	v_add_co_ci_u32_e32 v5, vcc_lo, v5, v10, vcc_lo
	s_delay_alu instid0(VALU_DEP_2) | instskip(SKIP_1) | instid1(VALU_DEP_3)
	v_mul_hi_u32 v8, s0, v3
	v_mul_lo_u32 v12, s17, v3
	v_mul_lo_u32 v10, s0, v5
	s_delay_alu instid0(VALU_DEP_1) | instskip(SKIP_1) | instid1(VALU_DEP_2)
	v_add_nc_u32_e32 v8, v8, v10
	v_mul_lo_u32 v10, s0, v3
	v_add_nc_u32_e32 v8, v8, v12
	s_delay_alu instid0(VALU_DEP_2) | instskip(NEXT) | instid1(VALU_DEP_2)
	v_mul_hi_u32 v12, v3, v10
	v_mul_lo_u32 v14, v3, v8
	v_mul_hi_u32 v16, v3, v8
	v_mul_hi_u32 v19, v5, v10
	v_mul_lo_u32 v10, v5, v10
	v_mul_hi_u32 v20, v5, v8
	v_mul_lo_u32 v8, v5, v8
	v_add_co_u32 v12, vcc_lo, v12, v14
	v_add_co_ci_u32_e32 v14, vcc_lo, 0, v16, vcc_lo
	s_delay_alu instid0(VALU_DEP_2) | instskip(NEXT) | instid1(VALU_DEP_2)
	v_add_co_u32 v10, vcc_lo, v12, v10
	v_add_co_ci_u32_e32 v10, vcc_lo, v14, v19, vcc_lo
	v_add_co_ci_u32_e32 v12, vcc_lo, 0, v20, vcc_lo
	v_add_co_u32 v14, vcc_lo, v17, v24
	v_add_co_ci_u32_e32 v16, vcc_lo, v18, v24, vcc_lo
	s_delay_alu instid0(VALU_DEP_4) | instskip(NEXT) | instid1(VALU_DEP_4)
	v_add_co_u32 v8, vcc_lo, v10, v8
	v_add_co_ci_u32_e32 v10, vcc_lo, 0, v12, vcc_lo
	s_delay_alu instid0(VALU_DEP_4) | instskip(NEXT) | instid1(VALU_DEP_3)
	v_xor_b32_e32 v12, v14, v24
	v_add_co_u32 v3, vcc_lo, v3, v8
	s_delay_alu instid0(VALU_DEP_3) | instskip(SKIP_1) | instid1(VALU_DEP_3)
	v_add_co_ci_u32_e32 v5, vcc_lo, v5, v10, vcc_lo
	v_xor_b32_e32 v8, v16, v24
	v_mul_hi_u32 v10, v12, v3
	s_delay_alu instid0(VALU_DEP_3) | instskip(NEXT) | instid1(VALU_DEP_3)
	v_mad_u64_u32 v[18:19], null, v12, v5, 0
	v_mad_u64_u32 v[20:21], null, v8, v3, 0
	;; [unrolled: 1-line block ×3, first 2 shown]
	s_delay_alu instid0(VALU_DEP_3) | instskip(NEXT) | instid1(VALU_DEP_4)
	v_add_co_u32 v3, vcc_lo, v10, v18
	v_add_co_ci_u32_e32 v5, vcc_lo, 0, v19, vcc_lo
	s_delay_alu instid0(VALU_DEP_2) | instskip(NEXT) | instid1(VALU_DEP_2)
	v_add_co_u32 v3, vcc_lo, v3, v20
	v_add_co_ci_u32_e32 v3, vcc_lo, v5, v21, vcc_lo
	v_add_co_ci_u32_e32 v5, vcc_lo, 0, v23, vcc_lo
	s_delay_alu instid0(VALU_DEP_2) | instskip(NEXT) | instid1(VALU_DEP_2)
	v_add_co_u32 v3, vcc_lo, v3, v22
	v_add_co_ci_u32_e32 v5, vcc_lo, 0, v5, vcc_lo
	s_delay_alu instid0(VALU_DEP_2) | instskip(SKIP_1) | instid1(VALU_DEP_3)
	v_mul_lo_u32 v10, s23, v3
	v_mad_u64_u32 v[18:19], null, s22, v3, 0
	v_mul_lo_u32 v14, s22, v5
	s_delay_alu instid0(VALU_DEP_2) | instskip(NEXT) | instid1(VALU_DEP_2)
	v_sub_co_u32 v12, vcc_lo, v12, v18
	v_add3_u32 v10, v19, v14, v10
	s_delay_alu instid0(VALU_DEP_1) | instskip(NEXT) | instid1(VALU_DEP_1)
	v_sub_nc_u32_e32 v14, v8, v10
	v_subrev_co_ci_u32_e64 v14, s0, s23, v14, vcc_lo
	v_add_co_u32 v16, s0, v3, 2
	s_delay_alu instid0(VALU_DEP_1) | instskip(SKIP_3) | instid1(VALU_DEP_3)
	v_add_co_ci_u32_e64 v18, s0, 0, v5, s0
	v_sub_co_u32 v19, s0, v12, s22
	v_sub_co_ci_u32_e32 v8, vcc_lo, v8, v10, vcc_lo
	v_subrev_co_ci_u32_e64 v14, s0, 0, v14, s0
	v_cmp_le_u32_e32 vcc_lo, s22, v19
	s_delay_alu instid0(VALU_DEP_3) | instskip(SKIP_1) | instid1(VALU_DEP_4)
	v_cmp_eq_u32_e64 s0, s23, v8
	v_cndmask_b32_e64 v10, 0, -1, vcc_lo
	v_cmp_le_u32_e32 vcc_lo, s23, v14
	v_cndmask_b32_e64 v19, 0, -1, vcc_lo
	v_cmp_le_u32_e32 vcc_lo, s22, v12
	;; [unrolled: 2-line block ×3, first 2 shown]
	v_cndmask_b32_e64 v20, 0, -1, vcc_lo
	v_cmp_eq_u32_e32 vcc_lo, s23, v14
	s_delay_alu instid0(VALU_DEP_2) | instskip(SKIP_3) | instid1(VALU_DEP_3)
	v_cndmask_b32_e64 v8, v20, v12, s0
	v_cndmask_b32_e32 v10, v19, v10, vcc_lo
	v_add_co_u32 v14, vcc_lo, v3, 1
	v_add_co_ci_u32_e32 v19, vcc_lo, 0, v5, vcc_lo
	v_cmp_ne_u32_e32 vcc_lo, 0, v10
	s_delay_alu instid0(VALU_DEP_2) | instskip(NEXT) | instid1(VALU_DEP_4)
	v_cndmask_b32_e32 v10, v19, v18, vcc_lo
	v_cndmask_b32_e32 v12, v14, v16, vcc_lo
	v_cmp_ne_u32_e32 vcc_lo, 0, v8
	v_xor_b32_e32 v8, s20, v24
	s_delay_alu instid0(VALU_DEP_4) | instskip(NEXT) | instid1(VALU_DEP_4)
	v_cndmask_b32_e32 v5, v5, v10, vcc_lo
	v_cndmask_b32_e32 v3, v3, v12, vcc_lo
	v_xor_b32_e32 v10, s21, v24
	s_delay_alu instid0(VALU_DEP_2) | instskip(NEXT) | instid1(VALU_DEP_2)
	v_xor_b32_e32 v3, v3, v8
	v_xor_b32_e32 v5, v5, v10
	s_delay_alu instid0(VALU_DEP_2) | instskip(NEXT) | instid1(VALU_DEP_2)
	v_sub_co_u32 v19, vcc_lo, v3, v8
	v_sub_co_ci_u32_e32 v20, vcc_lo, v5, v10, vcc_lo
.LBB8_46:                               ;   in Loop: Header=BB8_24 Depth=2
	s_and_not1_saveexec_b32 s0, s14
	s_cbranch_execz .LBB8_48
; %bb.47:                               ;   in Loop: Header=BB8_24 Depth=2
	v_cvt_f32_u32_e32 v3, s51
	s_sub_i32 s14, 0, s51
	v_mov_b32_e32 v20, v2
	s_delay_alu instid0(VALU_DEP_2) | instskip(SKIP_2) | instid1(VALU_DEP_1)
	v_rcp_iflag_f32_e32 v3, v3
	s_waitcnt_depctr 0xfff
	v_mul_f32_e32 v3, 0x4f7ffffe, v3
	v_cvt_u32_f32_e32 v3, v3
	s_delay_alu instid0(VALU_DEP_1) | instskip(NEXT) | instid1(VALU_DEP_1)
	v_mul_lo_u32 v5, s14, v3
	v_mul_hi_u32 v5, v3, v5
	s_delay_alu instid0(VALU_DEP_1) | instskip(NEXT) | instid1(VALU_DEP_1)
	v_add_nc_u32_e32 v3, v3, v5
	v_mul_hi_u32 v3, v17, v3
	s_delay_alu instid0(VALU_DEP_1) | instskip(NEXT) | instid1(VALU_DEP_1)
	v_mul_lo_u32 v5, v3, s51
	v_sub_nc_u32_e32 v5, v17, v5
	s_delay_alu instid0(VALU_DEP_1) | instskip(SKIP_1) | instid1(VALU_DEP_2)
	v_subrev_nc_u32_e32 v10, s51, v5
	v_cmp_le_u32_e32 vcc_lo, s51, v5
	v_dual_cndmask_b32 v5, v5, v10 :: v_dual_add_nc_u32 v8, 1, v3
	s_delay_alu instid0(VALU_DEP_1) | instskip(NEXT) | instid1(VALU_DEP_2)
	v_cndmask_b32_e32 v3, v3, v8, vcc_lo
	v_cmp_le_u32_e32 vcc_lo, s51, v5
	s_delay_alu instid0(VALU_DEP_2) | instskip(NEXT) | instid1(VALU_DEP_1)
	v_add_nc_u32_e32 v8, 1, v3
	v_cndmask_b32_e32 v19, v3, v8, vcc_lo
.LBB8_48:                               ;   in Loop: Header=BB8_24 Depth=2
	s_or_b32 exec_lo, exec_lo, s0
	s_add_u32 s20, s30, s18
	s_addc_u32 s21, s1, s19
	s_add_i32 s14, s16, 1
	s_mov_b32 s17, exec_lo
	s_lshl_b64 s[18:19], s[14:15], 2
                                        ; implicit-def: $vgpr21_vgpr22
	s_delay_alu instid0(SALU_CYCLE_1)
	s_add_u32 s22, s26, s18
	s_addc_u32 s23, s27, s19
	s_clause 0x1
	s_load_b32 s52, s[22:23], 0x0
	s_load_b32 s14, s[20:21], 0x0
	s_waitcnt lgkmcnt(0)
	s_ashr_i32 s0, s52, 31
	s_delay_alu instid0(SALU_CYCLE_1) | instskip(NEXT) | instid1(VALU_DEP_1)
	v_or_b32_e32 v3, s0, v20
	v_cmpx_ne_u64_e32 0, v[2:3]
	s_xor_b32 s17, exec_lo, s17
	s_cbranch_execz .LBB8_50
; %bb.49:                               ;   in Loop: Header=BB8_24 Depth=2
	s_add_u32 s22, s52, s0
	s_mov_b32 s20, s0
	s_mov_b32 s21, s0
	s_addc_u32 s23, s0, s0
	s_delay_alu instid0(SALU_CYCLE_1) | instskip(NEXT) | instid1(SALU_CYCLE_1)
	s_xor_b64 s[22:23], s[22:23], s[20:21]
	v_cvt_f32_u32_e32 v3, s22
	v_cvt_f32_u32_e32 v5, s23
	s_sub_u32 s0, 0, s22
	s_subb_u32 s53, 0, s23
	s_delay_alu instid0(VALU_DEP_1) | instskip(NEXT) | instid1(VALU_DEP_1)
	v_fmac_f32_e32 v3, 0x4f800000, v5
	v_rcp_f32_e32 v3, v3
	s_waitcnt_depctr 0xfff
	v_mul_f32_e32 v3, 0x5f7ffffc, v3
	s_delay_alu instid0(VALU_DEP_1) | instskip(NEXT) | instid1(VALU_DEP_1)
	v_mul_f32_e32 v5, 0x2f800000, v3
	v_trunc_f32_e32 v5, v5
	s_delay_alu instid0(VALU_DEP_1) | instskip(SKIP_1) | instid1(VALU_DEP_2)
	v_fmac_f32_e32 v3, 0xcf800000, v5
	v_cvt_u32_f32_e32 v5, v5
	v_cvt_u32_f32_e32 v3, v3
	s_delay_alu instid0(VALU_DEP_2) | instskip(NEXT) | instid1(VALU_DEP_2)
	v_mul_lo_u32 v8, s0, v5
	v_mul_hi_u32 v10, s0, v3
	v_mul_lo_u32 v12, s53, v3
	s_delay_alu instid0(VALU_DEP_2) | instskip(SKIP_1) | instid1(VALU_DEP_2)
	v_add_nc_u32_e32 v8, v10, v8
	v_mul_lo_u32 v10, s0, v3
	v_add_nc_u32_e32 v8, v8, v12
	s_delay_alu instid0(VALU_DEP_2) | instskip(NEXT) | instid1(VALU_DEP_2)
	v_mul_hi_u32 v12, v3, v10
	v_mul_lo_u32 v14, v3, v8
	v_mul_hi_u32 v16, v3, v8
	v_mul_hi_u32 v18, v5, v10
	v_mul_lo_u32 v10, v5, v10
	v_mul_hi_u32 v21, v5, v8
	v_mul_lo_u32 v8, v5, v8
	v_add_co_u32 v12, vcc_lo, v12, v14
	v_add_co_ci_u32_e32 v14, vcc_lo, 0, v16, vcc_lo
	s_delay_alu instid0(VALU_DEP_2) | instskip(NEXT) | instid1(VALU_DEP_2)
	v_add_co_u32 v10, vcc_lo, v12, v10
	v_add_co_ci_u32_e32 v10, vcc_lo, v14, v18, vcc_lo
	v_add_co_ci_u32_e32 v12, vcc_lo, 0, v21, vcc_lo
	v_ashrrev_i32_e32 v18, 31, v20
	s_delay_alu instid0(VALU_DEP_3) | instskip(NEXT) | instid1(VALU_DEP_3)
	v_add_co_u32 v8, vcc_lo, v10, v8
	v_add_co_ci_u32_e32 v10, vcc_lo, 0, v12, vcc_lo
	s_delay_alu instid0(VALU_DEP_2) | instskip(NEXT) | instid1(VALU_DEP_2)
	v_add_co_u32 v3, vcc_lo, v3, v8
	v_add_co_ci_u32_e32 v5, vcc_lo, v5, v10, vcc_lo
	s_delay_alu instid0(VALU_DEP_2) | instskip(SKIP_1) | instid1(VALU_DEP_3)
	v_mul_hi_u32 v8, s0, v3
	v_mul_lo_u32 v12, s53, v3
	v_mul_lo_u32 v10, s0, v5
	s_delay_alu instid0(VALU_DEP_1) | instskip(SKIP_1) | instid1(VALU_DEP_2)
	v_add_nc_u32_e32 v8, v8, v10
	v_mul_lo_u32 v10, s0, v3
	v_add_nc_u32_e32 v8, v8, v12
	s_delay_alu instid0(VALU_DEP_2) | instskip(NEXT) | instid1(VALU_DEP_2)
	v_mul_hi_u32 v12, v3, v10
	v_mul_lo_u32 v14, v3, v8
	v_mul_hi_u32 v16, v3, v8
	v_mul_hi_u32 v21, v5, v10
	v_mul_lo_u32 v10, v5, v10
	v_mul_hi_u32 v22, v5, v8
	v_mul_lo_u32 v8, v5, v8
	v_add_co_u32 v12, vcc_lo, v12, v14
	v_add_co_ci_u32_e32 v14, vcc_lo, 0, v16, vcc_lo
	s_delay_alu instid0(VALU_DEP_2) | instskip(NEXT) | instid1(VALU_DEP_2)
	v_add_co_u32 v10, vcc_lo, v12, v10
	v_add_co_ci_u32_e32 v10, vcc_lo, v14, v21, vcc_lo
	v_add_co_ci_u32_e32 v12, vcc_lo, 0, v22, vcc_lo
	v_add_co_u32 v14, vcc_lo, v19, v18
	v_add_co_ci_u32_e32 v16, vcc_lo, v20, v18, vcc_lo
	s_delay_alu instid0(VALU_DEP_4) | instskip(NEXT) | instid1(VALU_DEP_4)
	v_add_co_u32 v8, vcc_lo, v10, v8
	v_add_co_ci_u32_e32 v10, vcc_lo, 0, v12, vcc_lo
	s_delay_alu instid0(VALU_DEP_4) | instskip(NEXT) | instid1(VALU_DEP_3)
	v_xor_b32_e32 v12, v14, v18
	v_add_co_u32 v3, vcc_lo, v3, v8
	s_delay_alu instid0(VALU_DEP_3) | instskip(SKIP_1) | instid1(VALU_DEP_3)
	v_add_co_ci_u32_e32 v5, vcc_lo, v5, v10, vcc_lo
	v_xor_b32_e32 v8, v16, v18
	v_mul_hi_u32 v10, v12, v3
	s_delay_alu instid0(VALU_DEP_3) | instskip(NEXT) | instid1(VALU_DEP_3)
	v_mad_u64_u32 v[20:21], null, v12, v5, 0
	v_mad_u64_u32 v[22:23], null, v8, v3, 0
	;; [unrolled: 1-line block ×3, first 2 shown]
	s_delay_alu instid0(VALU_DEP_3) | instskip(NEXT) | instid1(VALU_DEP_4)
	v_add_co_u32 v3, vcc_lo, v10, v20
	v_add_co_ci_u32_e32 v5, vcc_lo, 0, v21, vcc_lo
	s_delay_alu instid0(VALU_DEP_2) | instskip(NEXT) | instid1(VALU_DEP_2)
	v_add_co_u32 v3, vcc_lo, v3, v22
	v_add_co_ci_u32_e32 v3, vcc_lo, v5, v23, vcc_lo
	v_add_co_ci_u32_e32 v5, vcc_lo, 0, v29, vcc_lo
	s_delay_alu instid0(VALU_DEP_2) | instskip(NEXT) | instid1(VALU_DEP_2)
	v_add_co_u32 v3, vcc_lo, v3, v28
	v_add_co_ci_u32_e32 v5, vcc_lo, 0, v5, vcc_lo
	s_delay_alu instid0(VALU_DEP_2) | instskip(SKIP_1) | instid1(VALU_DEP_3)
	v_mul_lo_u32 v10, s23, v3
	v_mad_u64_u32 v[20:21], null, s22, v3, 0
	v_mul_lo_u32 v14, s22, v5
	s_delay_alu instid0(VALU_DEP_2) | instskip(NEXT) | instid1(VALU_DEP_2)
	v_sub_co_u32 v12, vcc_lo, v12, v20
	v_add3_u32 v10, v21, v14, v10
	s_delay_alu instid0(VALU_DEP_1) | instskip(NEXT) | instid1(VALU_DEP_1)
	v_sub_nc_u32_e32 v14, v8, v10
	v_subrev_co_ci_u32_e64 v14, s0, s23, v14, vcc_lo
	v_add_co_u32 v16, s0, v3, 2
	s_delay_alu instid0(VALU_DEP_1) | instskip(SKIP_3) | instid1(VALU_DEP_3)
	v_add_co_ci_u32_e64 v20, s0, 0, v5, s0
	v_sub_co_u32 v21, s0, v12, s22
	v_sub_co_ci_u32_e32 v8, vcc_lo, v8, v10, vcc_lo
	v_subrev_co_ci_u32_e64 v14, s0, 0, v14, s0
	v_cmp_le_u32_e32 vcc_lo, s22, v21
	s_delay_alu instid0(VALU_DEP_3) | instskip(SKIP_1) | instid1(VALU_DEP_4)
	v_cmp_eq_u32_e64 s0, s23, v8
	v_cndmask_b32_e64 v10, 0, -1, vcc_lo
	v_cmp_le_u32_e32 vcc_lo, s23, v14
	v_cndmask_b32_e64 v21, 0, -1, vcc_lo
	v_cmp_le_u32_e32 vcc_lo, s22, v12
	;; [unrolled: 2-line block ×3, first 2 shown]
	v_cndmask_b32_e64 v22, 0, -1, vcc_lo
	v_cmp_eq_u32_e32 vcc_lo, s23, v14
	s_delay_alu instid0(VALU_DEP_2) | instskip(SKIP_3) | instid1(VALU_DEP_3)
	v_cndmask_b32_e64 v8, v22, v12, s0
	v_cndmask_b32_e32 v10, v21, v10, vcc_lo
	v_add_co_u32 v14, vcc_lo, v3, 1
	v_add_co_ci_u32_e32 v21, vcc_lo, 0, v5, vcc_lo
	v_cmp_ne_u32_e32 vcc_lo, 0, v10
	s_delay_alu instid0(VALU_DEP_2) | instskip(NEXT) | instid1(VALU_DEP_4)
	v_cndmask_b32_e32 v10, v21, v20, vcc_lo
	v_cndmask_b32_e32 v12, v14, v16, vcc_lo
	v_cmp_ne_u32_e32 vcc_lo, 0, v8
	v_xor_b32_e32 v8, s20, v18
	s_delay_alu instid0(VALU_DEP_4) | instskip(NEXT) | instid1(VALU_DEP_4)
	v_cndmask_b32_e32 v5, v5, v10, vcc_lo
	v_cndmask_b32_e32 v3, v3, v12, vcc_lo
	v_xor_b32_e32 v10, s21, v18
	s_delay_alu instid0(VALU_DEP_2) | instskip(NEXT) | instid1(VALU_DEP_2)
	v_xor_b32_e32 v3, v3, v8
	v_xor_b32_e32 v5, v5, v10
	s_delay_alu instid0(VALU_DEP_2) | instskip(NEXT) | instid1(VALU_DEP_2)
	v_sub_co_u32 v21, vcc_lo, v3, v8
	v_sub_co_ci_u32_e32 v22, vcc_lo, v5, v10, vcc_lo
.LBB8_50:                               ;   in Loop: Header=BB8_24 Depth=2
	s_and_not1_saveexec_b32 s0, s17
	s_cbranch_execz .LBB8_52
; %bb.51:                               ;   in Loop: Header=BB8_24 Depth=2
	v_cvt_f32_u32_e32 v3, s52
	s_sub_i32 s17, 0, s52
	v_mov_b32_e32 v22, v2
	s_delay_alu instid0(VALU_DEP_2) | instskip(SKIP_2) | instid1(VALU_DEP_1)
	v_rcp_iflag_f32_e32 v3, v3
	s_waitcnt_depctr 0xfff
	v_mul_f32_e32 v3, 0x4f7ffffe, v3
	v_cvt_u32_f32_e32 v3, v3
	s_delay_alu instid0(VALU_DEP_1) | instskip(NEXT) | instid1(VALU_DEP_1)
	v_mul_lo_u32 v5, s17, v3
	v_mul_hi_u32 v5, v3, v5
	s_delay_alu instid0(VALU_DEP_1) | instskip(NEXT) | instid1(VALU_DEP_1)
	v_add_nc_u32_e32 v3, v3, v5
	v_mul_hi_u32 v3, v19, v3
	s_delay_alu instid0(VALU_DEP_1) | instskip(NEXT) | instid1(VALU_DEP_1)
	v_mul_lo_u32 v5, v3, s52
	v_sub_nc_u32_e32 v5, v19, v5
	s_delay_alu instid0(VALU_DEP_1) | instskip(SKIP_1) | instid1(VALU_DEP_2)
	v_subrev_nc_u32_e32 v10, s52, v5
	v_cmp_le_u32_e32 vcc_lo, s52, v5
	v_dual_cndmask_b32 v5, v5, v10 :: v_dual_add_nc_u32 v8, 1, v3
	s_delay_alu instid0(VALU_DEP_1) | instskip(NEXT) | instid1(VALU_DEP_2)
	v_cndmask_b32_e32 v3, v3, v8, vcc_lo
	v_cmp_le_u32_e32 vcc_lo, s52, v5
	s_delay_alu instid0(VALU_DEP_2) | instskip(NEXT) | instid1(VALU_DEP_1)
	v_add_nc_u32_e32 v8, 1, v3
	v_cndmask_b32_e32 v21, v3, v8, vcc_lo
.LBB8_52:                               ;   in Loop: Header=BB8_24 Depth=2
	s_or_b32 exec_lo, exec_lo, s0
	s_mov_b32 s17, s15
	s_add_u32 s20, s30, s18
	s_addc_u32 s21, s1, s19
	s_lshl_b64 s[18:19], s[16:17], 2
                                        ; implicit-def: $vgpr23_vgpr24
	s_delay_alu instid0(SALU_CYCLE_1)
	s_add_u32 s22, s26, s18
	s_addc_u32 s23, s27, s19
	s_clause 0x1
	s_load_b32 s53, s[22:23], 0x0
	s_load_b32 s17, s[20:21], 0x0
	s_mov_b32 s20, exec_lo
	s_waitcnt lgkmcnt(0)
	s_ashr_i32 s0, s53, 31
	s_delay_alu instid0(SALU_CYCLE_1) | instskip(NEXT) | instid1(VALU_DEP_1)
	v_or_b32_e32 v3, s0, v22
	v_cmpx_ne_u64_e32 0, v[2:3]
	s_xor_b32 s54, exec_lo, s20
	s_cbranch_execz .LBB8_54
; %bb.53:                               ;   in Loop: Header=BB8_24 Depth=2
	s_add_u32 s22, s53, s0
	s_mov_b32 s20, s0
	s_mov_b32 s21, s0
	s_addc_u32 s23, s0, s0
	s_delay_alu instid0(SALU_CYCLE_1) | instskip(NEXT) | instid1(SALU_CYCLE_1)
	s_xor_b64 s[22:23], s[22:23], s[20:21]
	v_cvt_f32_u32_e32 v3, s22
	v_cvt_f32_u32_e32 v5, s23
	s_sub_u32 s0, 0, s22
	s_subb_u32 s55, 0, s23
	s_delay_alu instid0(VALU_DEP_1) | instskip(NEXT) | instid1(VALU_DEP_1)
	v_fmac_f32_e32 v3, 0x4f800000, v5
	v_rcp_f32_e32 v3, v3
	s_waitcnt_depctr 0xfff
	v_mul_f32_e32 v3, 0x5f7ffffc, v3
	s_delay_alu instid0(VALU_DEP_1) | instskip(NEXT) | instid1(VALU_DEP_1)
	v_mul_f32_e32 v5, 0x2f800000, v3
	v_trunc_f32_e32 v5, v5
	s_delay_alu instid0(VALU_DEP_1) | instskip(SKIP_1) | instid1(VALU_DEP_2)
	v_fmac_f32_e32 v3, 0xcf800000, v5
	v_cvt_u32_f32_e32 v5, v5
	v_cvt_u32_f32_e32 v3, v3
	s_delay_alu instid0(VALU_DEP_2) | instskip(NEXT) | instid1(VALU_DEP_2)
	v_mul_lo_u32 v8, s0, v5
	v_mul_hi_u32 v10, s0, v3
	v_mul_lo_u32 v12, s55, v3
	s_delay_alu instid0(VALU_DEP_2) | instskip(SKIP_1) | instid1(VALU_DEP_2)
	v_add_nc_u32_e32 v8, v10, v8
	v_mul_lo_u32 v10, s0, v3
	v_add_nc_u32_e32 v8, v8, v12
	s_delay_alu instid0(VALU_DEP_2) | instskip(NEXT) | instid1(VALU_DEP_2)
	v_mul_hi_u32 v12, v3, v10
	v_mul_lo_u32 v14, v3, v8
	v_mul_hi_u32 v16, v3, v8
	v_mul_hi_u32 v18, v5, v10
	v_mul_lo_u32 v10, v5, v10
	v_mul_hi_u32 v20, v5, v8
	v_mul_lo_u32 v8, v5, v8
	v_add_co_u32 v12, vcc_lo, v12, v14
	v_add_co_ci_u32_e32 v14, vcc_lo, 0, v16, vcc_lo
	s_delay_alu instid0(VALU_DEP_2) | instskip(NEXT) | instid1(VALU_DEP_2)
	v_add_co_u32 v10, vcc_lo, v12, v10
	v_add_co_ci_u32_e32 v10, vcc_lo, v14, v18, vcc_lo
	v_add_co_ci_u32_e32 v12, vcc_lo, 0, v20, vcc_lo
	v_ashrrev_i32_e32 v18, 31, v22
	s_delay_alu instid0(VALU_DEP_3) | instskip(NEXT) | instid1(VALU_DEP_3)
	v_add_co_u32 v8, vcc_lo, v10, v8
	v_add_co_ci_u32_e32 v10, vcc_lo, 0, v12, vcc_lo
	s_delay_alu instid0(VALU_DEP_2) | instskip(NEXT) | instid1(VALU_DEP_2)
	v_add_co_u32 v3, vcc_lo, v3, v8
	v_add_co_ci_u32_e32 v5, vcc_lo, v5, v10, vcc_lo
	s_delay_alu instid0(VALU_DEP_2) | instskip(SKIP_1) | instid1(VALU_DEP_3)
	v_mul_hi_u32 v8, s0, v3
	v_mul_lo_u32 v12, s55, v3
	v_mul_lo_u32 v10, s0, v5
	s_delay_alu instid0(VALU_DEP_1) | instskip(SKIP_1) | instid1(VALU_DEP_2)
	v_add_nc_u32_e32 v8, v8, v10
	v_mul_lo_u32 v10, s0, v3
	v_add_nc_u32_e32 v8, v8, v12
	s_delay_alu instid0(VALU_DEP_2) | instskip(NEXT) | instid1(VALU_DEP_2)
	v_mul_hi_u32 v12, v3, v10
	v_mul_lo_u32 v14, v3, v8
	v_mul_hi_u32 v16, v3, v8
	v_mul_hi_u32 v20, v5, v10
	v_mul_lo_u32 v10, v5, v10
	v_mul_hi_u32 v23, v5, v8
	v_mul_lo_u32 v8, v5, v8
	v_add_co_u32 v12, vcc_lo, v12, v14
	v_add_co_ci_u32_e32 v14, vcc_lo, 0, v16, vcc_lo
	s_delay_alu instid0(VALU_DEP_2) | instskip(NEXT) | instid1(VALU_DEP_2)
	v_add_co_u32 v10, vcc_lo, v12, v10
	v_add_co_ci_u32_e32 v10, vcc_lo, v14, v20, vcc_lo
	v_add_co_ci_u32_e32 v12, vcc_lo, 0, v23, vcc_lo
	v_add_co_u32 v14, vcc_lo, v21, v18
	v_add_co_ci_u32_e32 v16, vcc_lo, v22, v18, vcc_lo
	s_delay_alu instid0(VALU_DEP_4) | instskip(NEXT) | instid1(VALU_DEP_4)
	v_add_co_u32 v8, vcc_lo, v10, v8
	v_add_co_ci_u32_e32 v10, vcc_lo, 0, v12, vcc_lo
	s_delay_alu instid0(VALU_DEP_4) | instskip(NEXT) | instid1(VALU_DEP_3)
	v_xor_b32_e32 v12, v14, v18
	v_add_co_u32 v3, vcc_lo, v3, v8
	s_delay_alu instid0(VALU_DEP_3) | instskip(SKIP_1) | instid1(VALU_DEP_3)
	v_add_co_ci_u32_e32 v5, vcc_lo, v5, v10, vcc_lo
	v_xor_b32_e32 v8, v16, v18
	v_mul_hi_u32 v10, v12, v3
	s_delay_alu instid0(VALU_DEP_3) | instskip(NEXT) | instid1(VALU_DEP_3)
	v_mad_u64_u32 v[22:23], null, v12, v5, 0
	v_mad_u64_u32 v[28:29], null, v8, v3, 0
	;; [unrolled: 1-line block ×3, first 2 shown]
	s_delay_alu instid0(VALU_DEP_3) | instskip(NEXT) | instid1(VALU_DEP_4)
	v_add_co_u32 v3, vcc_lo, v10, v22
	v_add_co_ci_u32_e32 v5, vcc_lo, 0, v23, vcc_lo
	s_delay_alu instid0(VALU_DEP_2) | instskip(NEXT) | instid1(VALU_DEP_2)
	v_add_co_u32 v3, vcc_lo, v3, v28
	v_add_co_ci_u32_e32 v3, vcc_lo, v5, v29, vcc_lo
	v_add_co_ci_u32_e32 v5, vcc_lo, 0, v31, vcc_lo
	s_delay_alu instid0(VALU_DEP_2) | instskip(NEXT) | instid1(VALU_DEP_2)
	v_add_co_u32 v3, vcc_lo, v3, v30
	v_add_co_ci_u32_e32 v5, vcc_lo, 0, v5, vcc_lo
	s_delay_alu instid0(VALU_DEP_2) | instskip(SKIP_1) | instid1(VALU_DEP_3)
	v_mul_lo_u32 v10, s23, v3
	v_mad_u64_u32 v[22:23], null, s22, v3, 0
	v_mul_lo_u32 v14, s22, v5
	s_delay_alu instid0(VALU_DEP_2) | instskip(NEXT) | instid1(VALU_DEP_2)
	v_sub_co_u32 v12, vcc_lo, v12, v22
	v_add3_u32 v10, v23, v14, v10
	s_delay_alu instid0(VALU_DEP_1) | instskip(NEXT) | instid1(VALU_DEP_1)
	v_sub_nc_u32_e32 v14, v8, v10
	v_subrev_co_ci_u32_e64 v14, s0, s23, v14, vcc_lo
	v_add_co_u32 v16, s0, v3, 2
	s_delay_alu instid0(VALU_DEP_1) | instskip(SKIP_3) | instid1(VALU_DEP_3)
	v_add_co_ci_u32_e64 v20, s0, 0, v5, s0
	v_sub_co_u32 v22, s0, v12, s22
	v_sub_co_ci_u32_e32 v8, vcc_lo, v8, v10, vcc_lo
	v_subrev_co_ci_u32_e64 v14, s0, 0, v14, s0
	v_cmp_le_u32_e32 vcc_lo, s22, v22
	s_delay_alu instid0(VALU_DEP_3) | instskip(SKIP_1) | instid1(VALU_DEP_4)
	v_cmp_eq_u32_e64 s0, s23, v8
	v_cndmask_b32_e64 v10, 0, -1, vcc_lo
	v_cmp_le_u32_e32 vcc_lo, s23, v14
	v_cndmask_b32_e64 v22, 0, -1, vcc_lo
	v_cmp_le_u32_e32 vcc_lo, s22, v12
	;; [unrolled: 2-line block ×3, first 2 shown]
	v_cndmask_b32_e64 v23, 0, -1, vcc_lo
	v_cmp_eq_u32_e32 vcc_lo, s23, v14
	s_delay_alu instid0(VALU_DEP_2) | instskip(SKIP_3) | instid1(VALU_DEP_3)
	v_cndmask_b32_e64 v8, v23, v12, s0
	v_cndmask_b32_e32 v10, v22, v10, vcc_lo
	v_add_co_u32 v14, vcc_lo, v3, 1
	v_add_co_ci_u32_e32 v22, vcc_lo, 0, v5, vcc_lo
	v_cmp_ne_u32_e32 vcc_lo, 0, v10
	s_delay_alu instid0(VALU_DEP_2) | instskip(NEXT) | instid1(VALU_DEP_4)
	v_cndmask_b32_e32 v10, v22, v20, vcc_lo
	v_cndmask_b32_e32 v12, v14, v16, vcc_lo
	v_cmp_ne_u32_e32 vcc_lo, 0, v8
	v_xor_b32_e32 v8, s20, v18
	s_delay_alu instid0(VALU_DEP_4) | instskip(NEXT) | instid1(VALU_DEP_4)
	v_cndmask_b32_e32 v5, v5, v10, vcc_lo
	v_cndmask_b32_e32 v3, v3, v12, vcc_lo
	v_xor_b32_e32 v10, s21, v18
	s_delay_alu instid0(VALU_DEP_2) | instskip(NEXT) | instid1(VALU_DEP_2)
	v_xor_b32_e32 v3, v3, v8
	v_xor_b32_e32 v5, v5, v10
	s_delay_alu instid0(VALU_DEP_2) | instskip(NEXT) | instid1(VALU_DEP_2)
	v_sub_co_u32 v23, vcc_lo, v3, v8
	v_sub_co_ci_u32_e32 v24, vcc_lo, v5, v10, vcc_lo
.LBB8_54:                               ;   in Loop: Header=BB8_24 Depth=2
	s_and_not1_saveexec_b32 s0, s54
	s_cbranch_execz .LBB8_56
; %bb.55:                               ;   in Loop: Header=BB8_24 Depth=2
	v_cvt_f32_u32_e32 v3, s53
	s_sub_i32 s20, 0, s53
	v_mov_b32_e32 v24, v2
	s_delay_alu instid0(VALU_DEP_2) | instskip(SKIP_2) | instid1(VALU_DEP_1)
	v_rcp_iflag_f32_e32 v3, v3
	s_waitcnt_depctr 0xfff
	v_mul_f32_e32 v3, 0x4f7ffffe, v3
	v_cvt_u32_f32_e32 v3, v3
	s_delay_alu instid0(VALU_DEP_1) | instskip(NEXT) | instid1(VALU_DEP_1)
	v_mul_lo_u32 v5, s20, v3
	v_mul_hi_u32 v5, v3, v5
	s_delay_alu instid0(VALU_DEP_1) | instskip(NEXT) | instid1(VALU_DEP_1)
	v_add_nc_u32_e32 v3, v3, v5
	v_mul_hi_u32 v3, v21, v3
	s_delay_alu instid0(VALU_DEP_1) | instskip(NEXT) | instid1(VALU_DEP_1)
	v_mul_lo_u32 v5, v3, s53
	v_sub_nc_u32_e32 v5, v21, v5
	s_delay_alu instid0(VALU_DEP_1) | instskip(SKIP_1) | instid1(VALU_DEP_2)
	v_subrev_nc_u32_e32 v10, s53, v5
	v_cmp_le_u32_e32 vcc_lo, s53, v5
	v_dual_cndmask_b32 v5, v5, v10 :: v_dual_add_nc_u32 v8, 1, v3
	s_delay_alu instid0(VALU_DEP_1) | instskip(NEXT) | instid1(VALU_DEP_2)
	v_cndmask_b32_e32 v3, v3, v8, vcc_lo
	v_cmp_le_u32_e32 vcc_lo, s53, v5
	s_delay_alu instid0(VALU_DEP_2) | instskip(NEXT) | instid1(VALU_DEP_1)
	v_add_nc_u32_e32 v8, 1, v3
	v_cndmask_b32_e32 v23, v3, v8, vcc_lo
.LBB8_56:                               ;   in Loop: Header=BB8_24 Depth=2
	s_or_b32 exec_lo, exec_lo, s0
	v_mul_lo_u32 v3, v9, s41
	v_mul_lo_u32 v5, v11, s43
	;; [unrolled: 1-line block ×4, first 2 shown]
	s_add_u32 s18, s30, s18
	s_addc_u32 s19, s1, s19
	v_mul_lo_u32 v12, v17, s49
	s_load_b32 s0, s[18:19], 0x0
	v_sub_nc_u32_e32 v3, v7, v3
	v_sub_nc_u32_e32 v5, v9, v5
	v_mul_lo_u32 v7, v19, s51
	v_sub_nc_u32_e32 v8, v11, v8
	v_sub_nc_u32_e32 v10, v13, v10
	v_mul_lo_u32 v3, s42, v3
	v_mul_lo_u32 v5, s44, v5
	;; [unrolled: 1-line block ×4, first 2 shown]
	v_sub_nc_u32_e32 v12, v15, v12
	v_sub_nc_u32_e32 v7, v17, v7
	v_mul_lo_u32 v8, s46, v8
	v_mul_lo_u32 v10, s48, v10
	s_add_i32 s16, s16, -8
	v_add3_u32 v3, v3, v4, v5
	v_mul_lo_u32 v4, s50, v12
	v_sub_nc_u32_e32 v5, v19, v9
	v_sub_nc_u32_e32 v9, v21, v11
	v_mul_lo_u32 v7, s14, v7
	s_cmp_eq_u32 s16, -8
	v_add3_u32 v3, v8, v3, v10
	v_mul_lo_u32 v5, s17, v5
	s_waitcnt lgkmcnt(0)
	v_mul_lo_u32 v8, s0, v9
	s_delay_alu instid0(VALU_DEP_3) | instskip(NEXT) | instid1(VALU_DEP_1)
	v_add3_u32 v3, v4, v3, v7
	v_add3_u32 v4, v5, v3, v8
	s_cbranch_scc1 .LBB8_58
; %bb.57:                               ;   in Loop: Header=BB8_24 Depth=2
	v_dual_mov_b32 v7, v23 :: v_dual_mov_b32 v8, v24
	s_branch .LBB8_24
.LBB8_58:                               ;   in Loop: Header=BB8_3 Depth=1
	s_load_b32 s0, s[12:13], 0x0
	s_waitcnt lgkmcnt(0)
	v_cmp_gt_i32_e32 vcc_lo, s0, v27
	s_and_b32 exec_lo, exec_lo, vcc_lo
	s_cbranch_execz .LBB8_2
; %bb.59:                               ;   in Loop: Header=BB8_3 Depth=1
	v_ashrrev_i32_e32 v7, 31, v6
	s_mov_b32 s14, exec_lo
	s_delay_alu instid0(VALU_DEP_1)
	v_cmpx_lt_i64_e64 s[4:5], v[6:7]
	s_cbranch_execz .LBB8_61
; %bb.60:                               ;   in Loop: Header=BB8_3 Depth=1
	v_ashrrev_i32_e32 v5, 31, v4
	s_delay_alu instid0(VALU_DEP_1) | instskip(NEXT) | instid1(VALU_DEP_1)
	v_lshlrev_b64 v[5:6], 2, v[4:5]
	v_add_co_u32 v5, vcc_lo, s2, v5
	s_delay_alu instid0(VALU_DEP_2)
	v_add_co_ci_u32_e32 v6, vcc_lo, s3, v6, vcc_lo
	global_store_b32 v[5:6], v2, off
.LBB8_61:                               ;   in Loop: Header=BB8_3 Depth=1
	s_or_b32 exec_lo, exec_lo, s14
	v_add_nc_u32_e32 v3, 1, v27
	s_delay_alu instid0(VALU_DEP_1)
	v_cmp_gt_i32_e32 vcc_lo, s0, v3
	s_and_b32 exec_lo, exec_lo, vcc_lo
	s_cbranch_execz .LBB8_2
; %bb.62:                               ;   in Loop: Header=BB8_3 Depth=1
	v_sub_nc_u32_e32 v5, v3, v26
	s_delay_alu instid0(VALU_DEP_1) | instskip(NEXT) | instid1(VALU_DEP_1)
	v_ashrrev_i32_e32 v6, 31, v5
	v_cmp_lt_i64_e32 vcc_lo, s[4:5], v[5:6]
	s_and_b32 exec_lo, exec_lo, vcc_lo
	s_cbranch_execz .LBB8_2
; %bb.63:                               ;   in Loop: Header=BB8_3 Depth=1
	v_add_nc_u32_e32 v3, s40, v4
	s_delay_alu instid0(VALU_DEP_1) | instskip(NEXT) | instid1(VALU_DEP_1)
	v_ashrrev_i32_e32 v4, 31, v3
	v_lshlrev_b64 v[3:4], 2, v[3:4]
	s_delay_alu instid0(VALU_DEP_1) | instskip(NEXT) | instid1(VALU_DEP_2)
	v_add_co_u32 v3, vcc_lo, s2, v3
	v_add_co_ci_u32_e32 v4, vcc_lo, s3, v4, vcc_lo
	global_store_b32 v[3:4], v2, off
	s_branch .LBB8_2
.LBB8_64:
	s_nop 0
	s_sendmsg sendmsg(MSG_DEALLOC_VGPRS)
	s_endpgm
	.section	.rodata,"a",@progbits
	.p2align	6, 0x0
	.amdhsa_kernel _ZN2at6native16triu_tril_kernelIiiLb0ELi2ELb1EEEvNS_4cuda6detail10TensorInfoIT_T0_EENS4_IKS5_S6_EEllS6_
		.amdhsa_group_segment_fixed_size 0
		.amdhsa_private_segment_fixed_size 0
		.amdhsa_kernarg_size 712
		.amdhsa_user_sgpr_count 15
		.amdhsa_user_sgpr_dispatch_ptr 0
		.amdhsa_user_sgpr_queue_ptr 0
		.amdhsa_user_sgpr_kernarg_segment_ptr 1
		.amdhsa_user_sgpr_dispatch_id 0
		.amdhsa_user_sgpr_private_segment_size 0
		.amdhsa_wavefront_size32 1
		.amdhsa_uses_dynamic_stack 0
		.amdhsa_enable_private_segment 0
		.amdhsa_system_sgpr_workgroup_id_x 1
		.amdhsa_system_sgpr_workgroup_id_y 0
		.amdhsa_system_sgpr_workgroup_id_z 0
		.amdhsa_system_sgpr_workgroup_info 0
		.amdhsa_system_vgpr_workitem_id 0
		.amdhsa_next_free_vgpr 32
		.amdhsa_next_free_sgpr 56
		.amdhsa_reserve_vcc 1
		.amdhsa_float_round_mode_32 0
		.amdhsa_float_round_mode_16_64 0
		.amdhsa_float_denorm_mode_32 3
		.amdhsa_float_denorm_mode_16_64 3
		.amdhsa_dx10_clamp 1
		.amdhsa_ieee_mode 1
		.amdhsa_fp16_overflow 0
		.amdhsa_workgroup_processor_mode 1
		.amdhsa_memory_ordered 1
		.amdhsa_forward_progress 0
		.amdhsa_shared_vgpr_count 0
		.amdhsa_exception_fp_ieee_invalid_op 0
		.amdhsa_exception_fp_denorm_src 0
		.amdhsa_exception_fp_ieee_div_zero 0
		.amdhsa_exception_fp_ieee_overflow 0
		.amdhsa_exception_fp_ieee_underflow 0
		.amdhsa_exception_fp_ieee_inexact 0
		.amdhsa_exception_int_div_zero 0
	.end_amdhsa_kernel
	.section	.text._ZN2at6native16triu_tril_kernelIiiLb0ELi2ELb1EEEvNS_4cuda6detail10TensorInfoIT_T0_EENS4_IKS5_S6_EEllS6_,"axG",@progbits,_ZN2at6native16triu_tril_kernelIiiLb0ELi2ELb1EEEvNS_4cuda6detail10TensorInfoIT_T0_EENS4_IKS5_S6_EEllS6_,comdat
.Lfunc_end8:
	.size	_ZN2at6native16triu_tril_kernelIiiLb0ELi2ELb1EEEvNS_4cuda6detail10TensorInfoIT_T0_EENS4_IKS5_S6_EEllS6_, .Lfunc_end8-_ZN2at6native16triu_tril_kernelIiiLb0ELi2ELb1EEEvNS_4cuda6detail10TensorInfoIT_T0_EENS4_IKS5_S6_EEllS6_
                                        ; -- End function
	.section	.AMDGPU.csdata,"",@progbits
; Kernel info:
; codeLenInByte = 12416
; NumSgprs: 58
; NumVgprs: 32
; ScratchSize: 0
; MemoryBound: 0
; FloatMode: 240
; IeeeMode: 1
; LDSByteSize: 0 bytes/workgroup (compile time only)
; SGPRBlocks: 7
; VGPRBlocks: 3
; NumSGPRsForWavesPerEU: 58
; NumVGPRsForWavesPerEU: 32
; Occupancy: 16
; WaveLimiterHint : 0
; COMPUTE_PGM_RSRC2:SCRATCH_EN: 0
; COMPUTE_PGM_RSRC2:USER_SGPR: 15
; COMPUTE_PGM_RSRC2:TRAP_HANDLER: 0
; COMPUTE_PGM_RSRC2:TGID_X_EN: 1
; COMPUTE_PGM_RSRC2:TGID_Y_EN: 0
; COMPUTE_PGM_RSRC2:TGID_Z_EN: 0
; COMPUTE_PGM_RSRC2:TIDIG_COMP_CNT: 0
	.section	.text._ZN2at6native16triu_tril_kernelIiiLb0ELi2ELb0EEEvNS_4cuda6detail10TensorInfoIT_T0_EENS4_IKS5_S6_EEllS6_,"axG",@progbits,_ZN2at6native16triu_tril_kernelIiiLb0ELi2ELb0EEEvNS_4cuda6detail10TensorInfoIT_T0_EENS4_IKS5_S6_EEllS6_,comdat
	.protected	_ZN2at6native16triu_tril_kernelIiiLb0ELi2ELb0EEEvNS_4cuda6detail10TensorInfoIT_T0_EENS4_IKS5_S6_EEllS6_ ; -- Begin function _ZN2at6native16triu_tril_kernelIiiLb0ELi2ELb0EEEvNS_4cuda6detail10TensorInfoIT_T0_EENS4_IKS5_S6_EEllS6_
	.globl	_ZN2at6native16triu_tril_kernelIiiLb0ELi2ELb0EEEvNS_4cuda6detail10TensorInfoIT_T0_EENS4_IKS5_S6_EEllS6_
	.p2align	8
	.type	_ZN2at6native16triu_tril_kernelIiiLb0ELi2ELb0EEEvNS_4cuda6detail10TensorInfoIT_T0_EENS4_IKS5_S6_EEllS6_,@function
_ZN2at6native16triu_tril_kernelIiiLb0ELi2ELb0EEEvNS_4cuda6detail10TensorInfoIT_T0_EENS4_IKS5_S6_EEllS6_: ; @_ZN2at6native16triu_tril_kernelIiiLb0ELi2ELb0EEEvNS_4cuda6detail10TensorInfoIT_T0_EENS4_IKS5_S6_EEllS6_
; %bb.0:
	s_clause 0x1
	s_load_b32 s2, s[0:1], 0x1d4
	s_load_b128 s[4:7], s[0:1], 0x1b0
	v_mov_b32_e32 v2, 0
	s_add_u32 s8, s0, 0x1c8
	s_addc_u32 s9, s1, 0
	s_delay_alu instid0(VALU_DEP_1) | instskip(SKIP_3) | instid1(VALU_DEP_1)
	v_mov_b32_e32 v1, v2
	s_waitcnt lgkmcnt(0)
	s_and_b32 s10, s2, 0xffff
	s_mov_b32 s2, exec_lo
	v_mad_u64_u32 v[3:4], null, s10, s15, v[0:1]
	s_delay_alu instid0(VALU_DEP_1) | instskip(NEXT) | instid1(VALU_DEP_1)
	v_lshlrev_b64 v[0:1], 1, v[3:4]
	v_cmpx_gt_i64_e64 s[6:7], v[0:1]
	s_cbranch_execz .LBB9_49
; %bb.1:
	s_clause 0x1
	s_load_b32 s16, s[0:1], 0x1a8
	s_load_b32 s30, s[0:1], 0x1c0
	s_add_u32 s31, s0, 0xd8
	s_addc_u32 s33, s1, 0
	s_load_b32 s11, s[8:9], 0x0
	s_load_b64 s[2:3], s[0:1], 0xd8
	s_waitcnt lgkmcnt(0)
	s_ashr_i32 s17, s16, 31
	s_ashr_i32 s34, s30, 31
	s_lshl_b64 s[8:9], s[16:17], 2
	v_cvt_f32_u32_e32 v3, s30
	s_add_u32 s14, s8, -8
	s_addc_u32 s15, s9, -1
	s_add_u32 s12, s31, s14
	s_addc_u32 s13, s33, s15
	v_rcp_iflag_f32_e32 v3, v3
	s_load_b64 s[8:9], s[12:13], 0x8
	s_mul_i32 s18, s11, s10
	s_load_b64 s[10:11], s[12:13], 0x6c
	s_waitcnt_depctr 0xfff
	v_mul_f32_e32 v3, 0x4f7ffffe, v3
	s_delay_alu instid0(VALU_DEP_1)
	v_cvt_u32_f32_e32 v3, v3
	s_waitcnt lgkmcnt(0)
	s_ashr_i32 s35, s8, 31
	s_add_u32 s36, s0, 0x6c
	s_addc_u32 s37, s1, 0
	s_add_u32 s12, s36, s14
	s_addc_u32 s13, s37, s15
	s_and_b32 s39, s16, 3
	s_add_i32 s38, s16, -3
	s_lshl_b32 s40, s18, 1
	s_cmp_lg_u32 s39, 2
	s_load_b64 s[12:13], s[12:13], 0x0
	s_cselect_b32 s41, -1, 0
	s_cmp_gt_u32 s38, 2
	s_mov_b32 s18, s11
	s_cselect_b32 s42, -1, 0
	s_sub_i32 s14, 0, s30
	s_ashr_i32 s19, s11, 31
	v_mul_lo_u32 v4, s14, v3
	s_load_b64 s[14:15], s[0:1], 0x0
	v_cmp_gt_i64_e64 s1, s[16:17], 2
	s_mov_b32 s17, 0
	s_mov_b32 s11, 0
	s_delay_alu instid0(VALU_DEP_2) | instskip(SKIP_3) | instid1(VALU_DEP_1)
	v_mul_hi_u32 v4, v3, v4
	s_waitcnt lgkmcnt(0)
	s_ashr_i32 s21, s13, 31
	s_mov_b32 s20, s13
	v_add_nc_u32_e32 v18, v3, v4
	s_branch .LBB9_3
.LBB9_2:                                ;   in Loop: Header=BB9_3 Depth=1
	s_or_b32 exec_lo, exec_lo, s0
	v_add_co_u32 v0, vcc_lo, v0, s40
	v_add_co_ci_u32_e32 v1, vcc_lo, 0, v1, vcc_lo
	s_delay_alu instid0(VALU_DEP_1) | instskip(SKIP_1) | instid1(SALU_CYCLE_1)
	v_cmp_le_i64_e32 vcc_lo, s[6:7], v[0:1]
	s_or_b32 s11, vcc_lo, s11
	s_and_not1_b32 exec_lo, exec_lo, s11
	s_cbranch_execz .LBB9_49
.LBB9_3:                                ; =>This Loop Header: Depth=1
                                        ;     Child Loop BB9_14 Depth 2
                                        ;     Child Loop BB9_22 Depth 2
	v_or_b32_e32 v3, s34, v1
                                        ; implicit-def: $vgpr4_vgpr5
	s_mov_b32 s0, exec_lo
	s_delay_alu instid0(VALU_DEP_1)
	v_cmpx_ne_u64_e32 0, v[2:3]
	s_xor_b32 s13, exec_lo, s0
	s_cbranch_execz .LBB9_5
; %bb.4:                                ;   in Loop: Header=BB9_3 Depth=1
	s_add_u32 s24, s30, s34
	s_mov_b32 s22, s34
	s_mov_b32 s23, s34
	s_addc_u32 s25, s34, s34
	s_delay_alu instid0(SALU_CYCLE_1) | instskip(NEXT) | instid1(SALU_CYCLE_1)
	s_xor_b64 s[24:25], s[24:25], s[22:23]
	v_cvt_f32_u32_e32 v3, s24
	v_cvt_f32_u32_e32 v4, s25
	s_sub_u32 s0, 0, s24
	s_subb_u32 s16, 0, s25
	s_delay_alu instid0(VALU_DEP_1) | instskip(NEXT) | instid1(VALU_DEP_1)
	v_fmac_f32_e32 v3, 0x4f800000, v4
	v_rcp_f32_e32 v3, v3
	s_waitcnt_depctr 0xfff
	v_mul_f32_e32 v3, 0x5f7ffffc, v3
	s_delay_alu instid0(VALU_DEP_1) | instskip(NEXT) | instid1(VALU_DEP_1)
	v_mul_f32_e32 v4, 0x2f800000, v3
	v_trunc_f32_e32 v4, v4
	s_delay_alu instid0(VALU_DEP_1) | instskip(SKIP_1) | instid1(VALU_DEP_2)
	v_fmac_f32_e32 v3, 0xcf800000, v4
	v_cvt_u32_f32_e32 v4, v4
	v_cvt_u32_f32_e32 v3, v3
	s_delay_alu instid0(VALU_DEP_2) | instskip(NEXT) | instid1(VALU_DEP_2)
	v_mul_lo_u32 v5, s0, v4
	v_mul_hi_u32 v6, s0, v3
	v_mul_lo_u32 v7, s16, v3
	s_delay_alu instid0(VALU_DEP_2) | instskip(SKIP_1) | instid1(VALU_DEP_2)
	v_add_nc_u32_e32 v5, v6, v5
	v_mul_lo_u32 v6, s0, v3
	v_add_nc_u32_e32 v5, v5, v7
	s_delay_alu instid0(VALU_DEP_2) | instskip(NEXT) | instid1(VALU_DEP_2)
	v_mul_hi_u32 v7, v3, v6
	v_mul_lo_u32 v8, v3, v5
	v_mul_hi_u32 v9, v3, v5
	v_mul_hi_u32 v10, v4, v6
	v_mul_lo_u32 v6, v4, v6
	v_mul_hi_u32 v11, v4, v5
	v_mul_lo_u32 v5, v4, v5
	v_add_co_u32 v7, vcc_lo, v7, v8
	v_add_co_ci_u32_e32 v8, vcc_lo, 0, v9, vcc_lo
	s_delay_alu instid0(VALU_DEP_2) | instskip(NEXT) | instid1(VALU_DEP_2)
	v_add_co_u32 v6, vcc_lo, v7, v6
	v_add_co_ci_u32_e32 v6, vcc_lo, v8, v10, vcc_lo
	v_add_co_ci_u32_e32 v7, vcc_lo, 0, v11, vcc_lo
	v_ashrrev_i32_e32 v10, 31, v1
	s_delay_alu instid0(VALU_DEP_3) | instskip(NEXT) | instid1(VALU_DEP_3)
	v_add_co_u32 v5, vcc_lo, v6, v5
	v_add_co_ci_u32_e32 v6, vcc_lo, 0, v7, vcc_lo
	s_delay_alu instid0(VALU_DEP_2) | instskip(NEXT) | instid1(VALU_DEP_2)
	v_add_co_u32 v3, vcc_lo, v3, v5
	v_add_co_ci_u32_e32 v4, vcc_lo, v4, v6, vcc_lo
	s_delay_alu instid0(VALU_DEP_2) | instskip(SKIP_1) | instid1(VALU_DEP_3)
	v_mul_hi_u32 v5, s0, v3
	v_mul_lo_u32 v7, s16, v3
	v_mul_lo_u32 v6, s0, v4
	s_delay_alu instid0(VALU_DEP_1) | instskip(SKIP_1) | instid1(VALU_DEP_2)
	v_add_nc_u32_e32 v5, v5, v6
	v_mul_lo_u32 v6, s0, v3
	v_add_nc_u32_e32 v5, v5, v7
	s_delay_alu instid0(VALU_DEP_2) | instskip(NEXT) | instid1(VALU_DEP_2)
	v_mul_hi_u32 v7, v3, v6
	v_mul_lo_u32 v8, v3, v5
	v_mul_hi_u32 v9, v3, v5
	v_mul_hi_u32 v11, v4, v6
	v_mul_lo_u32 v6, v4, v6
	v_mul_hi_u32 v12, v4, v5
	v_mul_lo_u32 v5, v4, v5
	v_add_co_u32 v7, vcc_lo, v7, v8
	v_add_co_ci_u32_e32 v8, vcc_lo, 0, v9, vcc_lo
	s_delay_alu instid0(VALU_DEP_2) | instskip(NEXT) | instid1(VALU_DEP_2)
	v_add_co_u32 v6, vcc_lo, v7, v6
	v_add_co_ci_u32_e32 v6, vcc_lo, v8, v11, vcc_lo
	v_add_co_ci_u32_e32 v7, vcc_lo, 0, v12, vcc_lo
	v_add_co_u32 v8, vcc_lo, v0, v10
	v_add_co_ci_u32_e32 v9, vcc_lo, v1, v10, vcc_lo
	s_delay_alu instid0(VALU_DEP_4) | instskip(NEXT) | instid1(VALU_DEP_4)
	v_add_co_u32 v5, vcc_lo, v6, v5
	v_add_co_ci_u32_e32 v6, vcc_lo, 0, v7, vcc_lo
	s_delay_alu instid0(VALU_DEP_4) | instskip(NEXT) | instid1(VALU_DEP_3)
	v_xor_b32_e32 v11, v8, v10
	v_add_co_u32 v7, vcc_lo, v3, v5
	s_delay_alu instid0(VALU_DEP_3) | instskip(SKIP_1) | instid1(VALU_DEP_3)
	v_add_co_ci_u32_e32 v12, vcc_lo, v4, v6, vcc_lo
	v_xor_b32_e32 v9, v9, v10
	v_mul_hi_u32 v13, v11, v7
	s_delay_alu instid0(VALU_DEP_3) | instskip(NEXT) | instid1(VALU_DEP_3)
	v_mad_u64_u32 v[3:4], null, v11, v12, 0
	v_mad_u64_u32 v[5:6], null, v9, v7, 0
	;; [unrolled: 1-line block ×3, first 2 shown]
	s_delay_alu instid0(VALU_DEP_3) | instskip(NEXT) | instid1(VALU_DEP_4)
	v_add_co_u32 v3, vcc_lo, v13, v3
	v_add_co_ci_u32_e32 v4, vcc_lo, 0, v4, vcc_lo
	s_delay_alu instid0(VALU_DEP_2) | instskip(NEXT) | instid1(VALU_DEP_2)
	v_add_co_u32 v3, vcc_lo, v3, v5
	v_add_co_ci_u32_e32 v3, vcc_lo, v4, v6, vcc_lo
	v_add_co_ci_u32_e32 v4, vcc_lo, 0, v8, vcc_lo
	s_delay_alu instid0(VALU_DEP_2) | instskip(NEXT) | instid1(VALU_DEP_2)
	v_add_co_u32 v5, vcc_lo, v3, v7
	v_add_co_ci_u32_e32 v6, vcc_lo, 0, v4, vcc_lo
	s_delay_alu instid0(VALU_DEP_2) | instskip(SKIP_1) | instid1(VALU_DEP_3)
	v_mul_lo_u32 v7, s25, v5
	v_mad_u64_u32 v[3:4], null, s24, v5, 0
	v_mul_lo_u32 v8, s24, v6
	s_delay_alu instid0(VALU_DEP_2) | instskip(NEXT) | instid1(VALU_DEP_2)
	v_sub_co_u32 v3, vcc_lo, v11, v3
	v_add3_u32 v4, v4, v8, v7
	s_delay_alu instid0(VALU_DEP_1) | instskip(NEXT) | instid1(VALU_DEP_1)
	v_sub_nc_u32_e32 v7, v9, v4
	v_subrev_co_ci_u32_e64 v7, s0, s25, v7, vcc_lo
	v_add_co_u32 v8, s0, v5, 2
	s_delay_alu instid0(VALU_DEP_1) | instskip(SKIP_3) | instid1(VALU_DEP_3)
	v_add_co_ci_u32_e64 v11, s0, 0, v6, s0
	v_sub_co_u32 v12, s0, v3, s24
	v_sub_co_ci_u32_e32 v4, vcc_lo, v9, v4, vcc_lo
	v_subrev_co_ci_u32_e64 v7, s0, 0, v7, s0
	v_cmp_le_u32_e32 vcc_lo, s24, v12
	s_delay_alu instid0(VALU_DEP_3) | instskip(SKIP_1) | instid1(VALU_DEP_4)
	v_cmp_eq_u32_e64 s0, s25, v4
	v_cndmask_b32_e64 v9, 0, -1, vcc_lo
	v_cmp_le_u32_e32 vcc_lo, s25, v7
	v_cndmask_b32_e64 v12, 0, -1, vcc_lo
	v_cmp_le_u32_e32 vcc_lo, s24, v3
	;; [unrolled: 2-line block ×3, first 2 shown]
	v_cndmask_b32_e64 v13, 0, -1, vcc_lo
	v_cmp_eq_u32_e32 vcc_lo, s25, v7
	s_delay_alu instid0(VALU_DEP_2) | instskip(SKIP_3) | instid1(VALU_DEP_3)
	v_cndmask_b32_e64 v3, v13, v3, s0
	v_cndmask_b32_e32 v7, v12, v9, vcc_lo
	v_add_co_u32 v9, vcc_lo, v5, 1
	v_add_co_ci_u32_e32 v12, vcc_lo, 0, v6, vcc_lo
	v_cmp_ne_u32_e32 vcc_lo, 0, v7
	s_delay_alu instid0(VALU_DEP_2) | instskip(SKIP_2) | instid1(VALU_DEP_3)
	v_dual_cndmask_b32 v4, v12, v11 :: v_dual_cndmask_b32 v7, v9, v8
	v_cmp_ne_u32_e32 vcc_lo, 0, v3
	v_xor_b32_e32 v3, s22, v10
	v_dual_cndmask_b32 v5, v5, v7 :: v_dual_cndmask_b32 v4, v6, v4
	v_xor_b32_e32 v6, s23, v10
	s_delay_alu instid0(VALU_DEP_2) | instskip(NEXT) | instid1(VALU_DEP_2)
	v_xor_b32_e32 v5, v5, v3
	v_xor_b32_e32 v7, v4, v6
	s_delay_alu instid0(VALU_DEP_2) | instskip(NEXT) | instid1(VALU_DEP_2)
	v_sub_co_u32 v4, vcc_lo, v5, v3
	v_sub_co_ci_u32_e32 v5, vcc_lo, v7, v6, vcc_lo
.LBB9_5:                                ;   in Loop: Header=BB9_3 Depth=1
	s_and_not1_saveexec_b32 s0, s13
; %bb.6:                                ;   in Loop: Header=BB9_3 Depth=1
	v_mul_hi_u32 v3, v0, v18
	s_delay_alu instid0(VALU_DEP_1) | instskip(NEXT) | instid1(VALU_DEP_1)
	v_mul_lo_u32 v4, v3, s30
	v_sub_nc_u32_e32 v4, v0, v4
	s_delay_alu instid0(VALU_DEP_1) | instskip(SKIP_1) | instid1(VALU_DEP_2)
	v_subrev_nc_u32_e32 v6, s30, v4
	v_cmp_le_u32_e32 vcc_lo, s30, v4
	v_dual_cndmask_b32 v4, v4, v6 :: v_dual_add_nc_u32 v5, 1, v3
	s_delay_alu instid0(VALU_DEP_1) | instskip(NEXT) | instid1(VALU_DEP_2)
	v_cndmask_b32_e32 v3, v3, v5, vcc_lo
	v_cmp_le_u32_e32 vcc_lo, s30, v4
	s_delay_alu instid0(VALU_DEP_2) | instskip(NEXT) | instid1(VALU_DEP_1)
	v_add_nc_u32_e32 v5, 1, v3
	v_dual_cndmask_b32 v4, v3, v5 :: v_dual_mov_b32 v5, v2
; %bb.7:                                ;   in Loop: Header=BB9_3 Depth=1
	s_or_b32 exec_lo, exec_lo, s0
	s_delay_alu instid0(VALU_DEP_1) | instskip(SKIP_1) | instid1(VALU_DEP_1)
	v_or_b32_e32 v3, s35, v5
                                        ; implicit-def: $vgpr8_vgpr9
	s_mov_b32 s0, exec_lo
	v_cmpx_ne_u64_e32 0, v[2:3]
	s_xor_b32 s13, exec_lo, s0
	s_cbranch_execz .LBB9_9
; %bb.8:                                ;   in Loop: Header=BB9_3 Depth=1
	s_add_u32 s24, s8, s35
	s_mov_b32 s22, s35
	s_mov_b32 s23, s35
	s_addc_u32 s25, s35, s35
	s_delay_alu instid0(SALU_CYCLE_1) | instskip(NEXT) | instid1(SALU_CYCLE_1)
	s_xor_b64 s[24:25], s[24:25], s[22:23]
	v_cvt_f32_u32_e32 v3, s24
	v_cvt_f32_u32_e32 v6, s25
	s_sub_u32 s0, 0, s24
	s_subb_u32 s16, 0, s25
	s_delay_alu instid0(VALU_DEP_1) | instskip(NEXT) | instid1(VALU_DEP_1)
	v_fmac_f32_e32 v3, 0x4f800000, v6
	v_rcp_f32_e32 v3, v3
	s_waitcnt_depctr 0xfff
	v_mul_f32_e32 v3, 0x5f7ffffc, v3
	s_delay_alu instid0(VALU_DEP_1) | instskip(NEXT) | instid1(VALU_DEP_1)
	v_mul_f32_e32 v6, 0x2f800000, v3
	v_trunc_f32_e32 v6, v6
	s_delay_alu instid0(VALU_DEP_1) | instskip(SKIP_1) | instid1(VALU_DEP_2)
	v_fmac_f32_e32 v3, 0xcf800000, v6
	v_cvt_u32_f32_e32 v6, v6
	v_cvt_u32_f32_e32 v3, v3
	s_delay_alu instid0(VALU_DEP_2) | instskip(NEXT) | instid1(VALU_DEP_2)
	v_mul_lo_u32 v7, s0, v6
	v_mul_hi_u32 v8, s0, v3
	v_mul_lo_u32 v9, s16, v3
	s_delay_alu instid0(VALU_DEP_2) | instskip(SKIP_1) | instid1(VALU_DEP_2)
	v_add_nc_u32_e32 v7, v8, v7
	v_mul_lo_u32 v8, s0, v3
	v_add_nc_u32_e32 v7, v7, v9
	s_delay_alu instid0(VALU_DEP_2) | instskip(NEXT) | instid1(VALU_DEP_2)
	v_mul_hi_u32 v9, v3, v8
	v_mul_lo_u32 v10, v3, v7
	v_mul_hi_u32 v11, v3, v7
	v_mul_hi_u32 v12, v6, v8
	v_mul_lo_u32 v8, v6, v8
	v_mul_hi_u32 v13, v6, v7
	v_mul_lo_u32 v7, v6, v7
	v_add_co_u32 v9, vcc_lo, v9, v10
	v_add_co_ci_u32_e32 v10, vcc_lo, 0, v11, vcc_lo
	s_delay_alu instid0(VALU_DEP_2) | instskip(NEXT) | instid1(VALU_DEP_2)
	v_add_co_u32 v8, vcc_lo, v9, v8
	v_add_co_ci_u32_e32 v8, vcc_lo, v10, v12, vcc_lo
	v_add_co_ci_u32_e32 v9, vcc_lo, 0, v13, vcc_lo
	v_ashrrev_i32_e32 v12, 31, v5
	s_delay_alu instid0(VALU_DEP_3) | instskip(NEXT) | instid1(VALU_DEP_3)
	v_add_co_u32 v7, vcc_lo, v8, v7
	v_add_co_ci_u32_e32 v8, vcc_lo, 0, v9, vcc_lo
	s_delay_alu instid0(VALU_DEP_2) | instskip(NEXT) | instid1(VALU_DEP_2)
	v_add_co_u32 v3, vcc_lo, v3, v7
	v_add_co_ci_u32_e32 v6, vcc_lo, v6, v8, vcc_lo
	s_delay_alu instid0(VALU_DEP_2) | instskip(SKIP_1) | instid1(VALU_DEP_3)
	v_mul_hi_u32 v7, s0, v3
	v_mul_lo_u32 v9, s16, v3
	v_mul_lo_u32 v8, s0, v6
	s_delay_alu instid0(VALU_DEP_1) | instskip(SKIP_1) | instid1(VALU_DEP_2)
	v_add_nc_u32_e32 v7, v7, v8
	v_mul_lo_u32 v8, s0, v3
	v_add_nc_u32_e32 v7, v7, v9
	s_delay_alu instid0(VALU_DEP_2) | instskip(NEXT) | instid1(VALU_DEP_2)
	v_mul_hi_u32 v9, v3, v8
	v_mul_lo_u32 v10, v3, v7
	v_mul_hi_u32 v11, v3, v7
	v_mul_hi_u32 v13, v6, v8
	v_mul_lo_u32 v8, v6, v8
	v_mul_hi_u32 v14, v6, v7
	v_mul_lo_u32 v7, v6, v7
	v_add_co_u32 v9, vcc_lo, v9, v10
	v_add_co_ci_u32_e32 v10, vcc_lo, 0, v11, vcc_lo
	s_delay_alu instid0(VALU_DEP_2) | instskip(NEXT) | instid1(VALU_DEP_2)
	v_add_co_u32 v8, vcc_lo, v9, v8
	v_add_co_ci_u32_e32 v8, vcc_lo, v10, v13, vcc_lo
	v_add_co_ci_u32_e32 v9, vcc_lo, 0, v14, vcc_lo
	v_add_co_u32 v10, vcc_lo, v4, v12
	v_add_co_ci_u32_e32 v5, vcc_lo, v5, v12, vcc_lo
	s_delay_alu instid0(VALU_DEP_4) | instskip(NEXT) | instid1(VALU_DEP_4)
	v_add_co_u32 v7, vcc_lo, v8, v7
	v_add_co_ci_u32_e32 v8, vcc_lo, 0, v9, vcc_lo
	s_delay_alu instid0(VALU_DEP_4) | instskip(NEXT) | instid1(VALU_DEP_3)
	v_xor_b32_e32 v11, v10, v12
	v_add_co_u32 v3, vcc_lo, v3, v7
	s_delay_alu instid0(VALU_DEP_3) | instskip(SKIP_1) | instid1(VALU_DEP_3)
	v_add_co_ci_u32_e32 v13, vcc_lo, v6, v8, vcc_lo
	v_xor_b32_e32 v14, v5, v12
	v_mul_hi_u32 v15, v11, v3
	s_delay_alu instid0(VALU_DEP_3) | instskip(NEXT) | instid1(VALU_DEP_3)
	v_mad_u64_u32 v[5:6], null, v11, v13, 0
	v_mad_u64_u32 v[7:8], null, v14, v3, 0
	;; [unrolled: 1-line block ×3, first 2 shown]
	s_delay_alu instid0(VALU_DEP_3) | instskip(NEXT) | instid1(VALU_DEP_4)
	v_add_co_u32 v3, vcc_lo, v15, v5
	v_add_co_ci_u32_e32 v5, vcc_lo, 0, v6, vcc_lo
	s_delay_alu instid0(VALU_DEP_2) | instskip(NEXT) | instid1(VALU_DEP_2)
	v_add_co_u32 v3, vcc_lo, v3, v7
	v_add_co_ci_u32_e32 v3, vcc_lo, v5, v8, vcc_lo
	v_add_co_ci_u32_e32 v5, vcc_lo, 0, v10, vcc_lo
	s_delay_alu instid0(VALU_DEP_2) | instskip(NEXT) | instid1(VALU_DEP_2)
	v_add_co_u32 v3, vcc_lo, v3, v9
	v_add_co_ci_u32_e32 v7, vcc_lo, 0, v5, vcc_lo
	s_delay_alu instid0(VALU_DEP_2) | instskip(SKIP_1) | instid1(VALU_DEP_3)
	v_mul_lo_u32 v8, s25, v3
	v_mad_u64_u32 v[5:6], null, s24, v3, 0
	v_mul_lo_u32 v9, s24, v7
	s_delay_alu instid0(VALU_DEP_2) | instskip(NEXT) | instid1(VALU_DEP_2)
	v_sub_co_u32 v5, vcc_lo, v11, v5
	v_add3_u32 v6, v6, v9, v8
	s_delay_alu instid0(VALU_DEP_1) | instskip(NEXT) | instid1(VALU_DEP_1)
	v_sub_nc_u32_e32 v8, v14, v6
	v_subrev_co_ci_u32_e64 v8, s0, s25, v8, vcc_lo
	v_add_co_u32 v9, s0, v3, 2
	s_delay_alu instid0(VALU_DEP_1) | instskip(SKIP_3) | instid1(VALU_DEP_3)
	v_add_co_ci_u32_e64 v10, s0, 0, v7, s0
	v_sub_co_u32 v11, s0, v5, s24
	v_sub_co_ci_u32_e32 v6, vcc_lo, v14, v6, vcc_lo
	v_subrev_co_ci_u32_e64 v8, s0, 0, v8, s0
	v_cmp_le_u32_e32 vcc_lo, s24, v11
	s_delay_alu instid0(VALU_DEP_3) | instskip(SKIP_1) | instid1(VALU_DEP_4)
	v_cmp_eq_u32_e64 s0, s25, v6
	v_cndmask_b32_e64 v11, 0, -1, vcc_lo
	v_cmp_le_u32_e32 vcc_lo, s25, v8
	v_cndmask_b32_e64 v13, 0, -1, vcc_lo
	v_cmp_le_u32_e32 vcc_lo, s24, v5
	;; [unrolled: 2-line block ×3, first 2 shown]
	v_cndmask_b32_e64 v14, 0, -1, vcc_lo
	v_cmp_eq_u32_e32 vcc_lo, s25, v8
	s_delay_alu instid0(VALU_DEP_2) | instskip(SKIP_3) | instid1(VALU_DEP_3)
	v_cndmask_b32_e64 v5, v14, v5, s0
	v_cndmask_b32_e32 v8, v13, v11, vcc_lo
	v_add_co_u32 v11, vcc_lo, v3, 1
	v_add_co_ci_u32_e32 v13, vcc_lo, 0, v7, vcc_lo
	v_cmp_ne_u32_e32 vcc_lo, 0, v8
	s_delay_alu instid0(VALU_DEP_3) | instskip(NEXT) | instid1(VALU_DEP_3)
	v_cndmask_b32_e32 v8, v11, v9, vcc_lo
	v_cndmask_b32_e32 v6, v13, v10, vcc_lo
	v_cmp_ne_u32_e32 vcc_lo, 0, v5
	v_xor_b32_e32 v5, s22, v12
	s_delay_alu instid0(VALU_DEP_4) | instskip(NEXT) | instid1(VALU_DEP_4)
	v_cndmask_b32_e32 v3, v3, v8, vcc_lo
	v_cndmask_b32_e32 v6, v7, v6, vcc_lo
	v_xor_b32_e32 v7, s23, v12
	s_delay_alu instid0(VALU_DEP_3) | instskip(NEXT) | instid1(VALU_DEP_2)
	v_xor_b32_e32 v3, v3, v5
	v_xor_b32_e32 v6, v6, v7
	s_delay_alu instid0(VALU_DEP_2) | instskip(NEXT) | instid1(VALU_DEP_2)
	v_sub_co_u32 v8, vcc_lo, v3, v5
	v_sub_co_ci_u32_e32 v9, vcc_lo, v6, v7, vcc_lo
.LBB9_9:                                ;   in Loop: Header=BB9_3 Depth=1
	s_and_not1_saveexec_b32 s0, s13
	s_cbranch_execz .LBB9_11
; %bb.10:                               ;   in Loop: Header=BB9_3 Depth=1
	v_cvt_f32_u32_e32 v3, s8
	s_sub_i32 s13, 0, s8
	v_mov_b32_e32 v9, v2
	s_delay_alu instid0(VALU_DEP_2) | instskip(SKIP_2) | instid1(VALU_DEP_1)
	v_rcp_iflag_f32_e32 v3, v3
	s_waitcnt_depctr 0xfff
	v_mul_f32_e32 v3, 0x4f7ffffe, v3
	v_cvt_u32_f32_e32 v3, v3
	s_delay_alu instid0(VALU_DEP_1) | instskip(NEXT) | instid1(VALU_DEP_1)
	v_mul_lo_u32 v5, s13, v3
	v_mul_hi_u32 v5, v3, v5
	s_delay_alu instid0(VALU_DEP_1) | instskip(NEXT) | instid1(VALU_DEP_1)
	v_add_nc_u32_e32 v3, v3, v5
	v_mul_hi_u32 v3, v4, v3
	s_delay_alu instid0(VALU_DEP_1) | instskip(SKIP_1) | instid1(VALU_DEP_2)
	v_mul_lo_u32 v5, v3, s8
	v_add_nc_u32_e32 v6, 1, v3
	v_sub_nc_u32_e32 v5, v4, v5
	s_delay_alu instid0(VALU_DEP_1) | instskip(SKIP_1) | instid1(VALU_DEP_4)
	v_cmp_le_u32_e32 vcc_lo, s8, v5
	v_subrev_nc_u32_e32 v7, s8, v5
	v_cndmask_b32_e32 v3, v3, v6, vcc_lo
	s_delay_alu instid0(VALU_DEP_1) | instskip(NEXT) | instid1(VALU_DEP_3)
	v_add_nc_u32_e32 v6, 1, v3
	v_cndmask_b32_e32 v5, v5, v7, vcc_lo
	s_delay_alu instid0(VALU_DEP_1) | instskip(NEXT) | instid1(VALU_DEP_3)
	v_cmp_le_u32_e32 vcc_lo, s8, v5
	v_cndmask_b32_e32 v8, v3, v6, vcc_lo
.LBB9_11:                               ;   in Loop: Header=BB9_3 Depth=1
	s_or_b32 exec_lo, exec_lo, s0
	v_mad_u64_u32 v[5:6], null, v4, s30, 0
	s_delay_alu instid0(VALU_DEP_2) | instskip(SKIP_1) | instid1(VALU_DEP_2)
	v_mad_u64_u32 v[6:7], null, v8, s8, 0
	s_and_not1_b32 vcc_lo, exec_lo, s1
	v_sub_co_u32 v19, null, v0, v5
	s_delay_alu instid0(VALU_DEP_2) | instskip(NEXT) | instid1(VALU_DEP_2)
	v_sub_co_u32 v20, null, v4, v6
	v_mul_lo_u32 v3, s18, v19
	v_mul_lo_u32 v10, s20, v19
	s_delay_alu instid0(VALU_DEP_2) | instskip(NEXT) | instid1(VALU_DEP_2)
	v_mad_u64_u32 v[6:7], null, s10, v20, v[3:4]
	v_mad_u64_u32 v[4:5], null, s12, v20, v[10:11]
	s_cbranch_vccnz .LBB9_40
; %bb.12:                               ;   in Loop: Header=BB9_3 Depth=1
	s_and_not1_b32 vcc_lo, exec_lo, s41
	s_mov_b32 s13, 1
	s_cbranch_vccnz .LBB9_20
; %bb.13:                               ;   in Loop: Header=BB9_3 Depth=1
	v_dual_mov_b32 v11, v9 :: v_dual_mov_b32 v10, v8
	s_mov_b32 s16, s38
.LBB9_14:                               ;   Parent Loop BB9_3 Depth=1
                                        ; =>  This Inner Loop Header: Depth=2
	s_delay_alu instid0(SALU_CYCLE_1)
	s_lshl_b64 s[24:25], s[16:17], 2
                                        ; implicit-def: $vgpr8_vgpr9
	s_mov_b32 s26, exec_lo
	s_add_u32 s22, s31, s24
	s_addc_u32 s23, s33, s25
	s_load_b32 s43, s[22:23], 0x8
	s_waitcnt lgkmcnt(0)
	s_ashr_i32 s0, s43, 31
	s_delay_alu instid0(SALU_CYCLE_1) | instskip(NEXT) | instid1(VALU_DEP_1)
	v_or_b32_e32 v3, s0, v11
	v_cmpx_ne_u64_e32 0, v[2:3]
	s_xor_b32 s44, exec_lo, s26
	s_cbranch_execz .LBB9_16
; %bb.15:                               ;   in Loop: Header=BB9_14 Depth=2
	s_add_u32 s28, s43, s0
	s_mov_b32 s26, s0
	s_mov_b32 s27, s0
	s_addc_u32 s29, s0, s0
	s_delay_alu instid0(SALU_CYCLE_1) | instskip(NEXT) | instid1(SALU_CYCLE_1)
	s_xor_b64 s[28:29], s[28:29], s[26:27]
	v_cvt_f32_u32_e32 v3, s28
	v_cvt_f32_u32_e32 v5, s29
	s_sub_u32 s0, 0, s28
	s_subb_u32 s45, 0, s29
	s_delay_alu instid0(VALU_DEP_1) | instskip(NEXT) | instid1(VALU_DEP_1)
	v_fmac_f32_e32 v3, 0x4f800000, v5
	v_rcp_f32_e32 v3, v3
	s_waitcnt_depctr 0xfff
	v_mul_f32_e32 v3, 0x5f7ffffc, v3
	s_delay_alu instid0(VALU_DEP_1) | instskip(NEXT) | instid1(VALU_DEP_1)
	v_mul_f32_e32 v5, 0x2f800000, v3
	v_trunc_f32_e32 v5, v5
	s_delay_alu instid0(VALU_DEP_1) | instskip(SKIP_1) | instid1(VALU_DEP_2)
	v_fmac_f32_e32 v3, 0xcf800000, v5
	v_cvt_u32_f32_e32 v5, v5
	v_cvt_u32_f32_e32 v3, v3
	s_delay_alu instid0(VALU_DEP_2) | instskip(NEXT) | instid1(VALU_DEP_2)
	v_mul_lo_u32 v7, s0, v5
	v_mul_hi_u32 v8, s0, v3
	v_mul_lo_u32 v9, s45, v3
	s_delay_alu instid0(VALU_DEP_2) | instskip(SKIP_1) | instid1(VALU_DEP_2)
	v_add_nc_u32_e32 v7, v8, v7
	v_mul_lo_u32 v8, s0, v3
	v_add_nc_u32_e32 v7, v7, v9
	s_delay_alu instid0(VALU_DEP_2) | instskip(NEXT) | instid1(VALU_DEP_2)
	v_mul_hi_u32 v9, v3, v8
	v_mul_lo_u32 v12, v3, v7
	v_mul_hi_u32 v13, v3, v7
	v_mul_hi_u32 v14, v5, v8
	v_mul_lo_u32 v8, v5, v8
	v_mul_hi_u32 v15, v5, v7
	v_mul_lo_u32 v7, v5, v7
	v_add_co_u32 v9, vcc_lo, v9, v12
	v_add_co_ci_u32_e32 v12, vcc_lo, 0, v13, vcc_lo
	s_delay_alu instid0(VALU_DEP_2) | instskip(NEXT) | instid1(VALU_DEP_2)
	v_add_co_u32 v8, vcc_lo, v9, v8
	v_add_co_ci_u32_e32 v8, vcc_lo, v12, v14, vcc_lo
	v_add_co_ci_u32_e32 v9, vcc_lo, 0, v15, vcc_lo
	v_ashrrev_i32_e32 v15, 31, v11
	s_delay_alu instid0(VALU_DEP_3) | instskip(NEXT) | instid1(VALU_DEP_3)
	v_add_co_u32 v7, vcc_lo, v8, v7
	v_add_co_ci_u32_e32 v8, vcc_lo, 0, v9, vcc_lo
	s_delay_alu instid0(VALU_DEP_2) | instskip(NEXT) | instid1(VALU_DEP_2)
	v_add_co_u32 v3, vcc_lo, v3, v7
	v_add_co_ci_u32_e32 v5, vcc_lo, v5, v8, vcc_lo
	s_delay_alu instid0(VALU_DEP_2) | instskip(SKIP_1) | instid1(VALU_DEP_3)
	v_mul_hi_u32 v7, s0, v3
	v_mul_lo_u32 v9, s45, v3
	v_mul_lo_u32 v8, s0, v5
	s_delay_alu instid0(VALU_DEP_1) | instskip(SKIP_1) | instid1(VALU_DEP_2)
	v_add_nc_u32_e32 v7, v7, v8
	v_mul_lo_u32 v8, s0, v3
	v_add_nc_u32_e32 v7, v7, v9
	s_delay_alu instid0(VALU_DEP_2) | instskip(NEXT) | instid1(VALU_DEP_2)
	v_mul_hi_u32 v9, v3, v8
	v_mul_lo_u32 v12, v3, v7
	v_mul_hi_u32 v13, v3, v7
	v_mul_hi_u32 v14, v5, v8
	v_mul_lo_u32 v8, v5, v8
	v_mul_hi_u32 v16, v5, v7
	v_mul_lo_u32 v7, v5, v7
	v_add_co_u32 v9, vcc_lo, v9, v12
	v_add_co_ci_u32_e32 v12, vcc_lo, 0, v13, vcc_lo
	s_delay_alu instid0(VALU_DEP_2) | instskip(NEXT) | instid1(VALU_DEP_2)
	v_add_co_u32 v8, vcc_lo, v9, v8
	v_add_co_ci_u32_e32 v8, vcc_lo, v12, v14, vcc_lo
	v_add_co_ci_u32_e32 v9, vcc_lo, 0, v16, vcc_lo
	v_add_co_u32 v12, vcc_lo, v10, v15
	v_add_co_ci_u32_e32 v11, vcc_lo, v11, v15, vcc_lo
	s_delay_alu instid0(VALU_DEP_4) | instskip(NEXT) | instid1(VALU_DEP_4)
	v_add_co_u32 v7, vcc_lo, v8, v7
	v_add_co_ci_u32_e32 v8, vcc_lo, 0, v9, vcc_lo
	s_delay_alu instid0(VALU_DEP_4) | instskip(NEXT) | instid1(VALU_DEP_3)
	v_xor_b32_e32 v9, v12, v15
	v_add_co_u32 v3, vcc_lo, v3, v7
	s_delay_alu instid0(VALU_DEP_3) | instskip(SKIP_1) | instid1(VALU_DEP_3)
	v_add_co_ci_u32_e32 v5, vcc_lo, v5, v8, vcc_lo
	v_xor_b32_e32 v16, v11, v15
	v_mul_hi_u32 v17, v9, v3
	s_delay_alu instid0(VALU_DEP_3) | instskip(NEXT) | instid1(VALU_DEP_3)
	v_mad_u64_u32 v[7:8], null, v9, v5, 0
	v_mad_u64_u32 v[11:12], null, v16, v3, 0
	;; [unrolled: 1-line block ×3, first 2 shown]
	s_delay_alu instid0(VALU_DEP_3) | instskip(NEXT) | instid1(VALU_DEP_4)
	v_add_co_u32 v3, vcc_lo, v17, v7
	v_add_co_ci_u32_e32 v5, vcc_lo, 0, v8, vcc_lo
	s_delay_alu instid0(VALU_DEP_2) | instskip(NEXT) | instid1(VALU_DEP_2)
	v_add_co_u32 v3, vcc_lo, v3, v11
	v_add_co_ci_u32_e32 v3, vcc_lo, v5, v12, vcc_lo
	v_add_co_ci_u32_e32 v5, vcc_lo, 0, v14, vcc_lo
	s_delay_alu instid0(VALU_DEP_2) | instskip(NEXT) | instid1(VALU_DEP_2)
	v_add_co_u32 v3, vcc_lo, v3, v13
	v_add_co_ci_u32_e32 v5, vcc_lo, 0, v5, vcc_lo
	s_delay_alu instid0(VALU_DEP_2) | instskip(SKIP_1) | instid1(VALU_DEP_3)
	v_mul_lo_u32 v11, s29, v3
	v_mad_u64_u32 v[7:8], null, s28, v3, 0
	v_mul_lo_u32 v12, s28, v5
	s_delay_alu instid0(VALU_DEP_2) | instskip(NEXT) | instid1(VALU_DEP_2)
	v_sub_co_u32 v7, vcc_lo, v9, v7
	v_add3_u32 v8, v8, v12, v11
	s_delay_alu instid0(VALU_DEP_1) | instskip(NEXT) | instid1(VALU_DEP_1)
	v_sub_nc_u32_e32 v11, v16, v8
	v_subrev_co_ci_u32_e64 v9, s0, s29, v11, vcc_lo
	v_add_co_u32 v11, s0, v3, 2
	s_delay_alu instid0(VALU_DEP_1) | instskip(SKIP_3) | instid1(VALU_DEP_3)
	v_add_co_ci_u32_e64 v12, s0, 0, v5, s0
	v_sub_co_u32 v13, s0, v7, s28
	v_sub_co_ci_u32_e32 v8, vcc_lo, v16, v8, vcc_lo
	v_subrev_co_ci_u32_e64 v9, s0, 0, v9, s0
	v_cmp_le_u32_e32 vcc_lo, s28, v13
	s_delay_alu instid0(VALU_DEP_3) | instskip(SKIP_1) | instid1(VALU_DEP_4)
	v_cmp_eq_u32_e64 s0, s29, v8
	v_cndmask_b32_e64 v13, 0, -1, vcc_lo
	v_cmp_le_u32_e32 vcc_lo, s29, v9
	v_cndmask_b32_e64 v14, 0, -1, vcc_lo
	v_cmp_le_u32_e32 vcc_lo, s28, v7
	;; [unrolled: 2-line block ×3, first 2 shown]
	v_cndmask_b32_e64 v16, 0, -1, vcc_lo
	v_cmp_eq_u32_e32 vcc_lo, s29, v9
	s_delay_alu instid0(VALU_DEP_2) | instskip(SKIP_3) | instid1(VALU_DEP_3)
	v_cndmask_b32_e64 v7, v16, v7, s0
	v_cndmask_b32_e32 v9, v14, v13, vcc_lo
	v_add_co_u32 v13, vcc_lo, v3, 1
	v_add_co_ci_u32_e32 v14, vcc_lo, 0, v5, vcc_lo
	v_cmp_ne_u32_e32 vcc_lo, 0, v9
	s_delay_alu instid0(VALU_DEP_2) | instskip(SKIP_2) | instid1(VALU_DEP_3)
	v_dual_cndmask_b32 v8, v14, v12 :: v_dual_cndmask_b32 v9, v13, v11
	v_cmp_ne_u32_e32 vcc_lo, 0, v7
	v_xor_b32_e32 v7, s26, v15
	v_cndmask_b32_e32 v3, v3, v9, vcc_lo
	s_delay_alu instid0(VALU_DEP_4) | instskip(SKIP_1) | instid1(VALU_DEP_3)
	v_cndmask_b32_e32 v5, v5, v8, vcc_lo
	v_xor_b32_e32 v9, s27, v15
	v_xor_b32_e32 v3, v3, v7
	s_delay_alu instid0(VALU_DEP_2) | instskip(NEXT) | instid1(VALU_DEP_2)
	v_xor_b32_e32 v5, v5, v9
	v_sub_co_u32 v8, vcc_lo, v3, v7
	s_delay_alu instid0(VALU_DEP_2)
	v_sub_co_ci_u32_e32 v9, vcc_lo, v5, v9, vcc_lo
.LBB9_16:                               ;   in Loop: Header=BB9_14 Depth=2
	s_and_not1_saveexec_b32 s0, s44
	s_cbranch_execz .LBB9_18
; %bb.17:                               ;   in Loop: Header=BB9_14 Depth=2
	v_cvt_f32_u32_e32 v3, s43
	s_sub_i32 s26, 0, s43
	v_mov_b32_e32 v9, v2
	s_delay_alu instid0(VALU_DEP_2) | instskip(SKIP_2) | instid1(VALU_DEP_1)
	v_rcp_iflag_f32_e32 v3, v3
	s_waitcnt_depctr 0xfff
	v_mul_f32_e32 v3, 0x4f7ffffe, v3
	v_cvt_u32_f32_e32 v3, v3
	s_delay_alu instid0(VALU_DEP_1) | instskip(NEXT) | instid1(VALU_DEP_1)
	v_mul_lo_u32 v5, s26, v3
	v_mul_hi_u32 v5, v3, v5
	s_delay_alu instid0(VALU_DEP_1) | instskip(NEXT) | instid1(VALU_DEP_1)
	v_add_nc_u32_e32 v3, v3, v5
	v_mul_hi_u32 v3, v10, v3
	s_delay_alu instid0(VALU_DEP_1) | instskip(SKIP_1) | instid1(VALU_DEP_2)
	v_mul_lo_u32 v5, v3, s43
	v_add_nc_u32_e32 v7, 1, v3
	v_sub_nc_u32_e32 v5, v10, v5
	s_delay_alu instid0(VALU_DEP_1) | instskip(SKIP_1) | instid1(VALU_DEP_4)
	v_cmp_le_u32_e32 vcc_lo, s43, v5
	v_subrev_nc_u32_e32 v8, s43, v5
	v_cndmask_b32_e32 v3, v3, v7, vcc_lo
	s_delay_alu instid0(VALU_DEP_1) | instskip(NEXT) | instid1(VALU_DEP_3)
	v_add_nc_u32_e32 v7, 1, v3
	v_cndmask_b32_e32 v5, v5, v8, vcc_lo
	s_delay_alu instid0(VALU_DEP_1) | instskip(NEXT) | instid1(VALU_DEP_3)
	v_cmp_le_u32_e32 vcc_lo, s43, v5
	v_cndmask_b32_e32 v8, v3, v7, vcc_lo
.LBB9_18:                               ;   in Loop: Header=BB9_14 Depth=2
	s_or_b32 exec_lo, exec_lo, s0
	s_add_u32 s24, s36, s24
	s_addc_u32 s25, s37, s25
	s_clause 0x1
	s_load_b32 s0, s[22:23], 0x6c
	s_load_b32 s22, s[24:25], 0x0
	v_mul_lo_u32 v3, v8, s43
	s_add_i32 s16, s16, -1
	s_delay_alu instid0(VALU_DEP_1) | instskip(SKIP_1) | instid1(VALU_DEP_1)
	v_sub_nc_u32_e32 v3, v10, v3
	s_waitcnt lgkmcnt(0)
	v_mad_u64_u32 v[10:11], null, s0, v3, v[6:7]
	v_mad_u64_u32 v[5:6], null, s22, v3, v[4:5]
	s_xor_b32 s0, s39, s13
	s_add_i32 s13, s13, 1
	s_cmp_lg_u32 s0, 2
	s_delay_alu instid0(VALU_DEP_2) | instskip(NEXT) | instid1(VALU_DEP_2)
	v_mov_b32_e32 v6, v10
	v_mov_b32_e32 v4, v5
	s_cbranch_scc0 .LBB9_21
; %bb.19:                               ;   in Loop: Header=BB9_14 Depth=2
	v_dual_mov_b32 v11, v9 :: v_dual_mov_b32 v10, v8
	s_branch .LBB9_14
.LBB9_20:                               ;   in Loop: Header=BB9_3 Depth=1
	s_mov_b32 s16, s38
.LBB9_21:                               ;   in Loop: Header=BB9_3 Depth=1
	s_and_b32 vcc_lo, exec_lo, s42
	s_cbranch_vccz .LBB9_40
.LBB9_22:                               ;   Parent Loop BB9_3 Depth=1
                                        ; =>  This Inner Loop Header: Depth=2
	s_lshl_b64 s[22:23], s[16:17], 2
                                        ; implicit-def: $vgpr10_vgpr11
	s_mov_b32 s26, exec_lo
	s_add_u32 s24, s31, s22
	s_addc_u32 s25, s33, s23
	s_load_b32 s13, s[24:25], 0x8
	s_waitcnt lgkmcnt(0)
	s_ashr_i32 s0, s13, 31
	s_delay_alu instid0(SALU_CYCLE_1) | instskip(NEXT) | instid1(VALU_DEP_1)
	v_or_b32_e32 v3, s0, v9
	v_cmpx_ne_u64_e32 0, v[2:3]
	s_xor_b32 s43, exec_lo, s26
	s_cbranch_execz .LBB9_24
; %bb.23:                               ;   in Loop: Header=BB9_22 Depth=2
	s_add_u32 s28, s13, s0
	s_mov_b32 s26, s0
	s_mov_b32 s27, s0
	s_addc_u32 s29, s0, s0
	s_delay_alu instid0(SALU_CYCLE_1) | instskip(NEXT) | instid1(SALU_CYCLE_1)
	s_xor_b64 s[28:29], s[28:29], s[26:27]
	v_cvt_f32_u32_e32 v3, s28
	v_cvt_f32_u32_e32 v5, s29
	s_sub_u32 s0, 0, s28
	s_subb_u32 s44, 0, s29
	s_delay_alu instid0(VALU_DEP_1) | instskip(NEXT) | instid1(VALU_DEP_1)
	v_fmac_f32_e32 v3, 0x4f800000, v5
	v_rcp_f32_e32 v3, v3
	s_waitcnt_depctr 0xfff
	v_mul_f32_e32 v3, 0x5f7ffffc, v3
	s_delay_alu instid0(VALU_DEP_1) | instskip(NEXT) | instid1(VALU_DEP_1)
	v_mul_f32_e32 v5, 0x2f800000, v3
	v_trunc_f32_e32 v5, v5
	s_delay_alu instid0(VALU_DEP_1) | instskip(SKIP_1) | instid1(VALU_DEP_2)
	v_fmac_f32_e32 v3, 0xcf800000, v5
	v_cvt_u32_f32_e32 v5, v5
	v_cvt_u32_f32_e32 v3, v3
	s_delay_alu instid0(VALU_DEP_2) | instskip(NEXT) | instid1(VALU_DEP_2)
	v_mul_lo_u32 v7, s0, v5
	v_mul_hi_u32 v10, s0, v3
	v_mul_lo_u32 v11, s44, v3
	s_delay_alu instid0(VALU_DEP_2) | instskip(SKIP_1) | instid1(VALU_DEP_2)
	v_add_nc_u32_e32 v7, v10, v7
	v_mul_lo_u32 v10, s0, v3
	v_add_nc_u32_e32 v7, v7, v11
	s_delay_alu instid0(VALU_DEP_2) | instskip(NEXT) | instid1(VALU_DEP_2)
	v_mul_hi_u32 v11, v3, v10
	v_mul_lo_u32 v12, v3, v7
	v_mul_hi_u32 v13, v3, v7
	v_mul_hi_u32 v14, v5, v10
	v_mul_lo_u32 v10, v5, v10
	v_mul_hi_u32 v15, v5, v7
	v_mul_lo_u32 v7, v5, v7
	v_add_co_u32 v11, vcc_lo, v11, v12
	v_add_co_ci_u32_e32 v12, vcc_lo, 0, v13, vcc_lo
	s_delay_alu instid0(VALU_DEP_2) | instskip(NEXT) | instid1(VALU_DEP_2)
	v_add_co_u32 v10, vcc_lo, v11, v10
	v_add_co_ci_u32_e32 v10, vcc_lo, v12, v14, vcc_lo
	v_add_co_ci_u32_e32 v11, vcc_lo, 0, v15, vcc_lo
	v_ashrrev_i32_e32 v15, 31, v9
	s_delay_alu instid0(VALU_DEP_3) | instskip(NEXT) | instid1(VALU_DEP_3)
	v_add_co_u32 v7, vcc_lo, v10, v7
	v_add_co_ci_u32_e32 v10, vcc_lo, 0, v11, vcc_lo
	s_delay_alu instid0(VALU_DEP_2) | instskip(NEXT) | instid1(VALU_DEP_2)
	v_add_co_u32 v3, vcc_lo, v3, v7
	v_add_co_ci_u32_e32 v5, vcc_lo, v5, v10, vcc_lo
	s_delay_alu instid0(VALU_DEP_2) | instskip(SKIP_1) | instid1(VALU_DEP_3)
	v_mul_hi_u32 v7, s0, v3
	v_mul_lo_u32 v11, s44, v3
	v_mul_lo_u32 v10, s0, v5
	s_delay_alu instid0(VALU_DEP_1) | instskip(SKIP_1) | instid1(VALU_DEP_2)
	v_add_nc_u32_e32 v7, v7, v10
	v_mul_lo_u32 v10, s0, v3
	v_add_nc_u32_e32 v7, v7, v11
	s_delay_alu instid0(VALU_DEP_2) | instskip(NEXT) | instid1(VALU_DEP_2)
	v_mul_hi_u32 v11, v3, v10
	v_mul_lo_u32 v12, v3, v7
	v_mul_hi_u32 v13, v3, v7
	v_mul_hi_u32 v14, v5, v10
	v_mul_lo_u32 v10, v5, v10
	v_mul_hi_u32 v16, v5, v7
	v_mul_lo_u32 v7, v5, v7
	v_add_co_u32 v11, vcc_lo, v11, v12
	v_add_co_ci_u32_e32 v12, vcc_lo, 0, v13, vcc_lo
	s_delay_alu instid0(VALU_DEP_2) | instskip(NEXT) | instid1(VALU_DEP_2)
	v_add_co_u32 v10, vcc_lo, v11, v10
	v_add_co_ci_u32_e32 v10, vcc_lo, v12, v14, vcc_lo
	v_add_co_ci_u32_e32 v11, vcc_lo, 0, v16, vcc_lo
	v_add_co_u32 v12, vcc_lo, v8, v15
	v_add_co_ci_u32_e32 v9, vcc_lo, v9, v15, vcc_lo
	s_delay_alu instid0(VALU_DEP_4) | instskip(NEXT) | instid1(VALU_DEP_4)
	v_add_co_u32 v7, vcc_lo, v10, v7
	v_add_co_ci_u32_e32 v10, vcc_lo, 0, v11, vcc_lo
	s_delay_alu instid0(VALU_DEP_4) | instskip(NEXT) | instid1(VALU_DEP_3)
	v_xor_b32_e32 v16, v12, v15
	v_add_co_u32 v3, vcc_lo, v3, v7
	s_delay_alu instid0(VALU_DEP_3) | instskip(SKIP_1) | instid1(VALU_DEP_3)
	v_add_co_ci_u32_e32 v5, vcc_lo, v5, v10, vcc_lo
	v_xor_b32_e32 v7, v9, v15
	v_mul_hi_u32 v17, v16, v3
	s_delay_alu instid0(VALU_DEP_3) | instskip(NEXT) | instid1(VALU_DEP_3)
	v_mad_u64_u32 v[9:10], null, v16, v5, 0
	v_mad_u64_u32 v[11:12], null, v7, v3, 0
	;; [unrolled: 1-line block ×3, first 2 shown]
	s_delay_alu instid0(VALU_DEP_3) | instskip(NEXT) | instid1(VALU_DEP_4)
	v_add_co_u32 v3, vcc_lo, v17, v9
	v_add_co_ci_u32_e32 v5, vcc_lo, 0, v10, vcc_lo
	s_delay_alu instid0(VALU_DEP_2) | instskip(NEXT) | instid1(VALU_DEP_2)
	v_add_co_u32 v3, vcc_lo, v3, v11
	v_add_co_ci_u32_e32 v3, vcc_lo, v5, v12, vcc_lo
	v_add_co_ci_u32_e32 v5, vcc_lo, 0, v14, vcc_lo
	s_delay_alu instid0(VALU_DEP_2) | instskip(NEXT) | instid1(VALU_DEP_2)
	v_add_co_u32 v3, vcc_lo, v3, v13
	v_add_co_ci_u32_e32 v5, vcc_lo, 0, v5, vcc_lo
	s_delay_alu instid0(VALU_DEP_2) | instskip(SKIP_1) | instid1(VALU_DEP_3)
	v_mul_lo_u32 v11, s29, v3
	v_mad_u64_u32 v[9:10], null, s28, v3, 0
	v_mul_lo_u32 v12, s28, v5
	s_delay_alu instid0(VALU_DEP_2) | instskip(NEXT) | instid1(VALU_DEP_2)
	v_sub_co_u32 v9, vcc_lo, v16, v9
	v_add3_u32 v10, v10, v12, v11
	s_delay_alu instid0(VALU_DEP_1) | instskip(NEXT) | instid1(VALU_DEP_1)
	v_sub_nc_u32_e32 v11, v7, v10
	v_subrev_co_ci_u32_e64 v11, s0, s29, v11, vcc_lo
	v_add_co_u32 v12, s0, v3, 2
	s_delay_alu instid0(VALU_DEP_1) | instskip(SKIP_3) | instid1(VALU_DEP_3)
	v_add_co_ci_u32_e64 v13, s0, 0, v5, s0
	v_sub_co_u32 v14, s0, v9, s28
	v_sub_co_ci_u32_e32 v7, vcc_lo, v7, v10, vcc_lo
	v_subrev_co_ci_u32_e64 v11, s0, 0, v11, s0
	v_cmp_le_u32_e32 vcc_lo, s28, v14
	s_delay_alu instid0(VALU_DEP_3) | instskip(SKIP_1) | instid1(VALU_DEP_4)
	v_cmp_eq_u32_e64 s0, s29, v7
	v_cndmask_b32_e64 v10, 0, -1, vcc_lo
	v_cmp_le_u32_e32 vcc_lo, s29, v11
	v_cndmask_b32_e64 v14, 0, -1, vcc_lo
	v_cmp_le_u32_e32 vcc_lo, s28, v9
	;; [unrolled: 2-line block ×3, first 2 shown]
	v_cndmask_b32_e64 v16, 0, -1, vcc_lo
	v_cmp_eq_u32_e32 vcc_lo, s29, v11
	s_delay_alu instid0(VALU_DEP_2) | instskip(SKIP_3) | instid1(VALU_DEP_3)
	v_cndmask_b32_e64 v7, v16, v9, s0
	v_cndmask_b32_e32 v10, v14, v10, vcc_lo
	v_add_co_u32 v11, vcc_lo, v3, 1
	v_add_co_ci_u32_e32 v14, vcc_lo, 0, v5, vcc_lo
	v_cmp_ne_u32_e32 vcc_lo, 0, v10
	s_delay_alu instid0(VALU_DEP_2) | instskip(SKIP_2) | instid1(VALU_DEP_3)
	v_dual_cndmask_b32 v10, v11, v12 :: v_dual_cndmask_b32 v9, v14, v13
	v_cmp_ne_u32_e32 vcc_lo, 0, v7
	v_xor_b32_e32 v7, s26, v15
	v_cndmask_b32_e32 v3, v3, v10, vcc_lo
	s_delay_alu instid0(VALU_DEP_4) | instskip(SKIP_1) | instid1(VALU_DEP_3)
	v_cndmask_b32_e32 v5, v5, v9, vcc_lo
	v_xor_b32_e32 v9, s27, v15
	v_xor_b32_e32 v3, v3, v7
	s_delay_alu instid0(VALU_DEP_2) | instskip(NEXT) | instid1(VALU_DEP_2)
	v_xor_b32_e32 v5, v5, v9
	v_sub_co_u32 v10, vcc_lo, v3, v7
	s_delay_alu instid0(VALU_DEP_2)
	v_sub_co_ci_u32_e32 v11, vcc_lo, v5, v9, vcc_lo
.LBB9_24:                               ;   in Loop: Header=BB9_22 Depth=2
	s_and_not1_saveexec_b32 s0, s43
	s_cbranch_execz .LBB9_26
; %bb.25:                               ;   in Loop: Header=BB9_22 Depth=2
	v_cvt_f32_u32_e32 v3, s13
	s_sub_i32 s26, 0, s13
	v_mov_b32_e32 v11, v2
	s_delay_alu instid0(VALU_DEP_2) | instskip(SKIP_2) | instid1(VALU_DEP_1)
	v_rcp_iflag_f32_e32 v3, v3
	s_waitcnt_depctr 0xfff
	v_mul_f32_e32 v3, 0x4f7ffffe, v3
	v_cvt_u32_f32_e32 v3, v3
	s_delay_alu instid0(VALU_DEP_1) | instskip(NEXT) | instid1(VALU_DEP_1)
	v_mul_lo_u32 v5, s26, v3
	v_mul_hi_u32 v5, v3, v5
	s_delay_alu instid0(VALU_DEP_1) | instskip(NEXT) | instid1(VALU_DEP_1)
	v_add_nc_u32_e32 v3, v3, v5
	v_mul_hi_u32 v3, v8, v3
	s_delay_alu instid0(VALU_DEP_1) | instskip(SKIP_1) | instid1(VALU_DEP_2)
	v_mul_lo_u32 v5, v3, s13
	v_add_nc_u32_e32 v7, 1, v3
	v_sub_nc_u32_e32 v5, v8, v5
	s_delay_alu instid0(VALU_DEP_1) | instskip(SKIP_1) | instid1(VALU_DEP_4)
	v_cmp_le_u32_e32 vcc_lo, s13, v5
	v_subrev_nc_u32_e32 v9, s13, v5
	v_cndmask_b32_e32 v3, v3, v7, vcc_lo
	s_delay_alu instid0(VALU_DEP_1) | instskip(NEXT) | instid1(VALU_DEP_3)
	v_add_nc_u32_e32 v7, 1, v3
	v_cndmask_b32_e32 v5, v5, v9, vcc_lo
	s_delay_alu instid0(VALU_DEP_1) | instskip(NEXT) | instid1(VALU_DEP_3)
	v_cmp_le_u32_e32 vcc_lo, s13, v5
	v_cndmask_b32_e32 v10, v3, v7, vcc_lo
.LBB9_26:                               ;   in Loop: Header=BB9_22 Depth=2
	s_or_b32 exec_lo, exec_lo, s0
	s_add_u32 s28, s36, s22
	s_addc_u32 s29, s37, s23
	s_add_i32 s22, s16, -1
	s_mov_b32 s23, s17
                                        ; implicit-def: $vgpr12_vgpr13
	s_delay_alu instid0(SALU_CYCLE_1) | instskip(NEXT) | instid1(SALU_CYCLE_1)
	s_lshl_b64 s[26:27], s[22:23], 2
	s_add_u32 s22, s31, s26
	s_addc_u32 s23, s33, s27
	s_clause 0x2
	s_load_b32 s45, s[22:23], 0x8
	s_load_b32 s43, s[24:25], 0x6c
	;; [unrolled: 1-line block ×3, first 2 shown]
	s_mov_b32 s24, exec_lo
	s_waitcnt lgkmcnt(0)
	s_ashr_i32 s0, s45, 31
	s_delay_alu instid0(SALU_CYCLE_1) | instskip(NEXT) | instid1(VALU_DEP_1)
	v_or_b32_e32 v3, s0, v11
	v_cmpx_ne_u64_e32 0, v[2:3]
	s_xor_b32 s46, exec_lo, s24
	s_cbranch_execz .LBB9_28
; %bb.27:                               ;   in Loop: Header=BB9_22 Depth=2
	s_add_u32 s28, s45, s0
	s_mov_b32 s24, s0
	s_mov_b32 s25, s0
	s_addc_u32 s29, s0, s0
	v_ashrrev_i32_e32 v17, 31, v11
	s_xor_b64 s[28:29], s[28:29], s[24:25]
	s_delay_alu instid0(SALU_CYCLE_1) | instskip(SKIP_3) | instid1(VALU_DEP_1)
	v_cvt_f32_u32_e32 v3, s28
	v_cvt_f32_u32_e32 v5, s29
	s_sub_u32 s0, 0, s28
	s_subb_u32 s47, 0, s29
	v_fmac_f32_e32 v3, 0x4f800000, v5
	s_delay_alu instid0(VALU_DEP_1) | instskip(SKIP_2) | instid1(VALU_DEP_1)
	v_rcp_f32_e32 v3, v3
	s_waitcnt_depctr 0xfff
	v_mul_f32_e32 v3, 0x5f7ffffc, v3
	v_mul_f32_e32 v5, 0x2f800000, v3
	s_delay_alu instid0(VALU_DEP_1) | instskip(NEXT) | instid1(VALU_DEP_1)
	v_trunc_f32_e32 v5, v5
	v_fmac_f32_e32 v3, 0xcf800000, v5
	v_cvt_u32_f32_e32 v5, v5
	s_delay_alu instid0(VALU_DEP_2) | instskip(NEXT) | instid1(VALU_DEP_2)
	v_cvt_u32_f32_e32 v3, v3
	v_mul_lo_u32 v7, s0, v5
	s_delay_alu instid0(VALU_DEP_2) | instskip(SKIP_1) | instid1(VALU_DEP_2)
	v_mul_hi_u32 v9, s0, v3
	v_mul_lo_u32 v12, s47, v3
	v_add_nc_u32_e32 v7, v9, v7
	v_mul_lo_u32 v9, s0, v3
	s_delay_alu instid0(VALU_DEP_2) | instskip(NEXT) | instid1(VALU_DEP_2)
	v_add_nc_u32_e32 v7, v7, v12
	v_mul_hi_u32 v12, v3, v9
	s_delay_alu instid0(VALU_DEP_2)
	v_mul_lo_u32 v13, v3, v7
	v_mul_hi_u32 v14, v3, v7
	v_mul_hi_u32 v15, v5, v9
	v_mul_lo_u32 v9, v5, v9
	v_mul_hi_u32 v16, v5, v7
	v_mul_lo_u32 v7, v5, v7
	v_add_co_u32 v12, vcc_lo, v12, v13
	v_add_co_ci_u32_e32 v13, vcc_lo, 0, v14, vcc_lo
	s_delay_alu instid0(VALU_DEP_2) | instskip(NEXT) | instid1(VALU_DEP_2)
	v_add_co_u32 v9, vcc_lo, v12, v9
	v_add_co_ci_u32_e32 v9, vcc_lo, v13, v15, vcc_lo
	v_add_co_ci_u32_e32 v12, vcc_lo, 0, v16, vcc_lo
	s_delay_alu instid0(VALU_DEP_2) | instskip(NEXT) | instid1(VALU_DEP_2)
	v_add_co_u32 v7, vcc_lo, v9, v7
	v_add_co_ci_u32_e32 v9, vcc_lo, 0, v12, vcc_lo
	s_delay_alu instid0(VALU_DEP_2) | instskip(NEXT) | instid1(VALU_DEP_2)
	v_add_co_u32 v3, vcc_lo, v3, v7
	v_add_co_ci_u32_e32 v5, vcc_lo, v5, v9, vcc_lo
	s_delay_alu instid0(VALU_DEP_2) | instskip(SKIP_1) | instid1(VALU_DEP_3)
	v_mul_hi_u32 v7, s0, v3
	v_mul_lo_u32 v12, s47, v3
	v_mul_lo_u32 v9, s0, v5
	s_delay_alu instid0(VALU_DEP_1) | instskip(SKIP_1) | instid1(VALU_DEP_2)
	v_add_nc_u32_e32 v7, v7, v9
	v_mul_lo_u32 v9, s0, v3
	v_add_nc_u32_e32 v7, v7, v12
	s_delay_alu instid0(VALU_DEP_2) | instskip(NEXT) | instid1(VALU_DEP_2)
	v_mul_hi_u32 v12, v3, v9
	v_mul_lo_u32 v13, v3, v7
	v_mul_hi_u32 v14, v3, v7
	v_mul_hi_u32 v15, v5, v9
	v_mul_lo_u32 v9, v5, v9
	v_mul_hi_u32 v16, v5, v7
	v_mul_lo_u32 v7, v5, v7
	v_add_co_u32 v12, vcc_lo, v12, v13
	v_add_co_ci_u32_e32 v13, vcc_lo, 0, v14, vcc_lo
	s_delay_alu instid0(VALU_DEP_2) | instskip(NEXT) | instid1(VALU_DEP_2)
	v_add_co_u32 v9, vcc_lo, v12, v9
	v_add_co_ci_u32_e32 v9, vcc_lo, v13, v15, vcc_lo
	v_add_co_ci_u32_e32 v12, vcc_lo, 0, v16, vcc_lo
	v_add_co_u32 v13, vcc_lo, v10, v17
	v_add_co_ci_u32_e32 v11, vcc_lo, v11, v17, vcc_lo
	s_delay_alu instid0(VALU_DEP_4) | instskip(NEXT) | instid1(VALU_DEP_4)
	v_add_co_u32 v7, vcc_lo, v9, v7
	v_add_co_ci_u32_e32 v9, vcc_lo, 0, v12, vcc_lo
	s_delay_alu instid0(VALU_DEP_4) | instskip(NEXT) | instid1(VALU_DEP_3)
	v_xor_b32_e32 v21, v13, v17
	v_add_co_u32 v3, vcc_lo, v3, v7
	s_delay_alu instid0(VALU_DEP_3) | instskip(SKIP_1) | instid1(VALU_DEP_3)
	v_add_co_ci_u32_e32 v5, vcc_lo, v5, v9, vcc_lo
	v_xor_b32_e32 v7, v11, v17
	v_mul_hi_u32 v9, v21, v3
	s_delay_alu instid0(VALU_DEP_3) | instskip(NEXT) | instid1(VALU_DEP_3)
	v_mad_u64_u32 v[11:12], null, v21, v5, 0
	v_mad_u64_u32 v[13:14], null, v7, v3, 0
	;; [unrolled: 1-line block ×3, first 2 shown]
	s_delay_alu instid0(VALU_DEP_3) | instskip(NEXT) | instid1(VALU_DEP_4)
	v_add_co_u32 v3, vcc_lo, v9, v11
	v_add_co_ci_u32_e32 v5, vcc_lo, 0, v12, vcc_lo
	s_delay_alu instid0(VALU_DEP_2) | instskip(NEXT) | instid1(VALU_DEP_2)
	v_add_co_u32 v3, vcc_lo, v3, v13
	v_add_co_ci_u32_e32 v3, vcc_lo, v5, v14, vcc_lo
	v_add_co_ci_u32_e32 v5, vcc_lo, 0, v16, vcc_lo
	s_delay_alu instid0(VALU_DEP_2) | instskip(NEXT) | instid1(VALU_DEP_2)
	v_add_co_u32 v3, vcc_lo, v3, v15
	v_add_co_ci_u32_e32 v5, vcc_lo, 0, v5, vcc_lo
	s_delay_alu instid0(VALU_DEP_2) | instskip(SKIP_1) | instid1(VALU_DEP_3)
	v_mul_lo_u32 v9, s29, v3
	v_mad_u64_u32 v[11:12], null, s28, v3, 0
	v_mul_lo_u32 v13, s28, v5
	s_delay_alu instid0(VALU_DEP_2) | instskip(NEXT) | instid1(VALU_DEP_2)
	v_sub_co_u32 v11, vcc_lo, v21, v11
	v_add3_u32 v9, v12, v13, v9
	s_delay_alu instid0(VALU_DEP_1) | instskip(NEXT) | instid1(VALU_DEP_1)
	v_sub_nc_u32_e32 v12, v7, v9
	v_subrev_co_ci_u32_e64 v12, s0, s29, v12, vcc_lo
	v_add_co_u32 v13, s0, v3, 2
	s_delay_alu instid0(VALU_DEP_1) | instskip(SKIP_3) | instid1(VALU_DEP_3)
	v_add_co_ci_u32_e64 v14, s0, 0, v5, s0
	v_sub_co_u32 v15, s0, v11, s28
	v_sub_co_ci_u32_e32 v7, vcc_lo, v7, v9, vcc_lo
	v_subrev_co_ci_u32_e64 v12, s0, 0, v12, s0
	v_cmp_le_u32_e32 vcc_lo, s28, v15
	s_delay_alu instid0(VALU_DEP_3) | instskip(SKIP_1) | instid1(VALU_DEP_4)
	v_cmp_eq_u32_e64 s0, s29, v7
	v_cndmask_b32_e64 v9, 0, -1, vcc_lo
	v_cmp_le_u32_e32 vcc_lo, s29, v12
	v_cndmask_b32_e64 v15, 0, -1, vcc_lo
	v_cmp_le_u32_e32 vcc_lo, s28, v11
	;; [unrolled: 2-line block ×3, first 2 shown]
	v_cndmask_b32_e64 v16, 0, -1, vcc_lo
	v_cmp_eq_u32_e32 vcc_lo, s29, v12
	s_delay_alu instid0(VALU_DEP_2) | instskip(SKIP_3) | instid1(VALU_DEP_3)
	v_cndmask_b32_e64 v7, v16, v11, s0
	v_cndmask_b32_e32 v9, v15, v9, vcc_lo
	v_add_co_u32 v12, vcc_lo, v3, 1
	v_add_co_ci_u32_e32 v15, vcc_lo, 0, v5, vcc_lo
	v_cmp_ne_u32_e32 vcc_lo, 0, v9
	s_delay_alu instid0(VALU_DEP_2) | instskip(NEXT) | instid1(VALU_DEP_4)
	v_cndmask_b32_e32 v9, v15, v14, vcc_lo
	v_cndmask_b32_e32 v11, v12, v13, vcc_lo
	v_cmp_ne_u32_e32 vcc_lo, 0, v7
	v_xor_b32_e32 v7, s24, v17
	s_delay_alu instid0(VALU_DEP_3) | instskip(SKIP_2) | instid1(VALU_DEP_3)
	v_cndmask_b32_e32 v3, v3, v11, vcc_lo
	v_cndmask_b32_e32 v5, v5, v9, vcc_lo
	v_xor_b32_e32 v9, s25, v17
	v_xor_b32_e32 v3, v3, v7
	s_delay_alu instid0(VALU_DEP_2) | instskip(NEXT) | instid1(VALU_DEP_2)
	v_xor_b32_e32 v5, v5, v9
	v_sub_co_u32 v12, vcc_lo, v3, v7
	s_delay_alu instid0(VALU_DEP_2)
	v_sub_co_ci_u32_e32 v13, vcc_lo, v5, v9, vcc_lo
.LBB9_28:                               ;   in Loop: Header=BB9_22 Depth=2
	s_and_not1_saveexec_b32 s0, s46
	s_cbranch_execz .LBB9_30
; %bb.29:                               ;   in Loop: Header=BB9_22 Depth=2
	v_cvt_f32_u32_e32 v3, s45
	s_sub_i32 s24, 0, s45
	v_mov_b32_e32 v13, v2
	s_delay_alu instid0(VALU_DEP_2) | instskip(SKIP_2) | instid1(VALU_DEP_1)
	v_rcp_iflag_f32_e32 v3, v3
	s_waitcnt_depctr 0xfff
	v_mul_f32_e32 v3, 0x4f7ffffe, v3
	v_cvt_u32_f32_e32 v3, v3
	s_delay_alu instid0(VALU_DEP_1) | instskip(NEXT) | instid1(VALU_DEP_1)
	v_mul_lo_u32 v5, s24, v3
	v_mul_hi_u32 v5, v3, v5
	s_delay_alu instid0(VALU_DEP_1) | instskip(NEXT) | instid1(VALU_DEP_1)
	v_add_nc_u32_e32 v3, v3, v5
	v_mul_hi_u32 v3, v10, v3
	s_delay_alu instid0(VALU_DEP_1) | instskip(SKIP_1) | instid1(VALU_DEP_2)
	v_mul_lo_u32 v5, v3, s45
	v_add_nc_u32_e32 v7, 1, v3
	v_sub_nc_u32_e32 v5, v10, v5
	s_delay_alu instid0(VALU_DEP_1) | instskip(SKIP_1) | instid1(VALU_DEP_4)
	v_cmp_le_u32_e32 vcc_lo, s45, v5
	v_subrev_nc_u32_e32 v9, s45, v5
	v_cndmask_b32_e32 v3, v3, v7, vcc_lo
	s_delay_alu instid0(VALU_DEP_1) | instskip(NEXT) | instid1(VALU_DEP_3)
	v_add_nc_u32_e32 v7, 1, v3
	v_cndmask_b32_e32 v5, v5, v9, vcc_lo
	s_delay_alu instid0(VALU_DEP_1) | instskip(NEXT) | instid1(VALU_DEP_3)
	v_cmp_le_u32_e32 vcc_lo, s45, v5
	v_cndmask_b32_e32 v12, v3, v7, vcc_lo
.LBB9_30:                               ;   in Loop: Header=BB9_22 Depth=2
	s_or_b32 exec_lo, exec_lo, s0
	s_add_u32 s28, s36, s26
	s_addc_u32 s29, s37, s27
	s_add_i32 s24, s16, -2
	s_mov_b32 s25, s17
                                        ; implicit-def: $vgpr14_vgpr15
	s_delay_alu instid0(SALU_CYCLE_1) | instskip(NEXT) | instid1(SALU_CYCLE_1)
	s_lshl_b64 s[24:25], s[24:25], 2
	s_add_u32 s26, s31, s24
	s_addc_u32 s27, s33, s25
	s_clause 0x2
	s_load_b32 s48, s[26:27], 0x8
	s_load_b32 s46, s[22:23], 0x6c
	;; [unrolled: 1-line block ×3, first 2 shown]
	s_mov_b32 s22, exec_lo
	s_waitcnt lgkmcnt(0)
	s_ashr_i32 s0, s48, 31
	s_delay_alu instid0(SALU_CYCLE_1) | instskip(NEXT) | instid1(VALU_DEP_1)
	v_or_b32_e32 v3, s0, v13
	v_cmpx_ne_u64_e32 0, v[2:3]
	s_xor_b32 s49, exec_lo, s22
	s_cbranch_execz .LBB9_32
; %bb.31:                               ;   in Loop: Header=BB9_22 Depth=2
	s_add_u32 s28, s48, s0
	s_mov_b32 s22, s0
	s_mov_b32 s23, s0
	s_addc_u32 s29, s0, s0
	s_delay_alu instid0(SALU_CYCLE_1) | instskip(NEXT) | instid1(SALU_CYCLE_1)
	s_xor_b64 s[28:29], s[28:29], s[22:23]
	v_cvt_f32_u32_e32 v3, s28
	v_cvt_f32_u32_e32 v5, s29
	s_sub_u32 s0, 0, s28
	s_subb_u32 s50, 0, s29
	s_delay_alu instid0(VALU_DEP_1) | instskip(NEXT) | instid1(VALU_DEP_1)
	v_fmac_f32_e32 v3, 0x4f800000, v5
	v_rcp_f32_e32 v3, v3
	s_waitcnt_depctr 0xfff
	v_mul_f32_e32 v3, 0x5f7ffffc, v3
	s_delay_alu instid0(VALU_DEP_1) | instskip(NEXT) | instid1(VALU_DEP_1)
	v_mul_f32_e32 v5, 0x2f800000, v3
	v_trunc_f32_e32 v5, v5
	s_delay_alu instid0(VALU_DEP_1) | instskip(SKIP_1) | instid1(VALU_DEP_2)
	v_fmac_f32_e32 v3, 0xcf800000, v5
	v_cvt_u32_f32_e32 v5, v5
	v_cvt_u32_f32_e32 v3, v3
	s_delay_alu instid0(VALU_DEP_2) | instskip(NEXT) | instid1(VALU_DEP_2)
	v_mul_lo_u32 v7, s0, v5
	v_mul_hi_u32 v9, s0, v3
	v_mul_lo_u32 v11, s50, v3
	s_delay_alu instid0(VALU_DEP_2) | instskip(SKIP_1) | instid1(VALU_DEP_2)
	v_add_nc_u32_e32 v7, v9, v7
	v_mul_lo_u32 v9, s0, v3
	v_add_nc_u32_e32 v7, v7, v11
	s_delay_alu instid0(VALU_DEP_2) | instskip(NEXT) | instid1(VALU_DEP_2)
	v_mul_hi_u32 v11, v3, v9
	v_mul_lo_u32 v14, v3, v7
	v_mul_hi_u32 v15, v3, v7
	v_mul_hi_u32 v16, v5, v9
	v_mul_lo_u32 v9, v5, v9
	v_mul_hi_u32 v17, v5, v7
	v_mul_lo_u32 v7, v5, v7
	v_add_co_u32 v11, vcc_lo, v11, v14
	v_add_co_ci_u32_e32 v14, vcc_lo, 0, v15, vcc_lo
	s_delay_alu instid0(VALU_DEP_2) | instskip(NEXT) | instid1(VALU_DEP_2)
	v_add_co_u32 v9, vcc_lo, v11, v9
	v_add_co_ci_u32_e32 v9, vcc_lo, v14, v16, vcc_lo
	v_add_co_ci_u32_e32 v11, vcc_lo, 0, v17, vcc_lo
	v_ashrrev_i32_e32 v17, 31, v13
	s_delay_alu instid0(VALU_DEP_3) | instskip(NEXT) | instid1(VALU_DEP_3)
	v_add_co_u32 v7, vcc_lo, v9, v7
	v_add_co_ci_u32_e32 v9, vcc_lo, 0, v11, vcc_lo
	s_delay_alu instid0(VALU_DEP_2) | instskip(NEXT) | instid1(VALU_DEP_2)
	v_add_co_u32 v3, vcc_lo, v3, v7
	v_add_co_ci_u32_e32 v5, vcc_lo, v5, v9, vcc_lo
	s_delay_alu instid0(VALU_DEP_2) | instskip(SKIP_1) | instid1(VALU_DEP_3)
	v_mul_hi_u32 v7, s0, v3
	v_mul_lo_u32 v11, s50, v3
	v_mul_lo_u32 v9, s0, v5
	s_delay_alu instid0(VALU_DEP_1) | instskip(SKIP_1) | instid1(VALU_DEP_2)
	v_add_nc_u32_e32 v7, v7, v9
	v_mul_lo_u32 v9, s0, v3
	v_add_nc_u32_e32 v7, v7, v11
	s_delay_alu instid0(VALU_DEP_2) | instskip(NEXT) | instid1(VALU_DEP_2)
	v_mul_hi_u32 v11, v3, v9
	v_mul_lo_u32 v14, v3, v7
	v_mul_hi_u32 v15, v3, v7
	v_mul_hi_u32 v16, v5, v9
	v_mul_lo_u32 v9, v5, v9
	v_mul_hi_u32 v21, v5, v7
	v_mul_lo_u32 v7, v5, v7
	v_add_co_u32 v11, vcc_lo, v11, v14
	v_add_co_ci_u32_e32 v14, vcc_lo, 0, v15, vcc_lo
	s_delay_alu instid0(VALU_DEP_2) | instskip(NEXT) | instid1(VALU_DEP_2)
	v_add_co_u32 v9, vcc_lo, v11, v9
	v_add_co_ci_u32_e32 v9, vcc_lo, v14, v16, vcc_lo
	v_add_co_ci_u32_e32 v11, vcc_lo, 0, v21, vcc_lo
	v_add_co_u32 v14, vcc_lo, v12, v17
	v_add_co_ci_u32_e32 v13, vcc_lo, v13, v17, vcc_lo
	s_delay_alu instid0(VALU_DEP_4) | instskip(NEXT) | instid1(VALU_DEP_4)
	v_add_co_u32 v7, vcc_lo, v9, v7
	v_add_co_ci_u32_e32 v9, vcc_lo, 0, v11, vcc_lo
	s_delay_alu instid0(VALU_DEP_4) | instskip(NEXT) | instid1(VALU_DEP_3)
	v_xor_b32_e32 v11, v14, v17
	v_add_co_u32 v3, vcc_lo, v3, v7
	s_delay_alu instid0(VALU_DEP_3) | instskip(SKIP_1) | instid1(VALU_DEP_3)
	v_add_co_ci_u32_e32 v5, vcc_lo, v5, v9, vcc_lo
	v_xor_b32_e32 v7, v13, v17
	v_mul_hi_u32 v9, v11, v3
	s_delay_alu instid0(VALU_DEP_3) | instskip(NEXT) | instid1(VALU_DEP_3)
	v_mad_u64_u32 v[13:14], null, v11, v5, 0
	v_mad_u64_u32 v[15:16], null, v7, v3, 0
	;; [unrolled: 1-line block ×3, first 2 shown]
	s_delay_alu instid0(VALU_DEP_3) | instskip(NEXT) | instid1(VALU_DEP_4)
	v_add_co_u32 v3, vcc_lo, v9, v13
	v_add_co_ci_u32_e32 v5, vcc_lo, 0, v14, vcc_lo
	s_delay_alu instid0(VALU_DEP_2) | instskip(NEXT) | instid1(VALU_DEP_2)
	v_add_co_u32 v3, vcc_lo, v3, v15
	v_add_co_ci_u32_e32 v3, vcc_lo, v5, v16, vcc_lo
	v_add_co_ci_u32_e32 v5, vcc_lo, 0, v22, vcc_lo
	s_delay_alu instid0(VALU_DEP_2) | instskip(NEXT) | instid1(VALU_DEP_2)
	v_add_co_u32 v3, vcc_lo, v3, v21
	v_add_co_ci_u32_e32 v5, vcc_lo, 0, v5, vcc_lo
	s_delay_alu instid0(VALU_DEP_2) | instskip(SKIP_1) | instid1(VALU_DEP_3)
	v_mul_lo_u32 v9, s29, v3
	v_mad_u64_u32 v[13:14], null, s28, v3, 0
	v_mul_lo_u32 v15, s28, v5
	s_delay_alu instid0(VALU_DEP_2) | instskip(NEXT) | instid1(VALU_DEP_2)
	v_sub_co_u32 v11, vcc_lo, v11, v13
	v_add3_u32 v9, v14, v15, v9
	s_delay_alu instid0(VALU_DEP_1) | instskip(NEXT) | instid1(VALU_DEP_1)
	v_sub_nc_u32_e32 v14, v7, v9
	v_subrev_co_ci_u32_e64 v13, s0, s29, v14, vcc_lo
	v_add_co_u32 v14, s0, v3, 2
	s_delay_alu instid0(VALU_DEP_1) | instskip(SKIP_3) | instid1(VALU_DEP_3)
	v_add_co_ci_u32_e64 v15, s0, 0, v5, s0
	v_sub_co_u32 v16, s0, v11, s28
	v_sub_co_ci_u32_e32 v7, vcc_lo, v7, v9, vcc_lo
	v_subrev_co_ci_u32_e64 v13, s0, 0, v13, s0
	v_cmp_le_u32_e32 vcc_lo, s28, v16
	s_delay_alu instid0(VALU_DEP_3) | instskip(SKIP_1) | instid1(VALU_DEP_4)
	v_cmp_eq_u32_e64 s0, s29, v7
	v_cndmask_b32_e64 v9, 0, -1, vcc_lo
	v_cmp_le_u32_e32 vcc_lo, s29, v13
	v_cndmask_b32_e64 v16, 0, -1, vcc_lo
	v_cmp_le_u32_e32 vcc_lo, s28, v11
	;; [unrolled: 2-line block ×3, first 2 shown]
	v_cndmask_b32_e64 v21, 0, -1, vcc_lo
	v_cmp_eq_u32_e32 vcc_lo, s29, v13
	s_delay_alu instid0(VALU_DEP_2) | instskip(SKIP_3) | instid1(VALU_DEP_3)
	v_cndmask_b32_e64 v7, v21, v11, s0
	v_cndmask_b32_e32 v9, v16, v9, vcc_lo
	v_add_co_u32 v13, vcc_lo, v3, 1
	v_add_co_ci_u32_e32 v16, vcc_lo, 0, v5, vcc_lo
	v_cmp_ne_u32_e32 vcc_lo, 0, v9
	s_delay_alu instid0(VALU_DEP_2) | instskip(NEXT) | instid1(VALU_DEP_4)
	v_cndmask_b32_e32 v9, v16, v15, vcc_lo
	v_cndmask_b32_e32 v11, v13, v14, vcc_lo
	v_cmp_ne_u32_e32 vcc_lo, 0, v7
	v_xor_b32_e32 v7, s22, v17
	s_delay_alu instid0(VALU_DEP_3) | instskip(SKIP_2) | instid1(VALU_DEP_3)
	v_cndmask_b32_e32 v3, v3, v11, vcc_lo
	v_cndmask_b32_e32 v5, v5, v9, vcc_lo
	v_xor_b32_e32 v9, s23, v17
	v_xor_b32_e32 v3, v3, v7
	s_delay_alu instid0(VALU_DEP_2) | instskip(NEXT) | instid1(VALU_DEP_2)
	v_xor_b32_e32 v5, v5, v9
	v_sub_co_u32 v14, vcc_lo, v3, v7
	s_delay_alu instid0(VALU_DEP_2)
	v_sub_co_ci_u32_e32 v15, vcc_lo, v5, v9, vcc_lo
.LBB9_32:                               ;   in Loop: Header=BB9_22 Depth=2
	s_and_not1_saveexec_b32 s0, s49
	s_cbranch_execz .LBB9_34
; %bb.33:                               ;   in Loop: Header=BB9_22 Depth=2
	v_cvt_f32_u32_e32 v3, s48
	s_sub_i32 s22, 0, s48
	v_mov_b32_e32 v15, v2
	s_delay_alu instid0(VALU_DEP_2) | instskip(SKIP_2) | instid1(VALU_DEP_1)
	v_rcp_iflag_f32_e32 v3, v3
	s_waitcnt_depctr 0xfff
	v_mul_f32_e32 v3, 0x4f7ffffe, v3
	v_cvt_u32_f32_e32 v3, v3
	s_delay_alu instid0(VALU_DEP_1) | instskip(NEXT) | instid1(VALU_DEP_1)
	v_mul_lo_u32 v5, s22, v3
	v_mul_hi_u32 v5, v3, v5
	s_delay_alu instid0(VALU_DEP_1) | instskip(NEXT) | instid1(VALU_DEP_1)
	v_add_nc_u32_e32 v3, v3, v5
	v_mul_hi_u32 v3, v12, v3
	s_delay_alu instid0(VALU_DEP_1) | instskip(SKIP_1) | instid1(VALU_DEP_2)
	v_mul_lo_u32 v5, v3, s48
	v_add_nc_u32_e32 v7, 1, v3
	v_sub_nc_u32_e32 v5, v12, v5
	s_delay_alu instid0(VALU_DEP_1) | instskip(SKIP_1) | instid1(VALU_DEP_4)
	v_cmp_le_u32_e32 vcc_lo, s48, v5
	v_subrev_nc_u32_e32 v9, s48, v5
	v_cndmask_b32_e32 v3, v3, v7, vcc_lo
	s_delay_alu instid0(VALU_DEP_1) | instskip(NEXT) | instid1(VALU_DEP_3)
	v_add_nc_u32_e32 v7, 1, v3
	v_cndmask_b32_e32 v5, v5, v9, vcc_lo
	s_delay_alu instid0(VALU_DEP_1) | instskip(NEXT) | instid1(VALU_DEP_3)
	v_cmp_le_u32_e32 vcc_lo, s48, v5
	v_cndmask_b32_e32 v14, v3, v7, vcc_lo
.LBB9_34:                               ;   in Loop: Header=BB9_22 Depth=2
	s_or_b32 exec_lo, exec_lo, s0
	s_add_u32 s28, s36, s24
	s_addc_u32 s29, s37, s25
	s_add_i32 s22, s16, -3
	s_mov_b32 s23, s17
                                        ; implicit-def: $vgpr16_vgpr17
	s_delay_alu instid0(SALU_CYCLE_1) | instskip(NEXT) | instid1(SALU_CYCLE_1)
	s_lshl_b64 s[24:25], s[22:23], 2
	s_add_u32 s22, s31, s24
	s_addc_u32 s23, s33, s25
	s_clause 0x2
	s_load_b32 s51, s[22:23], 0x8
	s_load_b32 s49, s[26:27], 0x6c
	;; [unrolled: 1-line block ×3, first 2 shown]
	s_mov_b32 s26, exec_lo
	s_waitcnt lgkmcnt(0)
	s_ashr_i32 s0, s51, 31
	s_delay_alu instid0(SALU_CYCLE_1) | instskip(NEXT) | instid1(VALU_DEP_1)
	v_or_b32_e32 v3, s0, v15
	v_cmpx_ne_u64_e32 0, v[2:3]
	s_xor_b32 s52, exec_lo, s26
	s_cbranch_execz .LBB9_36
; %bb.35:                               ;   in Loop: Header=BB9_22 Depth=2
	s_add_u32 s28, s51, s0
	s_mov_b32 s26, s0
	s_mov_b32 s27, s0
	s_addc_u32 s29, s0, s0
	s_delay_alu instid0(SALU_CYCLE_1) | instskip(NEXT) | instid1(SALU_CYCLE_1)
	s_xor_b64 s[28:29], s[28:29], s[26:27]
	v_cvt_f32_u32_e32 v3, s28
	v_cvt_f32_u32_e32 v5, s29
	s_sub_u32 s0, 0, s28
	s_subb_u32 s53, 0, s29
	s_delay_alu instid0(VALU_DEP_1) | instskip(NEXT) | instid1(VALU_DEP_1)
	v_fmac_f32_e32 v3, 0x4f800000, v5
	v_rcp_f32_e32 v3, v3
	s_waitcnt_depctr 0xfff
	v_mul_f32_e32 v3, 0x5f7ffffc, v3
	s_delay_alu instid0(VALU_DEP_1) | instskip(NEXT) | instid1(VALU_DEP_1)
	v_mul_f32_e32 v5, 0x2f800000, v3
	v_trunc_f32_e32 v5, v5
	s_delay_alu instid0(VALU_DEP_1) | instskip(SKIP_1) | instid1(VALU_DEP_2)
	v_fmac_f32_e32 v3, 0xcf800000, v5
	v_cvt_u32_f32_e32 v5, v5
	v_cvt_u32_f32_e32 v3, v3
	s_delay_alu instid0(VALU_DEP_2) | instskip(NEXT) | instid1(VALU_DEP_2)
	v_mul_lo_u32 v7, s0, v5
	v_mul_hi_u32 v9, s0, v3
	v_mul_lo_u32 v11, s53, v3
	s_delay_alu instid0(VALU_DEP_2) | instskip(SKIP_1) | instid1(VALU_DEP_2)
	v_add_nc_u32_e32 v7, v9, v7
	v_mul_lo_u32 v9, s0, v3
	v_add_nc_u32_e32 v7, v7, v11
	s_delay_alu instid0(VALU_DEP_2) | instskip(NEXT) | instid1(VALU_DEP_2)
	v_mul_hi_u32 v11, v3, v9
	v_mul_lo_u32 v13, v3, v7
	v_mul_hi_u32 v16, v3, v7
	v_mul_hi_u32 v17, v5, v9
	v_mul_lo_u32 v9, v5, v9
	v_mul_hi_u32 v21, v5, v7
	v_mul_lo_u32 v7, v5, v7
	v_add_co_u32 v11, vcc_lo, v11, v13
	v_add_co_ci_u32_e32 v13, vcc_lo, 0, v16, vcc_lo
	s_delay_alu instid0(VALU_DEP_2) | instskip(NEXT) | instid1(VALU_DEP_2)
	v_add_co_u32 v9, vcc_lo, v11, v9
	v_add_co_ci_u32_e32 v9, vcc_lo, v13, v17, vcc_lo
	v_add_co_ci_u32_e32 v11, vcc_lo, 0, v21, vcc_lo
	v_ashrrev_i32_e32 v17, 31, v15
	s_delay_alu instid0(VALU_DEP_3) | instskip(NEXT) | instid1(VALU_DEP_3)
	v_add_co_u32 v7, vcc_lo, v9, v7
	v_add_co_ci_u32_e32 v9, vcc_lo, 0, v11, vcc_lo
	s_delay_alu instid0(VALU_DEP_2) | instskip(NEXT) | instid1(VALU_DEP_2)
	v_add_co_u32 v3, vcc_lo, v3, v7
	v_add_co_ci_u32_e32 v5, vcc_lo, v5, v9, vcc_lo
	s_delay_alu instid0(VALU_DEP_2) | instskip(SKIP_1) | instid1(VALU_DEP_3)
	v_mul_hi_u32 v7, s0, v3
	v_mul_lo_u32 v11, s53, v3
	v_mul_lo_u32 v9, s0, v5
	s_delay_alu instid0(VALU_DEP_1) | instskip(SKIP_1) | instid1(VALU_DEP_2)
	v_add_nc_u32_e32 v7, v7, v9
	v_mul_lo_u32 v9, s0, v3
	v_add_nc_u32_e32 v7, v7, v11
	s_delay_alu instid0(VALU_DEP_2) | instskip(NEXT) | instid1(VALU_DEP_2)
	v_mul_hi_u32 v11, v3, v9
	v_mul_lo_u32 v13, v3, v7
	v_mul_hi_u32 v16, v3, v7
	v_mul_hi_u32 v21, v5, v9
	v_mul_lo_u32 v9, v5, v9
	v_mul_hi_u32 v22, v5, v7
	v_mul_lo_u32 v7, v5, v7
	v_add_co_u32 v11, vcc_lo, v11, v13
	v_add_co_ci_u32_e32 v13, vcc_lo, 0, v16, vcc_lo
	s_delay_alu instid0(VALU_DEP_2) | instskip(NEXT) | instid1(VALU_DEP_2)
	v_add_co_u32 v9, vcc_lo, v11, v9
	v_add_co_ci_u32_e32 v9, vcc_lo, v13, v21, vcc_lo
	v_add_co_ci_u32_e32 v11, vcc_lo, 0, v22, vcc_lo
	v_add_co_u32 v13, vcc_lo, v14, v17
	v_add_co_ci_u32_e32 v15, vcc_lo, v15, v17, vcc_lo
	s_delay_alu instid0(VALU_DEP_4) | instskip(NEXT) | instid1(VALU_DEP_4)
	v_add_co_u32 v7, vcc_lo, v9, v7
	v_add_co_ci_u32_e32 v9, vcc_lo, 0, v11, vcc_lo
	s_delay_alu instid0(VALU_DEP_4) | instskip(NEXT) | instid1(VALU_DEP_3)
	v_xor_b32_e32 v11, v13, v17
	v_add_co_u32 v3, vcc_lo, v3, v7
	s_delay_alu instid0(VALU_DEP_3) | instskip(SKIP_1) | instid1(VALU_DEP_3)
	v_add_co_ci_u32_e32 v5, vcc_lo, v5, v9, vcc_lo
	v_xor_b32_e32 v7, v15, v17
	v_mul_hi_u32 v9, v11, v3
	s_delay_alu instid0(VALU_DEP_3) | instskip(NEXT) | instid1(VALU_DEP_3)
	v_mad_u64_u32 v[15:16], null, v11, v5, 0
	v_mad_u64_u32 v[21:22], null, v7, v3, 0
	;; [unrolled: 1-line block ×3, first 2 shown]
	s_delay_alu instid0(VALU_DEP_3) | instskip(NEXT) | instid1(VALU_DEP_4)
	v_add_co_u32 v3, vcc_lo, v9, v15
	v_add_co_ci_u32_e32 v5, vcc_lo, 0, v16, vcc_lo
	s_delay_alu instid0(VALU_DEP_2) | instskip(NEXT) | instid1(VALU_DEP_2)
	v_add_co_u32 v3, vcc_lo, v3, v21
	v_add_co_ci_u32_e32 v3, vcc_lo, v5, v22, vcc_lo
	v_add_co_ci_u32_e32 v5, vcc_lo, 0, v24, vcc_lo
	s_delay_alu instid0(VALU_DEP_2) | instskip(NEXT) | instid1(VALU_DEP_2)
	v_add_co_u32 v3, vcc_lo, v3, v23
	v_add_co_ci_u32_e32 v5, vcc_lo, 0, v5, vcc_lo
	s_delay_alu instid0(VALU_DEP_2) | instskip(SKIP_1) | instid1(VALU_DEP_3)
	v_mul_lo_u32 v9, s29, v3
	v_mad_u64_u32 v[15:16], null, s28, v3, 0
	v_mul_lo_u32 v13, s28, v5
	s_delay_alu instid0(VALU_DEP_2) | instskip(NEXT) | instid1(VALU_DEP_2)
	v_sub_co_u32 v11, vcc_lo, v11, v15
	v_add3_u32 v9, v16, v13, v9
	s_delay_alu instid0(VALU_DEP_1) | instskip(NEXT) | instid1(VALU_DEP_1)
	v_sub_nc_u32_e32 v13, v7, v9
	v_subrev_co_ci_u32_e64 v13, s0, s29, v13, vcc_lo
	v_add_co_u32 v15, s0, v3, 2
	s_delay_alu instid0(VALU_DEP_1) | instskip(SKIP_3) | instid1(VALU_DEP_3)
	v_add_co_ci_u32_e64 v16, s0, 0, v5, s0
	v_sub_co_u32 v21, s0, v11, s28
	v_sub_co_ci_u32_e32 v7, vcc_lo, v7, v9, vcc_lo
	v_subrev_co_ci_u32_e64 v13, s0, 0, v13, s0
	v_cmp_le_u32_e32 vcc_lo, s28, v21
	s_delay_alu instid0(VALU_DEP_3) | instskip(SKIP_1) | instid1(VALU_DEP_4)
	v_cmp_eq_u32_e64 s0, s29, v7
	v_cndmask_b32_e64 v9, 0, -1, vcc_lo
	v_cmp_le_u32_e32 vcc_lo, s29, v13
	v_cndmask_b32_e64 v21, 0, -1, vcc_lo
	v_cmp_le_u32_e32 vcc_lo, s28, v11
	;; [unrolled: 2-line block ×3, first 2 shown]
	v_cndmask_b32_e64 v22, 0, -1, vcc_lo
	v_cmp_eq_u32_e32 vcc_lo, s29, v13
	s_delay_alu instid0(VALU_DEP_2) | instskip(SKIP_3) | instid1(VALU_DEP_3)
	v_cndmask_b32_e64 v7, v22, v11, s0
	v_cndmask_b32_e32 v9, v21, v9, vcc_lo
	v_add_co_u32 v13, vcc_lo, v3, 1
	v_add_co_ci_u32_e32 v21, vcc_lo, 0, v5, vcc_lo
	v_cmp_ne_u32_e32 vcc_lo, 0, v9
	s_delay_alu instid0(VALU_DEP_2) | instskip(NEXT) | instid1(VALU_DEP_4)
	v_cndmask_b32_e32 v9, v21, v16, vcc_lo
	v_cndmask_b32_e32 v11, v13, v15, vcc_lo
	v_cmp_ne_u32_e32 vcc_lo, 0, v7
	v_xor_b32_e32 v7, s26, v17
	s_delay_alu instid0(VALU_DEP_3) | instskip(SKIP_2) | instid1(VALU_DEP_3)
	v_cndmask_b32_e32 v3, v3, v11, vcc_lo
	v_cndmask_b32_e32 v5, v5, v9, vcc_lo
	v_xor_b32_e32 v9, s27, v17
	v_xor_b32_e32 v3, v3, v7
	s_delay_alu instid0(VALU_DEP_2) | instskip(NEXT) | instid1(VALU_DEP_2)
	v_xor_b32_e32 v5, v5, v9
	v_sub_co_u32 v16, vcc_lo, v3, v7
	s_delay_alu instid0(VALU_DEP_2)
	v_sub_co_ci_u32_e32 v17, vcc_lo, v5, v9, vcc_lo
.LBB9_36:                               ;   in Loop: Header=BB9_22 Depth=2
	s_and_not1_saveexec_b32 s0, s52
	s_cbranch_execz .LBB9_38
; %bb.37:                               ;   in Loop: Header=BB9_22 Depth=2
	v_cvt_f32_u32_e32 v3, s51
	s_sub_i32 s26, 0, s51
	v_mov_b32_e32 v17, v2
	s_delay_alu instid0(VALU_DEP_2) | instskip(SKIP_2) | instid1(VALU_DEP_1)
	v_rcp_iflag_f32_e32 v3, v3
	s_waitcnt_depctr 0xfff
	v_mul_f32_e32 v3, 0x4f7ffffe, v3
	v_cvt_u32_f32_e32 v3, v3
	s_delay_alu instid0(VALU_DEP_1) | instskip(NEXT) | instid1(VALU_DEP_1)
	v_mul_lo_u32 v5, s26, v3
	v_mul_hi_u32 v5, v3, v5
	s_delay_alu instid0(VALU_DEP_1) | instskip(NEXT) | instid1(VALU_DEP_1)
	v_add_nc_u32_e32 v3, v3, v5
	v_mul_hi_u32 v3, v14, v3
	s_delay_alu instid0(VALU_DEP_1) | instskip(SKIP_1) | instid1(VALU_DEP_2)
	v_mul_lo_u32 v5, v3, s51
	v_add_nc_u32_e32 v7, 1, v3
	v_sub_nc_u32_e32 v5, v14, v5
	s_delay_alu instid0(VALU_DEP_1) | instskip(SKIP_1) | instid1(VALU_DEP_4)
	v_cmp_le_u32_e32 vcc_lo, s51, v5
	v_subrev_nc_u32_e32 v9, s51, v5
	v_cndmask_b32_e32 v3, v3, v7, vcc_lo
	s_delay_alu instid0(VALU_DEP_1) | instskip(NEXT) | instid1(VALU_DEP_3)
	v_add_nc_u32_e32 v7, 1, v3
	v_cndmask_b32_e32 v5, v5, v9, vcc_lo
	s_delay_alu instid0(VALU_DEP_1) | instskip(NEXT) | instid1(VALU_DEP_3)
	v_cmp_le_u32_e32 vcc_lo, s51, v5
	v_cndmask_b32_e32 v16, v3, v7, vcc_lo
.LBB9_38:                               ;   in Loop: Header=BB9_22 Depth=2
	s_or_b32 exec_lo, exec_lo, s0
	s_add_u32 s24, s36, s24
	s_addc_u32 s25, s37, s25
	v_mul_lo_u32 v3, v10, s13
	s_clause 0x1
	s_load_b32 s0, s[22:23], 0x6c
	s_load_b32 s13, s[24:25], 0x0
	v_mul_lo_u32 v5, v12, s45
	v_mul_lo_u32 v7, v14, s48
	v_mul_lo_u32 v9, v16, s51
	s_add_i32 s16, s16, -4
	s_delay_alu instid0(SALU_CYCLE_1) | instskip(SKIP_1) | instid1(VALU_DEP_4)
	s_cmp_eq_u32 s16, -1
	v_sub_nc_u32_e32 v3, v8, v3
	v_sub_nc_u32_e32 v5, v10, v5
	s_delay_alu instid0(VALU_DEP_4) | instskip(NEXT) | instid1(VALU_DEP_4)
	v_sub_nc_u32_e32 v7, v12, v7
	v_sub_nc_u32_e32 v8, v14, v9
	s_delay_alu instid0(VALU_DEP_4)
	v_mul_lo_u32 v9, s43, v3
	v_mul_lo_u32 v3, s44, v3
	;; [unrolled: 1-line block ×6, first 2 shown]
	s_waitcnt lgkmcnt(0)
	v_mul_lo_u32 v12, s0, v8
	v_mul_lo_u32 v8, s13, v8
	v_add3_u32 v6, v9, v6, v10
	v_add3_u32 v3, v3, v4, v5
	s_delay_alu instid0(VALU_DEP_2) | instskip(NEXT) | instid1(VALU_DEP_2)
	v_add3_u32 v6, v11, v6, v12
	v_add3_u32 v4, v7, v3, v8
	s_cbranch_scc1 .LBB9_40
; %bb.39:                               ;   in Loop: Header=BB9_22 Depth=2
	v_dual_mov_b32 v8, v16 :: v_dual_mov_b32 v9, v17
	s_branch .LBB9_22
.LBB9_40:                               ;   in Loop: Header=BB9_3 Depth=1
	v_sub_nc_u32_e32 v8, v19, v20
	v_dual_mov_b32 v7, 0 :: v_dual_mov_b32 v10, 0
	s_mov_b32 s0, exec_lo
	s_delay_alu instid0(VALU_DEP_2) | instskip(NEXT) | instid1(VALU_DEP_1)
	v_ashrrev_i32_e32 v9, 31, v8
	v_cmpx_ge_i64_e64 s[4:5], v[8:9]
	s_cbranch_execz .LBB9_46
; %bb.41:                               ;   in Loop: Header=BB9_3 Depth=1
	v_mov_b32_e32 v3, 0
	v_mov_b32_e32 v7, 0
	s_mov_b32 s13, exec_lo
	v_cmpx_gt_i32_e64 s9, v19
	s_cbranch_execz .LBB9_45
; %bb.42:                               ;   in Loop: Header=BB9_3 Depth=1
	v_ashrrev_i32_e32 v7, 31, v6
	s_delay_alu instid0(VALU_DEP_1) | instskip(SKIP_1) | instid1(VALU_DEP_2)
	v_lshlrev_b64 v[5:6], 2, v[6:7]
	v_add_nc_u32_e32 v7, 1, v19
	v_add_co_u32 v5, vcc_lo, s2, v5
	s_delay_alu instid0(VALU_DEP_3) | instskip(NEXT) | instid1(VALU_DEP_3)
	v_add_co_ci_u32_e32 v6, vcc_lo, s3, v6, vcc_lo
	v_cmp_gt_i32_e32 vcc_lo, s9, v7
	v_mov_b32_e32 v7, 0
	global_load_b32 v3, v[5:6], off
	s_and_saveexec_b32 s16, vcc_lo
	s_delay_alu instid0(SALU_CYCLE_1)
	s_xor_b32 s16, exec_lo, s16
	s_cbranch_execz .LBB9_44
; %bb.43:                               ;   in Loop: Header=BB9_3 Depth=1
	s_lshl_b64 s[22:23], s[18:19], 2
	s_delay_alu instid0(SALU_CYCLE_1)
	v_add_co_u32 v5, vcc_lo, v5, s22
	v_add_co_ci_u32_e32 v6, vcc_lo, s23, v6, vcc_lo
	global_load_b32 v7, v[5:6], off
.LBB9_44:                               ;   in Loop: Header=BB9_3 Depth=1
	s_or_b32 exec_lo, exec_lo, s16
.LBB9_45:                               ;   in Loop: Header=BB9_3 Depth=1
	s_delay_alu instid0(SALU_CYCLE_1) | instskip(SKIP_3) | instid1(VALU_DEP_1)
	s_or_b32 exec_lo, exec_lo, s13
	v_cmp_ge_i64_e32 vcc_lo, s[4:5], v[8:9]
	s_waitcnt vmcnt(0)
	v_dual_cndmask_b32 v10, 0, v3 :: v_dual_add_nc_u32 v5, 1, v8
	v_ashrrev_i32_e32 v6, 31, v5
	s_delay_alu instid0(VALU_DEP_1)
	v_cmp_ge_i64_e32 vcc_lo, s[4:5], v[5:6]
	v_cndmask_b32_e32 v7, 0, v7, vcc_lo
.LBB9_46:                               ;   in Loop: Header=BB9_3 Depth=1
	s_or_b32 exec_lo, exec_lo, s0
	s_delay_alu instid0(SALU_CYCLE_1)
	s_mov_b32 s0, exec_lo
	v_cmpx_gt_i32_e64 s9, v19
	s_cbranch_execz .LBB9_2
; %bb.47:                               ;   in Loop: Header=BB9_3 Depth=1
	v_ashrrev_i32_e32 v5, 31, v4
	s_mov_b32 s13, exec_lo
	s_delay_alu instid0(VALU_DEP_1) | instskip(SKIP_1) | instid1(VALU_DEP_2)
	v_lshlrev_b64 v[3:4], 2, v[4:5]
	v_add_nc_u32_e32 v5, 1, v19
	v_add_co_u32 v3, vcc_lo, s14, v3
	s_delay_alu instid0(VALU_DEP_3)
	v_add_co_ci_u32_e32 v4, vcc_lo, s15, v4, vcc_lo
	global_store_b32 v[3:4], v10, off
	v_cmpx_gt_i32_e64 s9, v5
	s_xor_b32 s13, exec_lo, s13
	s_cbranch_execz .LBB9_2
; %bb.48:                               ;   in Loop: Header=BB9_3 Depth=1
	s_lshl_b64 s[22:23], s[20:21], 2
	s_delay_alu instid0(SALU_CYCLE_1)
	v_add_co_u32 v3, vcc_lo, v3, s22
	v_add_co_ci_u32_e32 v4, vcc_lo, s23, v4, vcc_lo
	global_store_b32 v[3:4], v7, off
	s_branch .LBB9_2
.LBB9_49:
	s_nop 0
	s_sendmsg sendmsg(MSG_DEALLOC_VGPRS)
	s_endpgm
	.section	.rodata,"a",@progbits
	.p2align	6, 0x0
	.amdhsa_kernel _ZN2at6native16triu_tril_kernelIiiLb0ELi2ELb0EEEvNS_4cuda6detail10TensorInfoIT_T0_EENS4_IKS5_S6_EEllS6_
		.amdhsa_group_segment_fixed_size 0
		.amdhsa_private_segment_fixed_size 0
		.amdhsa_kernarg_size 712
		.amdhsa_user_sgpr_count 15
		.amdhsa_user_sgpr_dispatch_ptr 0
		.amdhsa_user_sgpr_queue_ptr 0
		.amdhsa_user_sgpr_kernarg_segment_ptr 1
		.amdhsa_user_sgpr_dispatch_id 0
		.amdhsa_user_sgpr_private_segment_size 0
		.amdhsa_wavefront_size32 1
		.amdhsa_uses_dynamic_stack 0
		.amdhsa_enable_private_segment 0
		.amdhsa_system_sgpr_workgroup_id_x 1
		.amdhsa_system_sgpr_workgroup_id_y 0
		.amdhsa_system_sgpr_workgroup_id_z 0
		.amdhsa_system_sgpr_workgroup_info 0
		.amdhsa_system_vgpr_workitem_id 0
		.amdhsa_next_free_vgpr 25
		.amdhsa_next_free_sgpr 54
		.amdhsa_reserve_vcc 1
		.amdhsa_float_round_mode_32 0
		.amdhsa_float_round_mode_16_64 0
		.amdhsa_float_denorm_mode_32 3
		.amdhsa_float_denorm_mode_16_64 3
		.amdhsa_dx10_clamp 1
		.amdhsa_ieee_mode 1
		.amdhsa_fp16_overflow 0
		.amdhsa_workgroup_processor_mode 1
		.amdhsa_memory_ordered 1
		.amdhsa_forward_progress 0
		.amdhsa_shared_vgpr_count 0
		.amdhsa_exception_fp_ieee_invalid_op 0
		.amdhsa_exception_fp_denorm_src 0
		.amdhsa_exception_fp_ieee_div_zero 0
		.amdhsa_exception_fp_ieee_overflow 0
		.amdhsa_exception_fp_ieee_underflow 0
		.amdhsa_exception_fp_ieee_inexact 0
		.amdhsa_exception_int_div_zero 0
	.end_amdhsa_kernel
	.section	.text._ZN2at6native16triu_tril_kernelIiiLb0ELi2ELb0EEEvNS_4cuda6detail10TensorInfoIT_T0_EENS4_IKS5_S6_EEllS6_,"axG",@progbits,_ZN2at6native16triu_tril_kernelIiiLb0ELi2ELb0EEEvNS_4cuda6detail10TensorInfoIT_T0_EENS4_IKS5_S6_EEllS6_,comdat
.Lfunc_end9:
	.size	_ZN2at6native16triu_tril_kernelIiiLb0ELi2ELb0EEEvNS_4cuda6detail10TensorInfoIT_T0_EENS4_IKS5_S6_EEllS6_, .Lfunc_end9-_ZN2at6native16triu_tril_kernelIiiLb0ELi2ELb0EEEvNS_4cuda6detail10TensorInfoIT_T0_EENS4_IKS5_S6_EEllS6_
                                        ; -- End function
	.section	.AMDGPU.csdata,"",@progbits
; Kernel info:
; codeLenInByte = 8340
; NumSgprs: 56
; NumVgprs: 25
; ScratchSize: 0
; MemoryBound: 0
; FloatMode: 240
; IeeeMode: 1
; LDSByteSize: 0 bytes/workgroup (compile time only)
; SGPRBlocks: 6
; VGPRBlocks: 3
; NumSGPRsForWavesPerEU: 56
; NumVGPRsForWavesPerEU: 25
; Occupancy: 16
; WaveLimiterHint : 0
; COMPUTE_PGM_RSRC2:SCRATCH_EN: 0
; COMPUTE_PGM_RSRC2:USER_SGPR: 15
; COMPUTE_PGM_RSRC2:TRAP_HANDLER: 0
; COMPUTE_PGM_RSRC2:TGID_X_EN: 1
; COMPUTE_PGM_RSRC2:TGID_Y_EN: 0
; COMPUTE_PGM_RSRC2:TGID_Z_EN: 0
; COMPUTE_PGM_RSRC2:TIDIG_COMP_CNT: 0
	.section	.text._ZN2at6native16triu_tril_kernelIilLb0ELi2ELb1EEEvNS_4cuda6detail10TensorInfoIT_T0_EENS4_IKS5_S6_EEllS6_,"axG",@progbits,_ZN2at6native16triu_tril_kernelIilLb0ELi2ELb1EEEvNS_4cuda6detail10TensorInfoIT_T0_EENS4_IKS5_S6_EEllS6_,comdat
	.protected	_ZN2at6native16triu_tril_kernelIilLb0ELi2ELb1EEEvNS_4cuda6detail10TensorInfoIT_T0_EENS4_IKS5_S6_EEllS6_ ; -- Begin function _ZN2at6native16triu_tril_kernelIilLb0ELi2ELb1EEEvNS_4cuda6detail10TensorInfoIT_T0_EENS4_IKS5_S6_EEllS6_
	.globl	_ZN2at6native16triu_tril_kernelIilLb0ELi2ELb1EEEvNS_4cuda6detail10TensorInfoIT_T0_EENS4_IKS5_S6_EEllS6_
	.p2align	8
	.type	_ZN2at6native16triu_tril_kernelIilLb0ELi2ELb1EEEvNS_4cuda6detail10TensorInfoIT_T0_EENS4_IKS5_S6_EEllS6_,@function
_ZN2at6native16triu_tril_kernelIilLb0ELi2ELb1EEEvNS_4cuda6detail10TensorInfoIT_T0_EENS4_IKS5_S6_EEllS6_: ; @_ZN2at6native16triu_tril_kernelIilLb0ELi2ELb1EEEvNS_4cuda6detail10TensorInfoIT_T0_EENS4_IKS5_S6_EEllS6_
; %bb.0:
	s_clause 0x1
	s_load_b32 s2, s[0:1], 0x364
	s_load_b128 s[4:7], s[0:1], 0x340
	v_mov_b32_e32 v2, 0
	s_add_u32 s8, s0, 0x358
	s_addc_u32 s9, s1, 0
	s_delay_alu instid0(VALU_DEP_1) | instskip(SKIP_3) | instid1(VALU_DEP_1)
	v_mov_b32_e32 v1, v2
	s_waitcnt lgkmcnt(0)
	s_and_b32 s10, s2, 0xffff
	s_mov_b32 s2, exec_lo
	v_mad_u64_u32 v[3:4], null, s10, s15, v[0:1]
	s_delay_alu instid0(VALU_DEP_1) | instskip(NEXT) | instid1(VALU_DEP_1)
	v_lshlrev_b64 v[0:1], 1, v[3:4]
	v_cmpx_gt_i64_e64 s[6:7], v[0:1]
	s_cbranch_execz .LBB10_23
; %bb.1:
	s_clause 0x1
	s_load_b32 s24, s[0:1], 0x338
	s_load_b64 s[2:3], s[0:1], 0x350
	s_load_b32 s11, s[8:9], 0x0
	s_load_b64 s[8:9], s[0:1], 0x0
	s_mov_b32 s44, 0
	s_waitcnt lgkmcnt(0)
	s_ashr_i32 s25, s24, 31
	s_add_u32 s26, s0, 0x1a8
	s_addc_u32 s27, s1, 0
	s_lshl_b64 s[12:13], s[24:25], 3
	v_cvt_f32_u32_e32 v3, s2
	s_add_u32 s14, s12, -16
	s_addc_u32 s15, s13, -1
	s_add_u32 s22, s26, s14
	s_addc_u32 s23, s27, s15
	v_rcp_iflag_f32_e32 v3, v3
	s_add_u32 s17, s12, -8
	s_addc_u32 s18, s13, -1
	s_add_u32 s0, s0, 0xd0
	s_addc_u32 s28, s1, 0
	s_mul_i32 s16, s11, s10
	s_add_u32 s10, s0, s17
	s_addc_u32 s11, s28, s18
	s_add_u32 s12, s0, s14
	s_addc_u32 s13, s28, s15
	s_add_i32 s20, s24, -3
	s_waitcnt_depctr 0xfff
	v_mul_f32_e32 v3, 0x4f7ffffe, v3
	s_ashr_i32 s21, s20, 31
	s_add_u32 s14, s26, s17
	s_addc_u32 s15, s27, s18
	s_lshl_b64 s[18:19], s[20:21], 3
	s_lshl_b32 s1, s16, 1
	s_add_u32 s16, s0, s18
	s_addc_u32 s17, s28, s19
	v_cvt_u32_f32_e32 v3, v3
	s_add_u32 s18, s26, s18
	s_addc_u32 s19, s27, s19
	s_add_u32 s20, s20, 1
	s_addc_u32 s21, s21, 0
	s_sub_i32 s0, 0, s2
	s_load_b64 s[22:23], s[22:23], 0x0
	v_mul_lo_u32 v4, s0, v3
	v_cmp_gt_i64_e64 s33, s[24:25], 2
	s_ashr_i32 s24, s3, 31
	s_delay_alu instid0(VALU_DEP_2) | instskip(NEXT) | instid1(VALU_DEP_1)
	v_mul_hi_u32 v4, v3, v4
	v_add_nc_u32_e32 v16, v3, v4
	s_waitcnt lgkmcnt(0)
	s_ashr_i32 s26, s23, 31
	s_branch .LBB10_3
.LBB10_2:                               ;   in Loop: Header=BB10_3 Depth=1
	s_or_b32 exec_lo, exec_lo, s25
	v_add_co_u32 v0, vcc_lo, v0, s1
	v_add_co_ci_u32_e32 v1, vcc_lo, 0, v1, vcc_lo
	s_delay_alu instid0(VALU_DEP_1) | instskip(SKIP_1) | instid1(SALU_CYCLE_1)
	v_cmp_le_i64_e32 vcc_lo, s[6:7], v[0:1]
	s_or_b32 s44, vcc_lo, s44
	s_and_not1_b32 exec_lo, exec_lo, s44
	s_cbranch_execz .LBB10_23
.LBB10_3:                               ; =>This Loop Header: Depth=1
                                        ;     Child Loop BB10_19 Depth 2
	v_or_b32_e32 v3, s3, v1
                                        ; implicit-def: $vgpr6_vgpr7
	s_mov_b32 s0, exec_lo
	s_delay_alu instid0(VALU_DEP_1)
	v_cmpx_ne_u64_e32 0, v[2:3]
	s_xor_b32 s27, exec_lo, s0
	s_cbranch_execz .LBB10_5
; %bb.4:                                ;   in Loop: Header=BB10_3 Depth=1
	s_add_u32 s28, s2, s24
	s_mov_b32 s25, s24
	s_addc_u32 s29, s3, s24
	s_delay_alu instid0(SALU_CYCLE_1) | instskip(NEXT) | instid1(SALU_CYCLE_1)
	s_xor_b64 s[28:29], s[28:29], s[24:25]
	v_cvt_f32_u32_e32 v3, s28
	v_cvt_f32_u32_e32 v4, s29
	s_sub_u32 s0, 0, s28
	s_subb_u32 s25, 0, s29
	s_delay_alu instid0(VALU_DEP_1) | instskip(NEXT) | instid1(VALU_DEP_1)
	v_fmac_f32_e32 v3, 0x4f800000, v4
	v_rcp_f32_e32 v3, v3
	s_waitcnt_depctr 0xfff
	v_mul_f32_e32 v3, 0x5f7ffffc, v3
	s_delay_alu instid0(VALU_DEP_1) | instskip(NEXT) | instid1(VALU_DEP_1)
	v_mul_f32_e32 v4, 0x2f800000, v3
	v_trunc_f32_e32 v4, v4
	s_delay_alu instid0(VALU_DEP_1) | instskip(SKIP_1) | instid1(VALU_DEP_2)
	v_fmac_f32_e32 v3, 0xcf800000, v4
	v_cvt_u32_f32_e32 v4, v4
	v_cvt_u32_f32_e32 v3, v3
	s_delay_alu instid0(VALU_DEP_2) | instskip(NEXT) | instid1(VALU_DEP_2)
	v_mul_lo_u32 v5, s0, v4
	v_mul_hi_u32 v6, s0, v3
	v_mul_lo_u32 v7, s25, v3
	s_delay_alu instid0(VALU_DEP_2) | instskip(SKIP_1) | instid1(VALU_DEP_2)
	v_add_nc_u32_e32 v5, v6, v5
	v_mul_lo_u32 v6, s0, v3
	v_add_nc_u32_e32 v5, v5, v7
	s_delay_alu instid0(VALU_DEP_2) | instskip(NEXT) | instid1(VALU_DEP_2)
	v_mul_hi_u32 v7, v3, v6
	v_mul_lo_u32 v8, v3, v5
	v_mul_hi_u32 v9, v3, v5
	v_mul_hi_u32 v10, v4, v6
	v_mul_lo_u32 v6, v4, v6
	v_mul_hi_u32 v11, v4, v5
	v_mul_lo_u32 v5, v4, v5
	v_add_co_u32 v7, vcc_lo, v7, v8
	v_add_co_ci_u32_e32 v8, vcc_lo, 0, v9, vcc_lo
	s_delay_alu instid0(VALU_DEP_2) | instskip(NEXT) | instid1(VALU_DEP_2)
	v_add_co_u32 v6, vcc_lo, v7, v6
	v_add_co_ci_u32_e32 v6, vcc_lo, v8, v10, vcc_lo
	v_add_co_ci_u32_e32 v7, vcc_lo, 0, v11, vcc_lo
	v_ashrrev_i32_e32 v10, 31, v1
	s_delay_alu instid0(VALU_DEP_3) | instskip(NEXT) | instid1(VALU_DEP_3)
	v_add_co_u32 v5, vcc_lo, v6, v5
	v_add_co_ci_u32_e32 v6, vcc_lo, 0, v7, vcc_lo
	s_delay_alu instid0(VALU_DEP_2) | instskip(NEXT) | instid1(VALU_DEP_2)
	v_add_co_u32 v3, vcc_lo, v3, v5
	v_add_co_ci_u32_e32 v4, vcc_lo, v4, v6, vcc_lo
	s_delay_alu instid0(VALU_DEP_2) | instskip(SKIP_1) | instid1(VALU_DEP_3)
	v_mul_hi_u32 v5, s0, v3
	v_mul_lo_u32 v7, s25, v3
	v_mul_lo_u32 v6, s0, v4
	s_delay_alu instid0(VALU_DEP_1) | instskip(SKIP_1) | instid1(VALU_DEP_2)
	v_add_nc_u32_e32 v5, v5, v6
	v_mul_lo_u32 v6, s0, v3
	v_add_nc_u32_e32 v5, v5, v7
	s_delay_alu instid0(VALU_DEP_2) | instskip(NEXT) | instid1(VALU_DEP_2)
	v_mul_hi_u32 v7, v3, v6
	v_mul_lo_u32 v8, v3, v5
	v_mul_hi_u32 v9, v3, v5
	v_mul_hi_u32 v11, v4, v6
	v_mul_lo_u32 v6, v4, v6
	v_mul_hi_u32 v12, v4, v5
	v_mul_lo_u32 v5, v4, v5
	v_add_co_u32 v7, vcc_lo, v7, v8
	v_add_co_ci_u32_e32 v8, vcc_lo, 0, v9, vcc_lo
	s_delay_alu instid0(VALU_DEP_2) | instskip(NEXT) | instid1(VALU_DEP_2)
	v_add_co_u32 v6, vcc_lo, v7, v6
	v_add_co_ci_u32_e32 v6, vcc_lo, v8, v11, vcc_lo
	v_add_co_ci_u32_e32 v7, vcc_lo, 0, v12, vcc_lo
	v_add_co_u32 v8, vcc_lo, v0, v10
	v_add_co_ci_u32_e32 v9, vcc_lo, v1, v10, vcc_lo
	s_delay_alu instid0(VALU_DEP_4) | instskip(NEXT) | instid1(VALU_DEP_4)
	v_add_co_u32 v5, vcc_lo, v6, v5
	v_add_co_ci_u32_e32 v6, vcc_lo, 0, v7, vcc_lo
	s_delay_alu instid0(VALU_DEP_4) | instskip(NEXT) | instid1(VALU_DEP_3)
	v_xor_b32_e32 v11, v8, v10
	v_add_co_u32 v7, vcc_lo, v3, v5
	s_delay_alu instid0(VALU_DEP_3) | instskip(SKIP_1) | instid1(VALU_DEP_3)
	v_add_co_ci_u32_e32 v12, vcc_lo, v4, v6, vcc_lo
	v_xor_b32_e32 v9, v9, v10
	v_mul_hi_u32 v13, v11, v7
	s_delay_alu instid0(VALU_DEP_3) | instskip(NEXT) | instid1(VALU_DEP_3)
	v_mad_u64_u32 v[3:4], null, v11, v12, 0
	v_mad_u64_u32 v[5:6], null, v9, v7, 0
	;; [unrolled: 1-line block ×3, first 2 shown]
	s_delay_alu instid0(VALU_DEP_3) | instskip(NEXT) | instid1(VALU_DEP_4)
	v_add_co_u32 v3, vcc_lo, v13, v3
	v_add_co_ci_u32_e32 v4, vcc_lo, 0, v4, vcc_lo
	s_delay_alu instid0(VALU_DEP_2) | instskip(NEXT) | instid1(VALU_DEP_2)
	v_add_co_u32 v3, vcc_lo, v3, v5
	v_add_co_ci_u32_e32 v3, vcc_lo, v4, v6, vcc_lo
	v_add_co_ci_u32_e32 v4, vcc_lo, 0, v8, vcc_lo
	s_delay_alu instid0(VALU_DEP_2) | instskip(NEXT) | instid1(VALU_DEP_2)
	v_add_co_u32 v5, vcc_lo, v3, v7
	v_add_co_ci_u32_e32 v6, vcc_lo, 0, v4, vcc_lo
	s_delay_alu instid0(VALU_DEP_2) | instskip(SKIP_1) | instid1(VALU_DEP_3)
	v_mul_lo_u32 v7, s29, v5
	v_mad_u64_u32 v[3:4], null, s28, v5, 0
	v_mul_lo_u32 v8, s28, v6
	s_delay_alu instid0(VALU_DEP_2) | instskip(NEXT) | instid1(VALU_DEP_2)
	v_sub_co_u32 v3, vcc_lo, v11, v3
	v_add3_u32 v4, v4, v8, v7
	s_delay_alu instid0(VALU_DEP_1) | instskip(NEXT) | instid1(VALU_DEP_1)
	v_sub_nc_u32_e32 v7, v9, v4
	v_subrev_co_ci_u32_e64 v7, s0, s29, v7, vcc_lo
	v_add_co_u32 v8, s0, v5, 2
	s_delay_alu instid0(VALU_DEP_1) | instskip(SKIP_3) | instid1(VALU_DEP_3)
	v_add_co_ci_u32_e64 v11, s0, 0, v6, s0
	v_sub_co_u32 v12, s0, v3, s28
	v_sub_co_ci_u32_e32 v4, vcc_lo, v9, v4, vcc_lo
	v_subrev_co_ci_u32_e64 v7, s0, 0, v7, s0
	v_cmp_le_u32_e32 vcc_lo, s28, v12
	s_delay_alu instid0(VALU_DEP_3) | instskip(SKIP_1) | instid1(VALU_DEP_4)
	v_cmp_eq_u32_e64 s0, s29, v4
	v_cndmask_b32_e64 v9, 0, -1, vcc_lo
	v_cmp_le_u32_e32 vcc_lo, s29, v7
	v_cndmask_b32_e64 v12, 0, -1, vcc_lo
	v_cmp_le_u32_e32 vcc_lo, s28, v3
	;; [unrolled: 2-line block ×3, first 2 shown]
	v_cndmask_b32_e64 v13, 0, -1, vcc_lo
	v_cmp_eq_u32_e32 vcc_lo, s29, v7
	s_delay_alu instid0(VALU_DEP_2) | instskip(SKIP_3) | instid1(VALU_DEP_3)
	v_cndmask_b32_e64 v3, v13, v3, s0
	v_cndmask_b32_e32 v7, v12, v9, vcc_lo
	v_add_co_u32 v9, vcc_lo, v5, 1
	v_add_co_ci_u32_e32 v12, vcc_lo, 0, v6, vcc_lo
	v_cmp_ne_u32_e32 vcc_lo, 0, v7
	s_delay_alu instid0(VALU_DEP_2) | instskip(SKIP_2) | instid1(VALU_DEP_3)
	v_dual_cndmask_b32 v4, v12, v11 :: v_dual_cndmask_b32 v7, v9, v8
	v_cmp_ne_u32_e32 vcc_lo, 0, v3
	v_xor_b32_e32 v3, s24, v10
	v_dual_cndmask_b32 v5, v5, v7 :: v_dual_cndmask_b32 v4, v6, v4
	s_delay_alu instid0(VALU_DEP_1) | instskip(NEXT) | instid1(VALU_DEP_2)
	v_xor_b32_e32 v5, v5, v3
	v_xor_b32_e32 v4, v4, v3
	s_delay_alu instid0(VALU_DEP_2) | instskip(NEXT) | instid1(VALU_DEP_2)
	v_sub_co_u32 v6, vcc_lo, v5, v3
	v_sub_co_ci_u32_e32 v7, vcc_lo, v4, v3, vcc_lo
.LBB10_5:                               ;   in Loop: Header=BB10_3 Depth=1
	s_and_not1_saveexec_b32 s0, s27
; %bb.6:                                ;   in Loop: Header=BB10_3 Depth=1
	v_mul_hi_u32 v3, v0, v16
	v_mov_b32_e32 v7, v2
	s_delay_alu instid0(VALU_DEP_2) | instskip(NEXT) | instid1(VALU_DEP_1)
	v_mul_lo_u32 v4, v3, s2
	v_sub_nc_u32_e32 v4, v0, v4
	s_delay_alu instid0(VALU_DEP_1) | instskip(SKIP_1) | instid1(VALU_DEP_2)
	v_subrev_nc_u32_e32 v6, s2, v4
	v_cmp_le_u32_e32 vcc_lo, s2, v4
	v_dual_cndmask_b32 v4, v4, v6 :: v_dual_add_nc_u32 v5, 1, v3
	s_delay_alu instid0(VALU_DEP_1) | instskip(NEXT) | instid1(VALU_DEP_2)
	v_cndmask_b32_e32 v3, v3, v5, vcc_lo
	v_cmp_le_u32_e32 vcc_lo, s2, v4
	s_delay_alu instid0(VALU_DEP_2) | instskip(NEXT) | instid1(VALU_DEP_1)
	v_add_nc_u32_e32 v5, 1, v3
	v_cndmask_b32_e32 v6, v3, v5, vcc_lo
; %bb.7:                                ;   in Loop: Header=BB10_3 Depth=1
	s_or_b32 exec_lo, exec_lo, s0
	v_or_b32_e32 v3, s23, v7
                                        ; implicit-def: $vgpr8_vgpr9
	s_mov_b32 s0, exec_lo
	s_delay_alu instid0(VALU_DEP_1)
	v_cmpx_ne_u64_e32 0, v[2:3]
	s_xor_b32 s25, exec_lo, s0
	s_cbranch_execz .LBB10_9
; %bb.8:                                ;   in Loop: Header=BB10_3 Depth=1
	s_add_u32 s28, s22, s26
	s_mov_b32 s27, s26
	s_addc_u32 s29, s23, s26
	s_delay_alu instid0(SALU_CYCLE_1) | instskip(NEXT) | instid1(SALU_CYCLE_1)
	s_xor_b64 s[28:29], s[28:29], s[26:27]
	v_cvt_f32_u32_e32 v3, s28
	v_cvt_f32_u32_e32 v4, s29
	s_sub_u32 s0, 0, s28
	s_subb_u32 s27, 0, s29
	s_delay_alu instid0(VALU_DEP_1) | instskip(NEXT) | instid1(VALU_DEP_1)
	v_fmac_f32_e32 v3, 0x4f800000, v4
	v_rcp_f32_e32 v3, v3
	s_waitcnt_depctr 0xfff
	v_mul_f32_e32 v3, 0x5f7ffffc, v3
	s_delay_alu instid0(VALU_DEP_1) | instskip(NEXT) | instid1(VALU_DEP_1)
	v_mul_f32_e32 v4, 0x2f800000, v3
	v_trunc_f32_e32 v4, v4
	s_delay_alu instid0(VALU_DEP_1) | instskip(SKIP_1) | instid1(VALU_DEP_2)
	v_fmac_f32_e32 v3, 0xcf800000, v4
	v_cvt_u32_f32_e32 v4, v4
	v_cvt_u32_f32_e32 v3, v3
	s_delay_alu instid0(VALU_DEP_2) | instskip(NEXT) | instid1(VALU_DEP_2)
	v_mul_lo_u32 v5, s0, v4
	v_mul_hi_u32 v8, s0, v3
	v_mul_lo_u32 v9, s27, v3
	s_delay_alu instid0(VALU_DEP_2) | instskip(SKIP_1) | instid1(VALU_DEP_2)
	v_add_nc_u32_e32 v5, v8, v5
	v_mul_lo_u32 v8, s0, v3
	v_add_nc_u32_e32 v5, v5, v9
	s_delay_alu instid0(VALU_DEP_2) | instskip(NEXT) | instid1(VALU_DEP_2)
	v_mul_hi_u32 v9, v3, v8
	v_mul_lo_u32 v10, v3, v5
	v_mul_hi_u32 v11, v3, v5
	v_mul_hi_u32 v12, v4, v8
	v_mul_lo_u32 v8, v4, v8
	v_mul_hi_u32 v13, v4, v5
	v_mul_lo_u32 v5, v4, v5
	v_add_co_u32 v9, vcc_lo, v9, v10
	v_add_co_ci_u32_e32 v10, vcc_lo, 0, v11, vcc_lo
	s_delay_alu instid0(VALU_DEP_2) | instskip(NEXT) | instid1(VALU_DEP_2)
	v_add_co_u32 v8, vcc_lo, v9, v8
	v_add_co_ci_u32_e32 v8, vcc_lo, v10, v12, vcc_lo
	v_add_co_ci_u32_e32 v9, vcc_lo, 0, v13, vcc_lo
	v_ashrrev_i32_e32 v12, 31, v7
	s_delay_alu instid0(VALU_DEP_3) | instskip(NEXT) | instid1(VALU_DEP_3)
	v_add_co_u32 v5, vcc_lo, v8, v5
	v_add_co_ci_u32_e32 v8, vcc_lo, 0, v9, vcc_lo
	s_delay_alu instid0(VALU_DEP_2) | instskip(NEXT) | instid1(VALU_DEP_2)
	v_add_co_u32 v3, vcc_lo, v3, v5
	v_add_co_ci_u32_e32 v4, vcc_lo, v4, v8, vcc_lo
	s_delay_alu instid0(VALU_DEP_2) | instskip(SKIP_1) | instid1(VALU_DEP_3)
	v_mul_hi_u32 v5, s0, v3
	v_mul_lo_u32 v9, s27, v3
	v_mul_lo_u32 v8, s0, v4
	s_delay_alu instid0(VALU_DEP_1) | instskip(SKIP_1) | instid1(VALU_DEP_2)
	v_add_nc_u32_e32 v5, v5, v8
	v_mul_lo_u32 v8, s0, v3
	v_add_nc_u32_e32 v5, v5, v9
	s_delay_alu instid0(VALU_DEP_2) | instskip(NEXT) | instid1(VALU_DEP_2)
	v_mul_hi_u32 v9, v3, v8
	v_mul_lo_u32 v10, v3, v5
	v_mul_hi_u32 v11, v3, v5
	v_mul_hi_u32 v13, v4, v8
	v_mul_lo_u32 v8, v4, v8
	v_mul_hi_u32 v14, v4, v5
	v_mul_lo_u32 v5, v4, v5
	v_add_co_u32 v9, vcc_lo, v9, v10
	v_add_co_ci_u32_e32 v10, vcc_lo, 0, v11, vcc_lo
	s_delay_alu instid0(VALU_DEP_2) | instskip(NEXT) | instid1(VALU_DEP_2)
	v_add_co_u32 v8, vcc_lo, v9, v8
	v_add_co_ci_u32_e32 v8, vcc_lo, v10, v13, vcc_lo
	v_add_co_ci_u32_e32 v9, vcc_lo, 0, v14, vcc_lo
	v_add_co_u32 v10, vcc_lo, v6, v12
	v_add_co_ci_u32_e32 v11, vcc_lo, v7, v12, vcc_lo
	s_delay_alu instid0(VALU_DEP_4) | instskip(NEXT) | instid1(VALU_DEP_4)
	v_add_co_u32 v5, vcc_lo, v8, v5
	v_add_co_ci_u32_e32 v8, vcc_lo, 0, v9, vcc_lo
	s_delay_alu instid0(VALU_DEP_4) | instskip(NEXT) | instid1(VALU_DEP_3)
	v_xor_b32_e32 v13, v10, v12
	v_add_co_u32 v5, vcc_lo, v3, v5
	s_delay_alu instid0(VALU_DEP_3) | instskip(SKIP_1) | instid1(VALU_DEP_3)
	v_add_co_ci_u32_e32 v14, vcc_lo, v4, v8, vcc_lo
	v_xor_b32_e32 v15, v11, v12
	v_mul_hi_u32 v17, v13, v5
	s_delay_alu instid0(VALU_DEP_3) | instskip(NEXT) | instid1(VALU_DEP_3)
	v_mad_u64_u32 v[3:4], null, v13, v14, 0
	v_mad_u64_u32 v[8:9], null, v15, v5, 0
	;; [unrolled: 1-line block ×3, first 2 shown]
	s_delay_alu instid0(VALU_DEP_3) | instskip(NEXT) | instid1(VALU_DEP_4)
	v_add_co_u32 v3, vcc_lo, v17, v3
	v_add_co_ci_u32_e32 v4, vcc_lo, 0, v4, vcc_lo
	s_delay_alu instid0(VALU_DEP_2) | instskip(NEXT) | instid1(VALU_DEP_2)
	v_add_co_u32 v3, vcc_lo, v3, v8
	v_add_co_ci_u32_e32 v3, vcc_lo, v4, v9, vcc_lo
	v_add_co_ci_u32_e32 v4, vcc_lo, 0, v11, vcc_lo
	s_delay_alu instid0(VALU_DEP_2) | instskip(NEXT) | instid1(VALU_DEP_2)
	v_add_co_u32 v5, vcc_lo, v3, v10
	v_add_co_ci_u32_e32 v8, vcc_lo, 0, v4, vcc_lo
	s_delay_alu instid0(VALU_DEP_2) | instskip(SKIP_1) | instid1(VALU_DEP_3)
	v_mul_lo_u32 v9, s29, v5
	v_mad_u64_u32 v[3:4], null, s28, v5, 0
	v_mul_lo_u32 v10, s28, v8
	s_delay_alu instid0(VALU_DEP_2) | instskip(NEXT) | instid1(VALU_DEP_2)
	v_sub_co_u32 v3, vcc_lo, v13, v3
	v_add3_u32 v4, v4, v10, v9
	s_delay_alu instid0(VALU_DEP_1) | instskip(NEXT) | instid1(VALU_DEP_1)
	v_sub_nc_u32_e32 v9, v15, v4
	v_subrev_co_ci_u32_e64 v9, s0, s29, v9, vcc_lo
	v_add_co_u32 v10, s0, v5, 2
	s_delay_alu instid0(VALU_DEP_1) | instskip(SKIP_3) | instid1(VALU_DEP_3)
	v_add_co_ci_u32_e64 v11, s0, 0, v8, s0
	v_sub_co_u32 v13, s0, v3, s28
	v_sub_co_ci_u32_e32 v4, vcc_lo, v15, v4, vcc_lo
	v_subrev_co_ci_u32_e64 v9, s0, 0, v9, s0
	v_cmp_le_u32_e32 vcc_lo, s28, v13
	s_delay_alu instid0(VALU_DEP_3) | instskip(SKIP_1) | instid1(VALU_DEP_4)
	v_cmp_eq_u32_e64 s0, s29, v4
	v_cndmask_b32_e64 v13, 0, -1, vcc_lo
	v_cmp_le_u32_e32 vcc_lo, s29, v9
	v_cndmask_b32_e64 v14, 0, -1, vcc_lo
	v_cmp_le_u32_e32 vcc_lo, s28, v3
	;; [unrolled: 2-line block ×3, first 2 shown]
	v_cndmask_b32_e64 v15, 0, -1, vcc_lo
	v_cmp_eq_u32_e32 vcc_lo, s29, v9
	s_delay_alu instid0(VALU_DEP_2) | instskip(SKIP_3) | instid1(VALU_DEP_3)
	v_cndmask_b32_e64 v3, v15, v3, s0
	v_cndmask_b32_e32 v9, v14, v13, vcc_lo
	v_add_co_u32 v13, vcc_lo, v5, 1
	v_add_co_ci_u32_e32 v14, vcc_lo, 0, v8, vcc_lo
	v_cmp_ne_u32_e32 vcc_lo, 0, v9
	s_delay_alu instid0(VALU_DEP_2) | instskip(SKIP_2) | instid1(VALU_DEP_3)
	v_dual_cndmask_b32 v4, v14, v11 :: v_dual_cndmask_b32 v9, v13, v10
	v_cmp_ne_u32_e32 vcc_lo, 0, v3
	v_xor_b32_e32 v3, s26, v12
	v_dual_cndmask_b32 v5, v5, v9 :: v_dual_cndmask_b32 v4, v8, v4
	s_delay_alu instid0(VALU_DEP_1) | instskip(NEXT) | instid1(VALU_DEP_2)
	v_xor_b32_e32 v5, v5, v3
	v_xor_b32_e32 v4, v4, v3
	s_delay_alu instid0(VALU_DEP_2) | instskip(NEXT) | instid1(VALU_DEP_2)
	v_sub_co_u32 v8, vcc_lo, v5, v3
	v_sub_co_ci_u32_e32 v9, vcc_lo, v4, v3, vcc_lo
.LBB10_9:                               ;   in Loop: Header=BB10_3 Depth=1
	s_and_not1_saveexec_b32 s0, s25
	s_cbranch_execz .LBB10_11
; %bb.10:                               ;   in Loop: Header=BB10_3 Depth=1
	v_cvt_f32_u32_e32 v3, s22
	s_sub_i32 s25, 0, s22
	v_mov_b32_e32 v9, v2
	s_delay_alu instid0(VALU_DEP_2) | instskip(SKIP_2) | instid1(VALU_DEP_1)
	v_rcp_iflag_f32_e32 v3, v3
	s_waitcnt_depctr 0xfff
	v_mul_f32_e32 v3, 0x4f7ffffe, v3
	v_cvt_u32_f32_e32 v3, v3
	s_delay_alu instid0(VALU_DEP_1) | instskip(NEXT) | instid1(VALU_DEP_1)
	v_mul_lo_u32 v4, s25, v3
	v_mul_hi_u32 v4, v3, v4
	s_delay_alu instid0(VALU_DEP_1) | instskip(NEXT) | instid1(VALU_DEP_1)
	v_add_nc_u32_e32 v3, v3, v4
	v_mul_hi_u32 v3, v6, v3
	s_delay_alu instid0(VALU_DEP_1) | instskip(SKIP_1) | instid1(VALU_DEP_2)
	v_mul_lo_u32 v4, v3, s22
	v_add_nc_u32_e32 v5, 1, v3
	v_sub_nc_u32_e32 v4, v6, v4
	s_delay_alu instid0(VALU_DEP_1) | instskip(SKIP_1) | instid1(VALU_DEP_2)
	v_subrev_nc_u32_e32 v8, s22, v4
	v_cmp_le_u32_e32 vcc_lo, s22, v4
	v_dual_cndmask_b32 v4, v4, v8 :: v_dual_cndmask_b32 v3, v3, v5
	s_delay_alu instid0(VALU_DEP_1) | instskip(NEXT) | instid1(VALU_DEP_2)
	v_cmp_le_u32_e32 vcc_lo, s22, v4
	v_add_nc_u32_e32 v5, 1, v3
	s_delay_alu instid0(VALU_DEP_1)
	v_cndmask_b32_e32 v8, v3, v5, vcc_lo
.LBB10_11:                              ;   in Loop: Header=BB10_3 Depth=1
	s_or_b32 exec_lo, exec_lo, s0
	v_mul_lo_u32 v5, v7, s2
	v_mul_lo_u32 v12, v6, s3
	v_mad_u64_u32 v[3:4], null, v6, s2, 0
	v_mul_lo_u32 v13, v9, s22
	v_mul_lo_u32 v14, v8, s23
	v_mad_u64_u32 v[10:11], null, v8, s22, 0
	s_mov_b32 s25, exec_lo
	s_delay_alu instid0(VALU_DEP_4) | instskip(SKIP_1) | instid1(VALU_DEP_3)
	v_add3_u32 v5, v4, v12, v5
	v_sub_co_u32 v4, vcc_lo, v0, v3
	v_add3_u32 v11, v11, v14, v13
	s_delay_alu instid0(VALU_DEP_3) | instskip(SKIP_1) | instid1(VALU_DEP_3)
	v_sub_co_ci_u32_e32 v5, vcc_lo, v1, v5, vcc_lo
	v_sub_co_u32 v17, vcc_lo, v6, v10
	v_sub_co_ci_u32_e32 v18, vcc_lo, v7, v11, vcc_lo
	s_delay_alu instid0(VALU_DEP_2) | instskip(NEXT) | instid1(VALU_DEP_2)
	v_sub_co_u32 v6, vcc_lo, v4, v17
	v_sub_co_ci_u32_e32 v7, vcc_lo, v5, v18, vcc_lo
	s_delay_alu instid0(VALU_DEP_2) | instskip(NEXT) | instid1(VALU_DEP_2)
	v_add_co_u32 v10, vcc_lo, v6, 2
	v_add_co_ci_u32_e32 v11, vcc_lo, 0, v7, vcc_lo
	s_delay_alu instid0(VALU_DEP_1)
	v_cmpx_lt_i64_e64 s[4:5], v[10:11]
	s_cbranch_execz .LBB10_2
; %bb.12:                               ;   in Loop: Header=BB10_3 Depth=1
	s_clause 0x1
	s_load_b64 s[28:29], s[10:11], 0x0
	s_load_b64 s[30:31], s[12:13], 0x0
	s_and_b32 vcc_lo, exec_lo, s33
	s_mov_b64 s[34:35], s[18:19]
	s_mov_b64 s[36:37], s[16:17]
	s_waitcnt lgkmcnt(0)
	v_mul_lo_u32 v3, s29, v4
	v_mul_lo_u32 v12, s28, v5
	v_mad_u64_u32 v[10:11], null, s28, v4, 0
	s_delay_alu instid0(VALU_DEP_1) | instskip(SKIP_1) | instid1(VALU_DEP_2)
	v_add3_u32 v11, v11, v12, v3
	v_mul_lo_u32 v3, s30, v18
	v_mad_u64_u32 v[14:15], null, s30, v17, v[10:11]
	v_mul_lo_u32 v10, s31, v17
	s_mov_b64 s[30:31], s[20:21]
	s_delay_alu instid0(VALU_DEP_1) | instskip(NEXT) | instid1(VALU_DEP_1)
	v_add3_u32 v15, v10, v15, v3
	v_dual_mov_b32 v10, v14 :: v_dual_mov_b32 v11, v15
	s_cbranch_vccnz .LBB10_19
.LBB10_13:                              ;   in Loop: Header=BB10_3 Depth=1
	s_load_b64 s[30:31], s[14:15], 0x0
	s_waitcnt lgkmcnt(0)
	v_cmp_gt_i64_e32 vcc_lo, s[30:31], v[4:5]
	s_and_b32 exec_lo, exec_lo, vcc_lo
	s_cbranch_execz .LBB10_2
; %bb.14:                               ;   in Loop: Header=BB10_3 Depth=1
	v_lshlrev_b64 v[8:9], 2, v[14:15]
	v_cmp_lt_i64_e32 vcc_lo, s[4:5], v[6:7]
	s_delay_alu instid0(VALU_DEP_2) | instskip(NEXT) | instid1(VALU_DEP_1)
	v_add_co_u32 v6, s0, s8, v8
	v_add_co_ci_u32_e64 v7, s0, s9, v9, s0
	s_and_saveexec_b32 s0, vcc_lo
	s_cbranch_execz .LBB10_16
; %bb.15:                               ;   in Loop: Header=BB10_3 Depth=1
	global_store_b32 v[6:7], v2, off
.LBB10_16:                              ;   in Loop: Header=BB10_3 Depth=1
	s_or_b32 exec_lo, exec_lo, s0
	v_add_co_u32 v3, vcc_lo, v4, 1
	v_add_co_ci_u32_e32 v4, vcc_lo, 0, v5, vcc_lo
	s_delay_alu instid0(VALU_DEP_2) | instskip(NEXT) | instid1(VALU_DEP_2)
	v_sub_co_u32 v8, vcc_lo, v3, v17
	v_sub_co_ci_u32_e32 v9, vcc_lo, v4, v18, vcc_lo
	v_cmp_gt_i64_e32 vcc_lo, s[30:31], v[3:4]
	s_delay_alu instid0(VALU_DEP_2) | instskip(NEXT) | instid1(VALU_DEP_1)
	v_cmp_lt_i64_e64 s0, s[4:5], v[8:9]
	s_and_b32 s0, vcc_lo, s0
	s_delay_alu instid0(SALU_CYCLE_1)
	s_and_b32 exec_lo, exec_lo, s0
	s_cbranch_execz .LBB10_2
; %bb.17:                               ;   in Loop: Header=BB10_3 Depth=1
	s_lshl_b64 s[28:29], s[28:29], 2
	s_delay_alu instid0(SALU_CYCLE_1)
	v_add_co_u32 v3, vcc_lo, v6, s28
	v_add_co_ci_u32_e32 v4, vcc_lo, s29, v7, vcc_lo
	global_store_b32 v[3:4], v2, off
	s_branch .LBB10_2
.LBB10_18:                              ;   in Loop: Header=BB10_19 Depth=2
	s_or_b32 exec_lo, exec_lo, s0
	s_load_b64 s[40:41], s[36:37], 0x0
	s_delay_alu instid0(VALU_DEP_1)
	v_mul_lo_u32 v3, v13, s38
	v_mul_lo_u32 v19, v12, s39
	v_mad_u64_u32 v[14:15], null, v12, s38, 0
	s_add_u32 s36, s36, -8
	s_addc_u32 s37, s37, -1
	s_add_u32 s34, s34, -8
	s_addc_u32 s35, s35, -1
	;; [unrolled: 2-line block ×3, first 2 shown]
	s_delay_alu instid0(VALU_DEP_1) | instskip(SKIP_2) | instid1(VALU_DEP_3)
	v_add3_u32 v3, v15, v19, v3
	v_sub_co_u32 v8, vcc_lo, v8, v14
	v_cmp_lt_i64_e64 s0, s[30:31], 1
	v_sub_co_ci_u32_e32 v3, vcc_lo, v9, v3, vcc_lo
	s_delay_alu instid0(VALU_DEP_2) | instskip(SKIP_1) | instid1(VALU_DEP_1)
	s_and_b32 vcc_lo, exec_lo, s0
	s_waitcnt lgkmcnt(0)
	v_mul_lo_u32 v3, s40, v3
	v_mul_lo_u32 v9, s41, v8
	v_mad_u64_u32 v[14:15], null, s40, v8, v[10:11]
	s_delay_alu instid0(VALU_DEP_1) | instskip(NEXT) | instid1(VALU_DEP_2)
	v_add3_u32 v15, v9, v15, v3
	v_mov_b32_e32 v10, v14
	v_dual_mov_b32 v8, v12 :: v_dual_mov_b32 v9, v13
	s_delay_alu instid0(VALU_DEP_3)
	v_mov_b32_e32 v11, v15
	s_cbranch_vccnz .LBB10_13
.LBB10_19:                              ;   Parent Loop BB10_3 Depth=1
                                        ; =>  This Inner Loop Header: Depth=2
	s_load_b64 s[38:39], s[34:35], 0x0
                                        ; implicit-def: $vgpr12_vgpr13
	s_mov_b32 s0, exec_lo
	s_waitcnt lgkmcnt(0)
	v_or_b32_e32 v3, s39, v9
	s_delay_alu instid0(VALU_DEP_1)
	v_cmpx_ne_u64_e32 0, v[2:3]
	s_xor_b32 s27, exec_lo, s0
	s_cbranch_execz .LBB10_21
; %bb.20:                               ;   in Loop: Header=BB10_19 Depth=2
	s_ashr_i32 s40, s39, 31
	s_delay_alu instid0(SALU_CYCLE_1) | instskip(SKIP_2) | instid1(SALU_CYCLE_1)
	s_add_u32 s42, s38, s40
	s_mov_b32 s41, s40
	s_addc_u32 s43, s39, s40
	s_xor_b64 s[42:43], s[42:43], s[40:41]
	s_delay_alu instid0(SALU_CYCLE_1) | instskip(SKIP_3) | instid1(VALU_DEP_1)
	v_cvt_f32_u32_e32 v3, s42
	v_cvt_f32_u32_e32 v12, s43
	s_sub_u32 s0, 0, s42
	s_subb_u32 s41, 0, s43
	v_fmac_f32_e32 v3, 0x4f800000, v12
	s_delay_alu instid0(VALU_DEP_1) | instskip(SKIP_2) | instid1(VALU_DEP_1)
	v_rcp_f32_e32 v3, v3
	s_waitcnt_depctr 0xfff
	v_mul_f32_e32 v3, 0x5f7ffffc, v3
	v_mul_f32_e32 v12, 0x2f800000, v3
	s_delay_alu instid0(VALU_DEP_1) | instskip(NEXT) | instid1(VALU_DEP_1)
	v_trunc_f32_e32 v12, v12
	v_fmac_f32_e32 v3, 0xcf800000, v12
	v_cvt_u32_f32_e32 v12, v12
	s_delay_alu instid0(VALU_DEP_2) | instskip(NEXT) | instid1(VALU_DEP_2)
	v_cvt_u32_f32_e32 v3, v3
	v_mul_lo_u32 v13, s0, v12
	s_delay_alu instid0(VALU_DEP_2) | instskip(SKIP_1) | instid1(VALU_DEP_2)
	v_mul_hi_u32 v14, s0, v3
	v_mul_lo_u32 v15, s41, v3
	v_add_nc_u32_e32 v13, v14, v13
	v_mul_lo_u32 v14, s0, v3
	s_delay_alu instid0(VALU_DEP_2) | instskip(NEXT) | instid1(VALU_DEP_2)
	v_add_nc_u32_e32 v13, v13, v15
	v_mul_hi_u32 v15, v3, v14
	s_delay_alu instid0(VALU_DEP_2)
	v_mul_lo_u32 v19, v3, v13
	v_mul_hi_u32 v20, v3, v13
	v_mul_hi_u32 v21, v12, v14
	v_mul_lo_u32 v14, v12, v14
	v_mul_hi_u32 v22, v12, v13
	v_mul_lo_u32 v13, v12, v13
	v_add_co_u32 v15, vcc_lo, v15, v19
	v_add_co_ci_u32_e32 v19, vcc_lo, 0, v20, vcc_lo
	s_delay_alu instid0(VALU_DEP_2) | instskip(NEXT) | instid1(VALU_DEP_2)
	v_add_co_u32 v14, vcc_lo, v15, v14
	v_add_co_ci_u32_e32 v14, vcc_lo, v19, v21, vcc_lo
	v_add_co_ci_u32_e32 v15, vcc_lo, 0, v22, vcc_lo
	v_ashrrev_i32_e32 v21, 31, v9
	s_delay_alu instid0(VALU_DEP_3) | instskip(NEXT) | instid1(VALU_DEP_3)
	v_add_co_u32 v13, vcc_lo, v14, v13
	v_add_co_ci_u32_e32 v14, vcc_lo, 0, v15, vcc_lo
	s_delay_alu instid0(VALU_DEP_2) | instskip(NEXT) | instid1(VALU_DEP_2)
	v_add_co_u32 v3, vcc_lo, v3, v13
	v_add_co_ci_u32_e32 v12, vcc_lo, v12, v14, vcc_lo
	s_delay_alu instid0(VALU_DEP_2) | instskip(SKIP_1) | instid1(VALU_DEP_3)
	v_mul_hi_u32 v13, s0, v3
	v_mul_lo_u32 v15, s41, v3
	v_mul_lo_u32 v14, s0, v12
	s_delay_alu instid0(VALU_DEP_1) | instskip(SKIP_1) | instid1(VALU_DEP_2)
	v_add_nc_u32_e32 v13, v13, v14
	v_mul_lo_u32 v14, s0, v3
	v_add_nc_u32_e32 v13, v13, v15
	s_delay_alu instid0(VALU_DEP_2) | instskip(NEXT) | instid1(VALU_DEP_2)
	v_mul_hi_u32 v15, v3, v14
	v_mul_lo_u32 v19, v3, v13
	v_mul_hi_u32 v20, v3, v13
	v_mul_hi_u32 v22, v12, v14
	v_mul_lo_u32 v14, v12, v14
	v_mul_hi_u32 v23, v12, v13
	v_mul_lo_u32 v13, v12, v13
	v_add_co_u32 v15, vcc_lo, v15, v19
	v_add_co_ci_u32_e32 v19, vcc_lo, 0, v20, vcc_lo
	s_delay_alu instid0(VALU_DEP_2) | instskip(NEXT) | instid1(VALU_DEP_2)
	v_add_co_u32 v14, vcc_lo, v15, v14
	v_add_co_ci_u32_e32 v14, vcc_lo, v19, v22, vcc_lo
	v_add_co_ci_u32_e32 v15, vcc_lo, 0, v23, vcc_lo
	v_add_co_u32 v19, vcc_lo, v8, v21
	v_add_co_ci_u32_e32 v20, vcc_lo, v9, v21, vcc_lo
	s_delay_alu instid0(VALU_DEP_4) | instskip(NEXT) | instid1(VALU_DEP_4)
	v_add_co_u32 v13, vcc_lo, v14, v13
	v_add_co_ci_u32_e32 v14, vcc_lo, 0, v15, vcc_lo
	s_delay_alu instid0(VALU_DEP_4) | instskip(NEXT) | instid1(VALU_DEP_3)
	v_xor_b32_e32 v22, v19, v21
	v_add_co_u32 v3, vcc_lo, v3, v13
	s_delay_alu instid0(VALU_DEP_3) | instskip(SKIP_1) | instid1(VALU_DEP_3)
	v_add_co_ci_u32_e32 v23, vcc_lo, v12, v14, vcc_lo
	v_xor_b32_e32 v24, v20, v21
	v_mul_hi_u32 v25, v22, v3
	s_delay_alu instid0(VALU_DEP_3) | instskip(NEXT) | instid1(VALU_DEP_3)
	v_mad_u64_u32 v[12:13], null, v22, v23, 0
	v_mad_u64_u32 v[14:15], null, v24, v3, 0
	;; [unrolled: 1-line block ×3, first 2 shown]
	s_delay_alu instid0(VALU_DEP_3) | instskip(NEXT) | instid1(VALU_DEP_4)
	v_add_co_u32 v3, vcc_lo, v25, v12
	v_add_co_ci_u32_e32 v12, vcc_lo, 0, v13, vcc_lo
	s_delay_alu instid0(VALU_DEP_2) | instskip(NEXT) | instid1(VALU_DEP_2)
	v_add_co_u32 v3, vcc_lo, v3, v14
	v_add_co_ci_u32_e32 v3, vcc_lo, v12, v15, vcc_lo
	v_add_co_ci_u32_e32 v12, vcc_lo, 0, v20, vcc_lo
	s_delay_alu instid0(VALU_DEP_2) | instskip(NEXT) | instid1(VALU_DEP_2)
	v_add_co_u32 v3, vcc_lo, v3, v19
	v_add_co_ci_u32_e32 v14, vcc_lo, 0, v12, vcc_lo
	s_delay_alu instid0(VALU_DEP_2) | instskip(SKIP_1) | instid1(VALU_DEP_3)
	v_mul_lo_u32 v15, s43, v3
	v_mad_u64_u32 v[12:13], null, s42, v3, 0
	v_mul_lo_u32 v19, s42, v14
	s_delay_alu instid0(VALU_DEP_2) | instskip(NEXT) | instid1(VALU_DEP_2)
	v_sub_co_u32 v12, vcc_lo, v22, v12
	v_add3_u32 v13, v13, v19, v15
	s_delay_alu instid0(VALU_DEP_1) | instskip(NEXT) | instid1(VALU_DEP_1)
	v_sub_nc_u32_e32 v15, v24, v13
	v_subrev_co_ci_u32_e64 v15, s0, s43, v15, vcc_lo
	v_add_co_u32 v19, s0, v3, 2
	s_delay_alu instid0(VALU_DEP_1) | instskip(SKIP_3) | instid1(VALU_DEP_3)
	v_add_co_ci_u32_e64 v20, s0, 0, v14, s0
	v_sub_co_u32 v22, s0, v12, s42
	v_sub_co_ci_u32_e32 v13, vcc_lo, v24, v13, vcc_lo
	v_subrev_co_ci_u32_e64 v15, s0, 0, v15, s0
	v_cmp_le_u32_e32 vcc_lo, s42, v22
	s_delay_alu instid0(VALU_DEP_3) | instskip(SKIP_1) | instid1(VALU_DEP_4)
	v_cmp_eq_u32_e64 s0, s43, v13
	v_cndmask_b32_e64 v22, 0, -1, vcc_lo
	v_cmp_le_u32_e32 vcc_lo, s43, v15
	v_cndmask_b32_e64 v23, 0, -1, vcc_lo
	v_cmp_le_u32_e32 vcc_lo, s42, v12
	;; [unrolled: 2-line block ×3, first 2 shown]
	v_cndmask_b32_e64 v24, 0, -1, vcc_lo
	v_cmp_eq_u32_e32 vcc_lo, s43, v15
	s_delay_alu instid0(VALU_DEP_2) | instskip(SKIP_3) | instid1(VALU_DEP_3)
	v_cndmask_b32_e64 v12, v24, v12, s0
	v_cndmask_b32_e32 v15, v23, v22, vcc_lo
	v_add_co_u32 v22, vcc_lo, v3, 1
	v_add_co_ci_u32_e32 v23, vcc_lo, 0, v14, vcc_lo
	v_cmp_ne_u32_e32 vcc_lo, 0, v15
	s_delay_alu instid0(VALU_DEP_2) | instskip(NEXT) | instid1(VALU_DEP_4)
	v_cndmask_b32_e32 v13, v23, v20, vcc_lo
	v_cndmask_b32_e32 v15, v22, v19, vcc_lo
	v_cmp_ne_u32_e32 vcc_lo, 0, v12
	v_xor_b32_e32 v19, s40, v21
	s_delay_alu instid0(VALU_DEP_3) | instskip(NEXT) | instid1(VALU_DEP_1)
	v_dual_cndmask_b32 v3, v3, v15 :: v_dual_cndmask_b32 v12, v14, v13
	v_xor_b32_e32 v3, v3, v19
	s_delay_alu instid0(VALU_DEP_2) | instskip(NEXT) | instid1(VALU_DEP_2)
	v_xor_b32_e32 v13, v12, v19
	v_sub_co_u32 v12, vcc_lo, v3, v19
	s_delay_alu instid0(VALU_DEP_2)
	v_sub_co_ci_u32_e32 v13, vcc_lo, v13, v19, vcc_lo
.LBB10_21:                              ;   in Loop: Header=BB10_19 Depth=2
	s_and_not1_saveexec_b32 s0, s27
	s_cbranch_execz .LBB10_18
; %bb.22:                               ;   in Loop: Header=BB10_19 Depth=2
	v_cvt_f32_u32_e32 v3, s38
	s_sub_i32 s27, 0, s38
	s_delay_alu instid0(VALU_DEP_1) | instskip(SKIP_2) | instid1(VALU_DEP_1)
	v_rcp_iflag_f32_e32 v3, v3
	s_waitcnt_depctr 0xfff
	v_mul_f32_e32 v3, 0x4f7ffffe, v3
	v_cvt_u32_f32_e32 v3, v3
	s_delay_alu instid0(VALU_DEP_1) | instskip(NEXT) | instid1(VALU_DEP_1)
	v_mul_lo_u32 v12, s27, v3
	v_mul_hi_u32 v12, v3, v12
	s_delay_alu instid0(VALU_DEP_1) | instskip(NEXT) | instid1(VALU_DEP_1)
	v_add_nc_u32_e32 v3, v3, v12
	v_mul_hi_u32 v3, v8, v3
	s_delay_alu instid0(VALU_DEP_1) | instskip(SKIP_1) | instid1(VALU_DEP_2)
	v_mul_lo_u32 v12, v3, s38
	v_add_nc_u32_e32 v13, 1, v3
	v_sub_nc_u32_e32 v12, v8, v12
	s_delay_alu instid0(VALU_DEP_1) | instskip(SKIP_1) | instid1(VALU_DEP_2)
	v_subrev_nc_u32_e32 v14, s38, v12
	v_cmp_le_u32_e32 vcc_lo, s38, v12
	v_dual_cndmask_b32 v12, v12, v14 :: v_dual_cndmask_b32 v3, v3, v13
	s_delay_alu instid0(VALU_DEP_1) | instskip(NEXT) | instid1(VALU_DEP_2)
	v_cmp_le_u32_e32 vcc_lo, s38, v12
	v_add_nc_u32_e32 v13, 1, v3
	s_delay_alu instid0(VALU_DEP_1)
	v_dual_cndmask_b32 v12, v3, v13 :: v_dual_mov_b32 v13, v2
	s_branch .LBB10_18
.LBB10_23:
	s_nop 0
	s_sendmsg sendmsg(MSG_DEALLOC_VGPRS)
	s_endpgm
	.section	.rodata,"a",@progbits
	.p2align	6, 0x0
	.amdhsa_kernel _ZN2at6native16triu_tril_kernelIilLb0ELi2ELb1EEEvNS_4cuda6detail10TensorInfoIT_T0_EENS4_IKS5_S6_EEllS6_
		.amdhsa_group_segment_fixed_size 0
		.amdhsa_private_segment_fixed_size 0
		.amdhsa_kernarg_size 1112
		.amdhsa_user_sgpr_count 15
		.amdhsa_user_sgpr_dispatch_ptr 0
		.amdhsa_user_sgpr_queue_ptr 0
		.amdhsa_user_sgpr_kernarg_segment_ptr 1
		.amdhsa_user_sgpr_dispatch_id 0
		.amdhsa_user_sgpr_private_segment_size 0
		.amdhsa_wavefront_size32 1
		.amdhsa_uses_dynamic_stack 0
		.amdhsa_enable_private_segment 0
		.amdhsa_system_sgpr_workgroup_id_x 1
		.amdhsa_system_sgpr_workgroup_id_y 0
		.amdhsa_system_sgpr_workgroup_id_z 0
		.amdhsa_system_sgpr_workgroup_info 0
		.amdhsa_system_vgpr_workitem_id 0
		.amdhsa_next_free_vgpr 26
		.amdhsa_next_free_sgpr 45
		.amdhsa_reserve_vcc 1
		.amdhsa_float_round_mode_32 0
		.amdhsa_float_round_mode_16_64 0
		.amdhsa_float_denorm_mode_32 3
		.amdhsa_float_denorm_mode_16_64 3
		.amdhsa_dx10_clamp 1
		.amdhsa_ieee_mode 1
		.amdhsa_fp16_overflow 0
		.amdhsa_workgroup_processor_mode 1
		.amdhsa_memory_ordered 1
		.amdhsa_forward_progress 0
		.amdhsa_shared_vgpr_count 0
		.amdhsa_exception_fp_ieee_invalid_op 0
		.amdhsa_exception_fp_denorm_src 0
		.amdhsa_exception_fp_ieee_div_zero 0
		.amdhsa_exception_fp_ieee_overflow 0
		.amdhsa_exception_fp_ieee_underflow 0
		.amdhsa_exception_fp_ieee_inexact 0
		.amdhsa_exception_int_div_zero 0
	.end_amdhsa_kernel
	.section	.text._ZN2at6native16triu_tril_kernelIilLb0ELi2ELb1EEEvNS_4cuda6detail10TensorInfoIT_T0_EENS4_IKS5_S6_EEllS6_,"axG",@progbits,_ZN2at6native16triu_tril_kernelIilLb0ELi2ELb1EEEvNS_4cuda6detail10TensorInfoIT_T0_EENS4_IKS5_S6_EEllS6_,comdat
.Lfunc_end10:
	.size	_ZN2at6native16triu_tril_kernelIilLb0ELi2ELb1EEEvNS_4cuda6detail10TensorInfoIT_T0_EENS4_IKS5_S6_EEllS6_, .Lfunc_end10-_ZN2at6native16triu_tril_kernelIilLb0ELi2ELb1EEEvNS_4cuda6detail10TensorInfoIT_T0_EENS4_IKS5_S6_EEllS6_
                                        ; -- End function
	.section	.AMDGPU.csdata,"",@progbits
; Kernel info:
; codeLenInByte = 3912
; NumSgprs: 47
; NumVgprs: 26
; ScratchSize: 0
; MemoryBound: 0
; FloatMode: 240
; IeeeMode: 1
; LDSByteSize: 0 bytes/workgroup (compile time only)
; SGPRBlocks: 5
; VGPRBlocks: 3
; NumSGPRsForWavesPerEU: 47
; NumVGPRsForWavesPerEU: 26
; Occupancy: 16
; WaveLimiterHint : 0
; COMPUTE_PGM_RSRC2:SCRATCH_EN: 0
; COMPUTE_PGM_RSRC2:USER_SGPR: 15
; COMPUTE_PGM_RSRC2:TRAP_HANDLER: 0
; COMPUTE_PGM_RSRC2:TGID_X_EN: 1
; COMPUTE_PGM_RSRC2:TGID_Y_EN: 0
; COMPUTE_PGM_RSRC2:TGID_Z_EN: 0
; COMPUTE_PGM_RSRC2:TIDIG_COMP_CNT: 0
	.section	.text._ZN2at6native16triu_tril_kernelIilLb0ELi2ELb0EEEvNS_4cuda6detail10TensorInfoIT_T0_EENS4_IKS5_S6_EEllS6_,"axG",@progbits,_ZN2at6native16triu_tril_kernelIilLb0ELi2ELb0EEEvNS_4cuda6detail10TensorInfoIT_T0_EENS4_IKS5_S6_EEllS6_,comdat
	.protected	_ZN2at6native16triu_tril_kernelIilLb0ELi2ELb0EEEvNS_4cuda6detail10TensorInfoIT_T0_EENS4_IKS5_S6_EEllS6_ ; -- Begin function _ZN2at6native16triu_tril_kernelIilLb0ELi2ELb0EEEvNS_4cuda6detail10TensorInfoIT_T0_EENS4_IKS5_S6_EEllS6_
	.globl	_ZN2at6native16triu_tril_kernelIilLb0ELi2ELb0EEEvNS_4cuda6detail10TensorInfoIT_T0_EENS4_IKS5_S6_EEllS6_
	.p2align	8
	.type	_ZN2at6native16triu_tril_kernelIilLb0ELi2ELb0EEEvNS_4cuda6detail10TensorInfoIT_T0_EENS4_IKS5_S6_EEllS6_,@function
_ZN2at6native16triu_tril_kernelIilLb0ELi2ELb0EEEvNS_4cuda6detail10TensorInfoIT_T0_EENS4_IKS5_S6_EEllS6_: ; @_ZN2at6native16triu_tril_kernelIilLb0ELi2ELb0EEEvNS_4cuda6detail10TensorInfoIT_T0_EENS4_IKS5_S6_EEllS6_
; %bb.0:
	s_clause 0x1
	s_load_b32 s2, s[0:1], 0x364
	s_load_b128 s[4:7], s[0:1], 0x340
	v_mov_b32_e32 v2, 0
	s_add_u32 s8, s0, 0x358
	s_addc_u32 s9, s1, 0
	s_delay_alu instid0(VALU_DEP_1) | instskip(SKIP_3) | instid1(VALU_DEP_1)
	v_mov_b32_e32 v1, v2
	s_waitcnt lgkmcnt(0)
	s_and_b32 s24, s2, 0xffff
	s_mov_b32 s2, exec_lo
	v_mad_u64_u32 v[3:4], null, s24, s15, v[0:1]
	s_delay_alu instid0(VALU_DEP_1) | instskip(NEXT) | instid1(VALU_DEP_1)
	v_lshlrev_b64 v[0:1], 1, v[3:4]
	v_cmpx_gt_i64_e64 s[6:7], v[0:1]
	s_cbranch_execz .LBB11_26
; %bb.1:
	s_clause 0x1
	s_load_b32 s26, s[0:1], 0x338
	s_load_b64 s[2:3], s[0:1], 0x350
	s_add_u32 s10, s0, 0x1a0
	s_addc_u32 s11, s1, 0
	s_load_b32 s25, s[8:9], 0x0
	s_clause 0x1
	s_load_b64 s[20:21], s[0:1], 0x1a0
	s_load_b64 s[22:23], s[0:1], 0x0
	s_mov_b32 s46, 0
	s_waitcnt lgkmcnt(0)
	s_ashr_i32 s27, s26, 31
	s_add_u32 s30, s0, 0x1a8
	s_addc_u32 s31, s1, 0
	s_lshl_b64 s[8:9], s[26:27], 3
	v_cvt_f32_u32_e32 v3, s2
	s_add_u32 s14, s8, -16
	s_addc_u32 s15, s9, -1
	s_add_u32 s8, s30, s14
	s_addc_u32 s9, s31, s15
	s_add_u32 s12, s10, s14
	s_addc_u32 s13, s11, s15
	;; [unrolled: 2-line block ×4, first 2 shown]
	s_clause 0x2
	s_load_b128 s[8:11], s[8:9], 0x0
	s_load_b128 s[12:15], s[12:13], 0xd0
	;; [unrolled: 1-line block ×3, first 2 shown]
	v_rcp_iflag_f32_e32 v3, v3
	s_add_i32 s28, s26, -3
	s_mul_i32 s25, s25, s24
	s_ashr_i32 s29, s28, 31
	v_cmp_gt_i64_e64 s1, s[26:27], 2
	s_lshl_b64 s[26:27], s[28:29], 3
	s_lshl_b32 s33, s25, 1
	s_add_u32 s24, s34, s26
	s_addc_u32 s25, s35, s27
	s_add_u32 s26, s30, s26
	s_waitcnt_depctr 0xfff
	v_mul_f32_e32 v3, 0x4f7ffffe, v3
	s_addc_u32 s27, s31, s27
	s_add_u32 s28, s28, 1
	s_addc_u32 s29, s29, 0
	s_ashr_i32 s30, s3, 31
	v_cvt_u32_f32_e32 v18, v3
	s_branch .LBB11_3
.LBB11_2:                               ;   in Loop: Header=BB11_3 Depth=1
	s_or_b32 exec_lo, exec_lo, s0
	v_add_co_u32 v0, vcc_lo, v0, s33
	v_add_co_ci_u32_e32 v1, vcc_lo, 0, v1, vcc_lo
	s_delay_alu instid0(VALU_DEP_1) | instskip(SKIP_1) | instid1(SALU_CYCLE_1)
	v_cmp_le_i64_e32 vcc_lo, s[6:7], v[0:1]
	s_or_b32 s46, vcc_lo, s46
	s_and_not1_b32 exec_lo, exec_lo, s46
	s_cbranch_execz .LBB11_26
.LBB11_3:                               ; =>This Loop Header: Depth=1
                                        ;     Child Loop BB11_22 Depth 2
	v_or_b32_e32 v3, s3, v1
                                        ; implicit-def: $vgpr8_vgpr9
	s_mov_b32 s0, exec_lo
	s_delay_alu instid0(VALU_DEP_1)
	v_cmpx_ne_u64_e32 0, v[2:3]
	s_xor_b32 s36, exec_lo, s0
	s_cbranch_execz .LBB11_5
; %bb.4:                                ;   in Loop: Header=BB11_3 Depth=1
	s_add_u32 s34, s2, s30
	s_mov_b32 s31, s30
	s_addc_u32 s35, s3, s30
	s_delay_alu instid0(SALU_CYCLE_1) | instskip(NEXT) | instid1(SALU_CYCLE_1)
	s_xor_b64 s[34:35], s[34:35], s[30:31]
	v_cvt_f32_u32_e32 v3, s34
	v_cvt_f32_u32_e32 v4, s35
	s_sub_u32 s0, 0, s34
	s_subb_u32 s31, 0, s35
	s_delay_alu instid0(VALU_DEP_1) | instskip(NEXT) | instid1(VALU_DEP_1)
	v_fmac_f32_e32 v3, 0x4f800000, v4
	v_rcp_f32_e32 v3, v3
	s_waitcnt_depctr 0xfff
	v_mul_f32_e32 v3, 0x5f7ffffc, v3
	s_delay_alu instid0(VALU_DEP_1) | instskip(NEXT) | instid1(VALU_DEP_1)
	v_mul_f32_e32 v4, 0x2f800000, v3
	v_trunc_f32_e32 v4, v4
	s_delay_alu instid0(VALU_DEP_1) | instskip(SKIP_1) | instid1(VALU_DEP_2)
	v_fmac_f32_e32 v3, 0xcf800000, v4
	v_cvt_u32_f32_e32 v4, v4
	v_cvt_u32_f32_e32 v3, v3
	s_delay_alu instid0(VALU_DEP_2) | instskip(NEXT) | instid1(VALU_DEP_2)
	v_mul_lo_u32 v5, s0, v4
	v_mul_hi_u32 v6, s0, v3
	v_mul_lo_u32 v7, s31, v3
	s_delay_alu instid0(VALU_DEP_2) | instskip(SKIP_1) | instid1(VALU_DEP_2)
	v_add_nc_u32_e32 v5, v6, v5
	v_mul_lo_u32 v6, s0, v3
	v_add_nc_u32_e32 v5, v5, v7
	s_delay_alu instid0(VALU_DEP_2) | instskip(NEXT) | instid1(VALU_DEP_2)
	v_mul_hi_u32 v7, v3, v6
	v_mul_lo_u32 v8, v3, v5
	v_mul_hi_u32 v9, v3, v5
	v_mul_hi_u32 v10, v4, v6
	v_mul_lo_u32 v6, v4, v6
	v_mul_hi_u32 v11, v4, v5
	v_mul_lo_u32 v5, v4, v5
	v_add_co_u32 v7, vcc_lo, v7, v8
	v_add_co_ci_u32_e32 v8, vcc_lo, 0, v9, vcc_lo
	s_delay_alu instid0(VALU_DEP_2) | instskip(NEXT) | instid1(VALU_DEP_2)
	v_add_co_u32 v6, vcc_lo, v7, v6
	v_add_co_ci_u32_e32 v6, vcc_lo, v8, v10, vcc_lo
	v_add_co_ci_u32_e32 v7, vcc_lo, 0, v11, vcc_lo
	v_ashrrev_i32_e32 v10, 31, v1
	s_delay_alu instid0(VALU_DEP_3) | instskip(NEXT) | instid1(VALU_DEP_3)
	v_add_co_u32 v5, vcc_lo, v6, v5
	v_add_co_ci_u32_e32 v6, vcc_lo, 0, v7, vcc_lo
	s_delay_alu instid0(VALU_DEP_2) | instskip(NEXT) | instid1(VALU_DEP_2)
	v_add_co_u32 v3, vcc_lo, v3, v5
	v_add_co_ci_u32_e32 v4, vcc_lo, v4, v6, vcc_lo
	s_delay_alu instid0(VALU_DEP_2) | instskip(SKIP_1) | instid1(VALU_DEP_3)
	v_mul_hi_u32 v5, s0, v3
	v_mul_lo_u32 v7, s31, v3
	v_mul_lo_u32 v6, s0, v4
	s_delay_alu instid0(VALU_DEP_1) | instskip(SKIP_1) | instid1(VALU_DEP_2)
	v_add_nc_u32_e32 v5, v5, v6
	v_mul_lo_u32 v6, s0, v3
	v_add_nc_u32_e32 v5, v5, v7
	s_delay_alu instid0(VALU_DEP_2) | instskip(NEXT) | instid1(VALU_DEP_2)
	v_mul_hi_u32 v7, v3, v6
	v_mul_lo_u32 v8, v3, v5
	v_mul_hi_u32 v9, v3, v5
	v_mul_hi_u32 v11, v4, v6
	v_mul_lo_u32 v6, v4, v6
	v_mul_hi_u32 v12, v4, v5
	v_mul_lo_u32 v5, v4, v5
	v_add_co_u32 v7, vcc_lo, v7, v8
	v_add_co_ci_u32_e32 v8, vcc_lo, 0, v9, vcc_lo
	s_delay_alu instid0(VALU_DEP_2) | instskip(NEXT) | instid1(VALU_DEP_2)
	v_add_co_u32 v6, vcc_lo, v7, v6
	v_add_co_ci_u32_e32 v6, vcc_lo, v8, v11, vcc_lo
	v_add_co_ci_u32_e32 v7, vcc_lo, 0, v12, vcc_lo
	v_add_co_u32 v8, vcc_lo, v0, v10
	v_add_co_ci_u32_e32 v9, vcc_lo, v1, v10, vcc_lo
	s_delay_alu instid0(VALU_DEP_4) | instskip(NEXT) | instid1(VALU_DEP_4)
	v_add_co_u32 v5, vcc_lo, v6, v5
	v_add_co_ci_u32_e32 v6, vcc_lo, 0, v7, vcc_lo
	s_delay_alu instid0(VALU_DEP_4) | instskip(NEXT) | instid1(VALU_DEP_3)
	v_xor_b32_e32 v11, v8, v10
	v_add_co_u32 v7, vcc_lo, v3, v5
	s_delay_alu instid0(VALU_DEP_3) | instskip(SKIP_1) | instid1(VALU_DEP_3)
	v_add_co_ci_u32_e32 v12, vcc_lo, v4, v6, vcc_lo
	v_xor_b32_e32 v9, v9, v10
	v_mul_hi_u32 v13, v11, v7
	s_delay_alu instid0(VALU_DEP_3) | instskip(NEXT) | instid1(VALU_DEP_3)
	v_mad_u64_u32 v[3:4], null, v11, v12, 0
	v_mad_u64_u32 v[5:6], null, v9, v7, 0
	v_mad_u64_u32 v[7:8], null, v9, v12, 0
	s_delay_alu instid0(VALU_DEP_3) | instskip(NEXT) | instid1(VALU_DEP_4)
	v_add_co_u32 v3, vcc_lo, v13, v3
	v_add_co_ci_u32_e32 v4, vcc_lo, 0, v4, vcc_lo
	s_delay_alu instid0(VALU_DEP_2) | instskip(NEXT) | instid1(VALU_DEP_2)
	v_add_co_u32 v3, vcc_lo, v3, v5
	v_add_co_ci_u32_e32 v3, vcc_lo, v4, v6, vcc_lo
	v_add_co_ci_u32_e32 v4, vcc_lo, 0, v8, vcc_lo
	s_delay_alu instid0(VALU_DEP_2) | instskip(NEXT) | instid1(VALU_DEP_2)
	v_add_co_u32 v5, vcc_lo, v3, v7
	v_add_co_ci_u32_e32 v6, vcc_lo, 0, v4, vcc_lo
	s_delay_alu instid0(VALU_DEP_2) | instskip(SKIP_1) | instid1(VALU_DEP_3)
	v_mul_lo_u32 v7, s35, v5
	v_mad_u64_u32 v[3:4], null, s34, v5, 0
	v_mul_lo_u32 v8, s34, v6
	s_delay_alu instid0(VALU_DEP_2) | instskip(NEXT) | instid1(VALU_DEP_2)
	v_sub_co_u32 v3, vcc_lo, v11, v3
	v_add3_u32 v4, v4, v8, v7
	s_delay_alu instid0(VALU_DEP_1) | instskip(NEXT) | instid1(VALU_DEP_1)
	v_sub_nc_u32_e32 v7, v9, v4
	v_subrev_co_ci_u32_e64 v7, s0, s35, v7, vcc_lo
	v_add_co_u32 v8, s0, v5, 2
	s_delay_alu instid0(VALU_DEP_1) | instskip(SKIP_3) | instid1(VALU_DEP_3)
	v_add_co_ci_u32_e64 v11, s0, 0, v6, s0
	v_sub_co_u32 v12, s0, v3, s34
	v_sub_co_ci_u32_e32 v4, vcc_lo, v9, v4, vcc_lo
	v_subrev_co_ci_u32_e64 v7, s0, 0, v7, s0
	v_cmp_le_u32_e32 vcc_lo, s34, v12
	s_delay_alu instid0(VALU_DEP_3) | instskip(SKIP_1) | instid1(VALU_DEP_4)
	v_cmp_eq_u32_e64 s0, s35, v4
	v_cndmask_b32_e64 v9, 0, -1, vcc_lo
	v_cmp_le_u32_e32 vcc_lo, s35, v7
	v_cndmask_b32_e64 v12, 0, -1, vcc_lo
	v_cmp_le_u32_e32 vcc_lo, s34, v3
	;; [unrolled: 2-line block ×3, first 2 shown]
	v_cndmask_b32_e64 v13, 0, -1, vcc_lo
	v_cmp_eq_u32_e32 vcc_lo, s35, v7
	s_delay_alu instid0(VALU_DEP_2) | instskip(SKIP_3) | instid1(VALU_DEP_3)
	v_cndmask_b32_e64 v3, v13, v3, s0
	v_cndmask_b32_e32 v7, v12, v9, vcc_lo
	v_add_co_u32 v9, vcc_lo, v5, 1
	v_add_co_ci_u32_e32 v12, vcc_lo, 0, v6, vcc_lo
	v_cmp_ne_u32_e32 vcc_lo, 0, v7
	s_delay_alu instid0(VALU_DEP_2) | instskip(SKIP_2) | instid1(VALU_DEP_3)
	v_dual_cndmask_b32 v4, v12, v11 :: v_dual_cndmask_b32 v7, v9, v8
	v_cmp_ne_u32_e32 vcc_lo, 0, v3
	v_xor_b32_e32 v3, s30, v10
	v_dual_cndmask_b32 v5, v5, v7 :: v_dual_cndmask_b32 v4, v6, v4
	s_delay_alu instid0(VALU_DEP_1) | instskip(NEXT) | instid1(VALU_DEP_2)
	v_xor_b32_e32 v5, v5, v3
	v_xor_b32_e32 v4, v4, v3
	s_delay_alu instid0(VALU_DEP_2) | instskip(NEXT) | instid1(VALU_DEP_2)
	v_sub_co_u32 v8, vcc_lo, v5, v3
	v_sub_co_ci_u32_e32 v9, vcc_lo, v4, v3, vcc_lo
.LBB11_5:                               ;   in Loop: Header=BB11_3 Depth=1
	s_and_not1_saveexec_b32 s0, s36
	s_cbranch_execz .LBB11_7
; %bb.6:                                ;   in Loop: Header=BB11_3 Depth=1
	s_sub_i32 s31, 0, s2
	v_mov_b32_e32 v9, v2
	v_mul_lo_u32 v3, s31, v18
	s_delay_alu instid0(VALU_DEP_1) | instskip(NEXT) | instid1(VALU_DEP_1)
	v_mul_hi_u32 v3, v18, v3
	v_add_nc_u32_e32 v3, v18, v3
	s_delay_alu instid0(VALU_DEP_1) | instskip(NEXT) | instid1(VALU_DEP_1)
	v_mul_hi_u32 v3, v0, v3
	v_mul_lo_u32 v4, v3, s2
	v_add_nc_u32_e32 v5, 1, v3
	s_delay_alu instid0(VALU_DEP_2) | instskip(NEXT) | instid1(VALU_DEP_1)
	v_sub_nc_u32_e32 v4, v0, v4
	v_subrev_nc_u32_e32 v6, s2, v4
	v_cmp_le_u32_e32 vcc_lo, s2, v4
	s_delay_alu instid0(VALU_DEP_2) | instskip(NEXT) | instid1(VALU_DEP_1)
	v_dual_cndmask_b32 v4, v4, v6 :: v_dual_cndmask_b32 v3, v3, v5
	v_cmp_le_u32_e32 vcc_lo, s2, v4
	s_delay_alu instid0(VALU_DEP_2) | instskip(NEXT) | instid1(VALU_DEP_1)
	v_add_nc_u32_e32 v5, 1, v3
	v_cndmask_b32_e32 v8, v3, v5, vcc_lo
.LBB11_7:                               ;   in Loop: Header=BB11_3 Depth=1
	s_or_b32 exec_lo, exec_lo, s0
	s_waitcnt lgkmcnt(0)
	v_or_b32_e32 v3, s9, v9
                                        ; implicit-def: $vgpr6_vgpr7
	s_mov_b32 s0, exec_lo
	s_delay_alu instid0(VALU_DEP_1)
	v_cmpx_ne_u64_e32 0, v[2:3]
	s_xor_b32 s31, exec_lo, s0
	s_cbranch_execz .LBB11_9
; %bb.8:                                ;   in Loop: Header=BB11_3 Depth=1
	s_ashr_i32 s34, s9, 31
	s_delay_alu instid0(SALU_CYCLE_1) | instskip(SKIP_2) | instid1(SALU_CYCLE_1)
	s_add_u32 s36, s8, s34
	s_mov_b32 s35, s34
	s_addc_u32 s37, s9, s34
	s_xor_b64 s[36:37], s[36:37], s[34:35]
	s_delay_alu instid0(SALU_CYCLE_1) | instskip(SKIP_3) | instid1(VALU_DEP_1)
	v_cvt_f32_u32_e32 v3, s36
	v_cvt_f32_u32_e32 v4, s37
	s_sub_u32 s0, 0, s36
	s_subb_u32 s35, 0, s37
	v_fmac_f32_e32 v3, 0x4f800000, v4
	s_delay_alu instid0(VALU_DEP_1) | instskip(SKIP_2) | instid1(VALU_DEP_1)
	v_rcp_f32_e32 v3, v3
	s_waitcnt_depctr 0xfff
	v_mul_f32_e32 v3, 0x5f7ffffc, v3
	v_mul_f32_e32 v4, 0x2f800000, v3
	s_delay_alu instid0(VALU_DEP_1) | instskip(NEXT) | instid1(VALU_DEP_1)
	v_trunc_f32_e32 v4, v4
	v_fmac_f32_e32 v3, 0xcf800000, v4
	v_cvt_u32_f32_e32 v4, v4
	s_delay_alu instid0(VALU_DEP_2) | instskip(NEXT) | instid1(VALU_DEP_2)
	v_cvt_u32_f32_e32 v3, v3
	v_mul_lo_u32 v5, s0, v4
	s_delay_alu instid0(VALU_DEP_2) | instskip(SKIP_1) | instid1(VALU_DEP_2)
	v_mul_hi_u32 v6, s0, v3
	v_mul_lo_u32 v7, s35, v3
	v_add_nc_u32_e32 v5, v6, v5
	v_mul_lo_u32 v6, s0, v3
	s_delay_alu instid0(VALU_DEP_2) | instskip(NEXT) | instid1(VALU_DEP_2)
	v_add_nc_u32_e32 v5, v5, v7
	v_mul_hi_u32 v7, v3, v6
	s_delay_alu instid0(VALU_DEP_2)
	v_mul_lo_u32 v10, v3, v5
	v_mul_hi_u32 v11, v3, v5
	v_mul_hi_u32 v12, v4, v6
	v_mul_lo_u32 v6, v4, v6
	v_mul_hi_u32 v13, v4, v5
	v_mul_lo_u32 v5, v4, v5
	v_add_co_u32 v7, vcc_lo, v7, v10
	v_add_co_ci_u32_e32 v10, vcc_lo, 0, v11, vcc_lo
	s_delay_alu instid0(VALU_DEP_2) | instskip(NEXT) | instid1(VALU_DEP_2)
	v_add_co_u32 v6, vcc_lo, v7, v6
	v_add_co_ci_u32_e32 v6, vcc_lo, v10, v12, vcc_lo
	v_add_co_ci_u32_e32 v7, vcc_lo, 0, v13, vcc_lo
	v_ashrrev_i32_e32 v12, 31, v9
	s_delay_alu instid0(VALU_DEP_3) | instskip(NEXT) | instid1(VALU_DEP_3)
	v_add_co_u32 v5, vcc_lo, v6, v5
	v_add_co_ci_u32_e32 v6, vcc_lo, 0, v7, vcc_lo
	s_delay_alu instid0(VALU_DEP_2) | instskip(NEXT) | instid1(VALU_DEP_2)
	v_add_co_u32 v3, vcc_lo, v3, v5
	v_add_co_ci_u32_e32 v4, vcc_lo, v4, v6, vcc_lo
	s_delay_alu instid0(VALU_DEP_2) | instskip(SKIP_1) | instid1(VALU_DEP_3)
	v_mul_hi_u32 v5, s0, v3
	v_mul_lo_u32 v7, s35, v3
	v_mul_lo_u32 v6, s0, v4
	s_delay_alu instid0(VALU_DEP_1) | instskip(SKIP_1) | instid1(VALU_DEP_2)
	v_add_nc_u32_e32 v5, v5, v6
	v_mul_lo_u32 v6, s0, v3
	v_add_nc_u32_e32 v5, v5, v7
	s_delay_alu instid0(VALU_DEP_2) | instskip(NEXT) | instid1(VALU_DEP_2)
	v_mul_hi_u32 v7, v3, v6
	v_mul_lo_u32 v10, v3, v5
	v_mul_hi_u32 v11, v3, v5
	v_mul_hi_u32 v13, v4, v6
	v_mul_lo_u32 v6, v4, v6
	v_mul_hi_u32 v14, v4, v5
	v_mul_lo_u32 v5, v4, v5
	v_add_co_u32 v7, vcc_lo, v7, v10
	v_add_co_ci_u32_e32 v10, vcc_lo, 0, v11, vcc_lo
	s_delay_alu instid0(VALU_DEP_2) | instskip(NEXT) | instid1(VALU_DEP_2)
	v_add_co_u32 v6, vcc_lo, v7, v6
	v_add_co_ci_u32_e32 v6, vcc_lo, v10, v13, vcc_lo
	v_add_co_ci_u32_e32 v7, vcc_lo, 0, v14, vcc_lo
	v_add_co_u32 v10, vcc_lo, v8, v12
	v_add_co_ci_u32_e32 v11, vcc_lo, v9, v12, vcc_lo
	s_delay_alu instid0(VALU_DEP_4) | instskip(NEXT) | instid1(VALU_DEP_4)
	v_add_co_u32 v5, vcc_lo, v6, v5
	v_add_co_ci_u32_e32 v6, vcc_lo, 0, v7, vcc_lo
	s_delay_alu instid0(VALU_DEP_4) | instskip(NEXT) | instid1(VALU_DEP_3)
	v_xor_b32_e32 v7, v10, v12
	v_add_co_u32 v10, vcc_lo, v3, v5
	s_delay_alu instid0(VALU_DEP_3) | instskip(SKIP_1) | instid1(VALU_DEP_3)
	v_add_co_ci_u32_e32 v13, vcc_lo, v4, v6, vcc_lo
	v_xor_b32_e32 v14, v11, v12
	v_mul_hi_u32 v15, v7, v10
	s_delay_alu instid0(VALU_DEP_3) | instskip(NEXT) | instid1(VALU_DEP_3)
	v_mad_u64_u32 v[3:4], null, v7, v13, 0
	v_mad_u64_u32 v[5:6], null, v14, v10, 0
	;; [unrolled: 1-line block ×3, first 2 shown]
	s_delay_alu instid0(VALU_DEP_3) | instskip(NEXT) | instid1(VALU_DEP_4)
	v_add_co_u32 v3, vcc_lo, v15, v3
	v_add_co_ci_u32_e32 v4, vcc_lo, 0, v4, vcc_lo
	s_delay_alu instid0(VALU_DEP_2) | instskip(NEXT) | instid1(VALU_DEP_2)
	v_add_co_u32 v3, vcc_lo, v3, v5
	v_add_co_ci_u32_e32 v3, vcc_lo, v4, v6, vcc_lo
	v_add_co_ci_u32_e32 v4, vcc_lo, 0, v11, vcc_lo
	s_delay_alu instid0(VALU_DEP_2) | instskip(NEXT) | instid1(VALU_DEP_2)
	v_add_co_u32 v5, vcc_lo, v3, v10
	v_add_co_ci_u32_e32 v6, vcc_lo, 0, v4, vcc_lo
	s_delay_alu instid0(VALU_DEP_2) | instskip(SKIP_1) | instid1(VALU_DEP_3)
	v_mul_lo_u32 v10, s37, v5
	v_mad_u64_u32 v[3:4], null, s36, v5, 0
	v_mul_lo_u32 v11, s36, v6
	s_delay_alu instid0(VALU_DEP_2) | instskip(NEXT) | instid1(VALU_DEP_2)
	v_sub_co_u32 v3, vcc_lo, v7, v3
	v_add3_u32 v4, v4, v11, v10
	s_delay_alu instid0(VALU_DEP_1) | instskip(NEXT) | instid1(VALU_DEP_1)
	v_sub_nc_u32_e32 v10, v14, v4
	v_subrev_co_ci_u32_e64 v7, s0, s37, v10, vcc_lo
	v_add_co_u32 v10, s0, v5, 2
	s_delay_alu instid0(VALU_DEP_1) | instskip(SKIP_3) | instid1(VALU_DEP_3)
	v_add_co_ci_u32_e64 v11, s0, 0, v6, s0
	v_sub_co_u32 v13, s0, v3, s36
	v_sub_co_ci_u32_e32 v4, vcc_lo, v14, v4, vcc_lo
	v_subrev_co_ci_u32_e64 v7, s0, 0, v7, s0
	v_cmp_le_u32_e32 vcc_lo, s36, v13
	s_delay_alu instid0(VALU_DEP_3) | instskip(SKIP_1) | instid1(VALU_DEP_4)
	v_cmp_eq_u32_e64 s0, s37, v4
	v_cndmask_b32_e64 v13, 0, -1, vcc_lo
	v_cmp_le_u32_e32 vcc_lo, s37, v7
	v_cndmask_b32_e64 v14, 0, -1, vcc_lo
	v_cmp_le_u32_e32 vcc_lo, s36, v3
	v_cndmask_b32_e64 v3, 0, -1, vcc_lo
	v_cmp_le_u32_e32 vcc_lo, s37, v4
	v_cndmask_b32_e64 v15, 0, -1, vcc_lo
	v_cmp_eq_u32_e32 vcc_lo, s37, v7
	s_delay_alu instid0(VALU_DEP_2) | instskip(SKIP_3) | instid1(VALU_DEP_3)
	v_cndmask_b32_e64 v3, v15, v3, s0
	v_cndmask_b32_e32 v7, v14, v13, vcc_lo
	v_add_co_u32 v13, vcc_lo, v5, 1
	v_add_co_ci_u32_e32 v14, vcc_lo, 0, v6, vcc_lo
	v_cmp_ne_u32_e32 vcc_lo, 0, v7
	s_delay_alu instid0(VALU_DEP_2) | instskip(SKIP_2) | instid1(VALU_DEP_3)
	v_dual_cndmask_b32 v4, v14, v11 :: v_dual_cndmask_b32 v7, v13, v10
	v_cmp_ne_u32_e32 vcc_lo, 0, v3
	v_xor_b32_e32 v3, s34, v12
	v_dual_cndmask_b32 v5, v5, v7 :: v_dual_cndmask_b32 v4, v6, v4
	s_delay_alu instid0(VALU_DEP_1) | instskip(NEXT) | instid1(VALU_DEP_2)
	v_xor_b32_e32 v5, v5, v3
	v_xor_b32_e32 v4, v4, v3
	s_delay_alu instid0(VALU_DEP_2) | instskip(NEXT) | instid1(VALU_DEP_2)
	v_sub_co_u32 v6, vcc_lo, v5, v3
	v_sub_co_ci_u32_e32 v7, vcc_lo, v4, v3, vcc_lo
.LBB11_9:                               ;   in Loop: Header=BB11_3 Depth=1
	s_and_not1_saveexec_b32 s0, s31
	s_cbranch_execz .LBB11_11
; %bb.10:                               ;   in Loop: Header=BB11_3 Depth=1
	v_cvt_f32_u32_e32 v3, s8
	s_sub_i32 s31, 0, s8
	v_mov_b32_e32 v7, v2
	s_delay_alu instid0(VALU_DEP_2) | instskip(SKIP_2) | instid1(VALU_DEP_1)
	v_rcp_iflag_f32_e32 v3, v3
	s_waitcnt_depctr 0xfff
	v_mul_f32_e32 v3, 0x4f7ffffe, v3
	v_cvt_u32_f32_e32 v3, v3
	s_delay_alu instid0(VALU_DEP_1) | instskip(NEXT) | instid1(VALU_DEP_1)
	v_mul_lo_u32 v4, s31, v3
	v_mul_hi_u32 v4, v3, v4
	s_delay_alu instid0(VALU_DEP_1) | instskip(NEXT) | instid1(VALU_DEP_1)
	v_add_nc_u32_e32 v3, v3, v4
	v_mul_hi_u32 v3, v8, v3
	s_delay_alu instid0(VALU_DEP_1) | instskip(SKIP_1) | instid1(VALU_DEP_2)
	v_mul_lo_u32 v4, v3, s8
	v_add_nc_u32_e32 v5, 1, v3
	v_sub_nc_u32_e32 v4, v8, v4
	s_delay_alu instid0(VALU_DEP_1) | instskip(SKIP_1) | instid1(VALU_DEP_2)
	v_subrev_nc_u32_e32 v6, s8, v4
	v_cmp_le_u32_e32 vcc_lo, s8, v4
	v_dual_cndmask_b32 v4, v4, v6 :: v_dual_cndmask_b32 v3, v3, v5
	s_delay_alu instid0(VALU_DEP_1) | instskip(NEXT) | instid1(VALU_DEP_2)
	v_cmp_le_u32_e32 vcc_lo, s8, v4
	v_add_nc_u32_e32 v5, 1, v3
	s_delay_alu instid0(VALU_DEP_1)
	v_cndmask_b32_e32 v6, v3, v5, vcc_lo
.LBB11_11:                              ;   in Loop: Header=BB11_3 Depth=1
	s_or_b32 exec_lo, exec_lo, s0
	v_mul_lo_u32 v5, v9, s2
	v_mul_lo_u32 v12, v8, s3
	v_mad_u64_u32 v[3:4], null, v8, s2, 0
	v_mul_lo_u32 v13, v7, s8
	v_mul_lo_u32 v14, v6, s9
	v_mad_u64_u32 v[10:11], null, v6, s8, 0
	s_mov_b64 s[34:35], s[28:29]
	s_mov_b64 s[36:37], s[26:27]
	s_delay_alu instid0(VALU_DEP_4) | instskip(SKIP_2) | instid1(VALU_DEP_3)
	v_add3_u32 v5, v4, v12, v5
	v_sub_co_u32 v4, vcc_lo, v0, v3
	s_mov_b64 s[38:39], s[24:25]
	v_add3_u32 v3, v11, v14, v13
	s_delay_alu instid0(VALU_DEP_3) | instskip(NEXT) | instid1(VALU_DEP_3)
	v_sub_co_ci_u32_e32 v5, vcc_lo, v1, v5, vcc_lo
	v_mul_lo_u32 v11, s15, v4
	v_mul_lo_u32 v12, s19, v4
	v_mad_u64_u32 v[14:15], null, s18, v4, 0
	s_delay_alu instid0(VALU_DEP_4)
	v_mul_lo_u32 v13, s14, v5
	v_mul_lo_u32 v16, s18, v5
	v_mad_u64_u32 v[21:22], null, s14, v4, 0
	v_sub_co_u32 v19, vcc_lo, v8, v10
	v_sub_co_ci_u32_e32 v20, vcc_lo, v9, v3, vcc_lo
	s_and_b32 vcc_lo, exec_lo, s1
	s_delay_alu instid0(VALU_DEP_4) | instskip(NEXT) | instid1(VALU_DEP_4)
	v_add3_u32 v15, v15, v16, v12
	v_add3_u32 v22, v22, v13, v11
	v_mul_lo_u32 v3, s13, v19
	v_mul_lo_u32 v8, s12, v20
	;; [unrolled: 1-line block ×3, first 2 shown]
	v_mad_u64_u32 v[12:13], null, s16, v19, v[14:15]
	v_mul_lo_u32 v10, s17, v19
	v_mad_u64_u32 v[16:17], null, s12, v19, v[21:22]
	s_delay_alu instid0(VALU_DEP_2) | instskip(NEXT) | instid1(VALU_DEP_2)
	v_add3_u32 v13, v10, v13, v9
	v_add3_u32 v17, v3, v17, v8
	v_mov_b32_e32 v8, v12
	s_delay_alu instid0(VALU_DEP_3) | instskip(NEXT) | instid1(VALU_DEP_3)
	v_dual_mov_b32 v10, v16 :: v_dual_mov_b32 v9, v13
	v_mov_b32_e32 v11, v17
	s_cbranch_vccnz .LBB11_22
.LBB11_12:                              ;   in Loop: Header=BB11_3 Depth=1
	v_sub_co_u32 v6, vcc_lo, v4, v19
	v_sub_co_ci_u32_e32 v7, vcc_lo, v5, v20, vcc_lo
	v_mov_b32_e32 v8, 0
	v_mov_b32_e32 v10, 0
	s_mov_b32 s0, exec_lo
	s_delay_alu instid0(VALU_DEP_3)
	v_cmpx_ge_i64_e64 s[4:5], v[6:7]
	s_cbranch_execz .LBB11_18
; %bb.13:                               ;   in Loop: Header=BB11_3 Depth=1
	v_dual_mov_b32 v10, 0 :: v_dual_mov_b32 v3, 0
	s_mov_b32 s31, exec_lo
	v_cmpx_gt_i64_e64 s[10:11], v[4:5]
	s_cbranch_execz .LBB11_17
; %bb.14:                               ;   in Loop: Header=BB11_3 Depth=1
	v_lshlrev_b64 v[8:9], 2, v[16:17]
	v_mov_b32_e32 v3, 0
	s_mov_b32 s34, exec_lo
	s_delay_alu instid0(VALU_DEP_2) | instskip(NEXT) | instid1(VALU_DEP_3)
	v_add_co_u32 v8, vcc_lo, s20, v8
	v_add_co_ci_u32_e32 v9, vcc_lo, s21, v9, vcc_lo
	v_add_co_u32 v14, vcc_lo, v4, 1
	v_add_co_ci_u32_e32 v15, vcc_lo, 0, v5, vcc_lo
	global_load_b32 v10, v[8:9], off
	v_cmpx_gt_i64_e64 s[10:11], v[14:15]
	s_xor_b32 s34, exec_lo, s34
	s_cbranch_execz .LBB11_16
; %bb.15:                               ;   in Loop: Header=BB11_3 Depth=1
	s_lshl_b64 s[36:37], s[14:15], 2
	s_delay_alu instid0(SALU_CYCLE_1)
	v_add_co_u32 v8, vcc_lo, v8, s36
	v_add_co_ci_u32_e32 v9, vcc_lo, s37, v9, vcc_lo
	global_load_b32 v3, v[8:9], off
.LBB11_16:                              ;   in Loop: Header=BB11_3 Depth=1
	s_or_b32 exec_lo, exec_lo, s34
.LBB11_17:                              ;   in Loop: Header=BB11_3 Depth=1
	s_delay_alu instid0(SALU_CYCLE_1) | instskip(SKIP_2) | instid1(VALU_DEP_1)
	s_or_b32 exec_lo, exec_lo, s31
	v_add_co_u32 v6, vcc_lo, v6, 1
	v_add_co_ci_u32_e32 v7, vcc_lo, 0, v7, vcc_lo
	v_cmp_ge_i64_e32 vcc_lo, s[4:5], v[6:7]
	s_waitcnt vmcnt(0)
	v_cndmask_b32_e32 v8, 0, v3, vcc_lo
.LBB11_18:                              ;   in Loop: Header=BB11_3 Depth=1
	s_or_b32 exec_lo, exec_lo, s0
	s_delay_alu instid0(SALU_CYCLE_1)
	s_mov_b32 s0, exec_lo
	v_cmpx_gt_i64_e64 s[10:11], v[4:5]
	s_cbranch_execz .LBB11_2
; %bb.19:                               ;   in Loop: Header=BB11_3 Depth=1
	v_lshlrev_b64 v[6:7], 2, v[12:13]
	v_add_co_u32 v11, vcc_lo, v4, 1
	v_add_co_ci_u32_e32 v12, vcc_lo, 0, v5, vcc_lo
	s_mov_b32 s31, exec_lo
	s_delay_alu instid0(VALU_DEP_3) | instskip(NEXT) | instid1(VALU_DEP_4)
	v_add_co_u32 v3, vcc_lo, s22, v6
	v_add_co_ci_u32_e32 v4, vcc_lo, s23, v7, vcc_lo
	global_store_b32 v[3:4], v10, off
	v_cmpx_gt_i64_e64 s[10:11], v[11:12]
	s_xor_b32 s31, exec_lo, s31
	s_cbranch_execz .LBB11_2
; %bb.20:                               ;   in Loop: Header=BB11_3 Depth=1
	s_lshl_b64 s[34:35], s[18:19], 2
	s_delay_alu instid0(SALU_CYCLE_1)
	v_add_co_u32 v3, vcc_lo, v3, s34
	v_add_co_ci_u32_e32 v4, vcc_lo, s35, v4, vcc_lo
	global_store_b32 v[3:4], v8, off
	s_branch .LBB11_2
.LBB11_21:                              ;   in Loop: Header=BB11_22 Depth=2
	s_or_b32 exec_lo, exec_lo, s0
	s_delay_alu instid0(VALU_DEP_1) | instskip(NEXT) | instid1(VALU_DEP_2)
	v_mul_lo_u32 v3, v15, s40
	v_mul_lo_u32 v16, v14, s41
	s_load_b64 s[42:43], s[36:37], 0xc8
	v_mad_u64_u32 v[12:13], null, v14, s40, 0
	s_load_b64 s[40:41], s[38:39], 0x0
	s_add_u32 s38, s38, -8
	s_addc_u32 s39, s39, -1
	s_add_u32 s36, s36, -8
	s_addc_u32 s37, s37, -1
	s_add_u32 s34, s34, -1
	s_delay_alu instid0(VALU_DEP_1) | instskip(SKIP_2) | instid1(VALU_DEP_2)
	v_add3_u32 v3, v13, v16, v3
	v_sub_co_u32 v6, vcc_lo, v6, v12
	s_addc_u32 s35, s35, -1
	v_sub_co_ci_u32_e32 v3, vcc_lo, v7, v3, vcc_lo
	v_cmp_lt_i64_e64 s0, s[34:35], 1
	s_waitcnt lgkmcnt(0)
	s_delay_alu instid0(VALU_DEP_2)
	v_mul_lo_u32 v7, s42, v3
	v_mul_lo_u32 v21, s43, v6
	v_mad_u64_u32 v[16:17], null, s42, v6, v[10:11]
	v_mul_lo_u32 v3, s40, v3
	v_mul_lo_u32 v10, s41, v6
	v_mad_u64_u32 v[12:13], null, s40, v6, v[8:9]
	s_and_b32 vcc_lo, exec_lo, s0
	s_delay_alu instid0(VALU_DEP_4) | instskip(SKIP_1) | instid1(VALU_DEP_3)
	v_add3_u32 v17, v21, v17, v7
	v_dual_mov_b32 v6, v14 :: v_dual_mov_b32 v7, v15
	v_add3_u32 v13, v10, v13, v3
	s_delay_alu instid0(VALU_DEP_4) | instskip(NEXT) | instid1(VALU_DEP_4)
	v_mov_b32_e32 v8, v12
	v_dual_mov_b32 v10, v16 :: v_dual_mov_b32 v11, v17
	s_delay_alu instid0(VALU_DEP_3)
	v_mov_b32_e32 v9, v13
	s_cbranch_vccnz .LBB11_12
.LBB11_22:                              ;   Parent Loop BB11_3 Depth=1
                                        ; =>  This Inner Loop Header: Depth=2
	s_load_b64 s[40:41], s[36:37], 0x0
                                        ; implicit-def: $vgpr14_vgpr15
	s_mov_b32 s0, exec_lo
	s_waitcnt lgkmcnt(0)
	v_or_b32_e32 v3, s41, v7
	s_delay_alu instid0(VALU_DEP_1)
	v_cmpx_ne_u64_e32 0, v[2:3]
	s_xor_b32 s31, exec_lo, s0
	s_cbranch_execz .LBB11_24
; %bb.23:                               ;   in Loop: Header=BB11_22 Depth=2
	s_ashr_i32 s42, s41, 31
	s_delay_alu instid0(SALU_CYCLE_1) | instskip(SKIP_2) | instid1(SALU_CYCLE_1)
	s_add_u32 s44, s40, s42
	s_mov_b32 s43, s42
	s_addc_u32 s45, s41, s42
	s_xor_b64 s[44:45], s[44:45], s[42:43]
	s_delay_alu instid0(SALU_CYCLE_1) | instskip(SKIP_3) | instid1(VALU_DEP_1)
	v_cvt_f32_u32_e32 v3, s44
	v_cvt_f32_u32_e32 v12, s45
	s_sub_u32 s0, 0, s44
	s_subb_u32 s43, 0, s45
	v_fmac_f32_e32 v3, 0x4f800000, v12
	s_delay_alu instid0(VALU_DEP_1) | instskip(SKIP_2) | instid1(VALU_DEP_1)
	v_rcp_f32_e32 v3, v3
	s_waitcnt_depctr 0xfff
	v_mul_f32_e32 v3, 0x5f7ffffc, v3
	v_mul_f32_e32 v12, 0x2f800000, v3
	s_delay_alu instid0(VALU_DEP_1) | instskip(NEXT) | instid1(VALU_DEP_1)
	v_trunc_f32_e32 v12, v12
	v_fmac_f32_e32 v3, 0xcf800000, v12
	v_cvt_u32_f32_e32 v12, v12
	s_delay_alu instid0(VALU_DEP_2) | instskip(NEXT) | instid1(VALU_DEP_2)
	v_cvt_u32_f32_e32 v3, v3
	v_mul_lo_u32 v13, s0, v12
	s_delay_alu instid0(VALU_DEP_2) | instskip(SKIP_1) | instid1(VALU_DEP_2)
	v_mul_hi_u32 v14, s0, v3
	v_mul_lo_u32 v15, s43, v3
	v_add_nc_u32_e32 v13, v14, v13
	v_mul_lo_u32 v14, s0, v3
	s_delay_alu instid0(VALU_DEP_2) | instskip(NEXT) | instid1(VALU_DEP_2)
	v_add_nc_u32_e32 v13, v13, v15
	v_mul_hi_u32 v15, v3, v14
	s_delay_alu instid0(VALU_DEP_2)
	v_mul_lo_u32 v16, v3, v13
	v_mul_hi_u32 v17, v3, v13
	v_mul_hi_u32 v21, v12, v14
	v_mul_lo_u32 v14, v12, v14
	v_mul_hi_u32 v22, v12, v13
	v_mul_lo_u32 v13, v12, v13
	v_add_co_u32 v15, vcc_lo, v15, v16
	v_add_co_ci_u32_e32 v16, vcc_lo, 0, v17, vcc_lo
	s_delay_alu instid0(VALU_DEP_2) | instskip(NEXT) | instid1(VALU_DEP_2)
	v_add_co_u32 v14, vcc_lo, v15, v14
	v_add_co_ci_u32_e32 v14, vcc_lo, v16, v21, vcc_lo
	v_add_co_ci_u32_e32 v15, vcc_lo, 0, v22, vcc_lo
	v_ashrrev_i32_e32 v21, 31, v7
	s_delay_alu instid0(VALU_DEP_3) | instskip(NEXT) | instid1(VALU_DEP_3)
	v_add_co_u32 v13, vcc_lo, v14, v13
	v_add_co_ci_u32_e32 v14, vcc_lo, 0, v15, vcc_lo
	s_delay_alu instid0(VALU_DEP_2) | instskip(NEXT) | instid1(VALU_DEP_2)
	v_add_co_u32 v3, vcc_lo, v3, v13
	v_add_co_ci_u32_e32 v12, vcc_lo, v12, v14, vcc_lo
	s_delay_alu instid0(VALU_DEP_2) | instskip(SKIP_1) | instid1(VALU_DEP_3)
	v_mul_hi_u32 v13, s0, v3
	v_mul_lo_u32 v15, s43, v3
	v_mul_lo_u32 v14, s0, v12
	s_delay_alu instid0(VALU_DEP_1) | instskip(SKIP_1) | instid1(VALU_DEP_2)
	v_add_nc_u32_e32 v13, v13, v14
	v_mul_lo_u32 v14, s0, v3
	v_add_nc_u32_e32 v13, v13, v15
	s_delay_alu instid0(VALU_DEP_2) | instskip(NEXT) | instid1(VALU_DEP_2)
	v_mul_hi_u32 v15, v3, v14
	v_mul_lo_u32 v16, v3, v13
	v_mul_hi_u32 v17, v3, v13
	v_mul_hi_u32 v22, v12, v14
	v_mul_lo_u32 v14, v12, v14
	v_mul_hi_u32 v23, v12, v13
	v_mul_lo_u32 v13, v12, v13
	v_add_co_u32 v15, vcc_lo, v15, v16
	v_add_co_ci_u32_e32 v16, vcc_lo, 0, v17, vcc_lo
	s_delay_alu instid0(VALU_DEP_2) | instskip(NEXT) | instid1(VALU_DEP_2)
	v_add_co_u32 v14, vcc_lo, v15, v14
	v_add_co_ci_u32_e32 v14, vcc_lo, v16, v22, vcc_lo
	v_add_co_ci_u32_e32 v15, vcc_lo, 0, v23, vcc_lo
	v_add_co_u32 v16, vcc_lo, v6, v21
	v_add_co_ci_u32_e32 v17, vcc_lo, v7, v21, vcc_lo
	s_delay_alu instid0(VALU_DEP_4) | instskip(NEXT) | instid1(VALU_DEP_4)
	v_add_co_u32 v13, vcc_lo, v14, v13
	v_add_co_ci_u32_e32 v14, vcc_lo, 0, v15, vcc_lo
	s_delay_alu instid0(VALU_DEP_4) | instskip(NEXT) | instid1(VALU_DEP_3)
	v_xor_b32_e32 v22, v16, v21
	v_add_co_u32 v3, vcc_lo, v3, v13
	s_delay_alu instid0(VALU_DEP_3) | instskip(SKIP_1) | instid1(VALU_DEP_3)
	v_add_co_ci_u32_e32 v23, vcc_lo, v12, v14, vcc_lo
	v_xor_b32_e32 v24, v17, v21
	v_mul_hi_u32 v25, v22, v3
	s_delay_alu instid0(VALU_DEP_3) | instskip(NEXT) | instid1(VALU_DEP_3)
	v_mad_u64_u32 v[12:13], null, v22, v23, 0
	v_mad_u64_u32 v[14:15], null, v24, v3, 0
	;; [unrolled: 1-line block ×3, first 2 shown]
	s_delay_alu instid0(VALU_DEP_3) | instskip(NEXT) | instid1(VALU_DEP_4)
	v_add_co_u32 v3, vcc_lo, v25, v12
	v_add_co_ci_u32_e32 v12, vcc_lo, 0, v13, vcc_lo
	s_delay_alu instid0(VALU_DEP_2) | instskip(NEXT) | instid1(VALU_DEP_2)
	v_add_co_u32 v3, vcc_lo, v3, v14
	v_add_co_ci_u32_e32 v3, vcc_lo, v12, v15, vcc_lo
	v_add_co_ci_u32_e32 v12, vcc_lo, 0, v17, vcc_lo
	s_delay_alu instid0(VALU_DEP_2) | instskip(NEXT) | instid1(VALU_DEP_2)
	v_add_co_u32 v3, vcc_lo, v3, v16
	v_add_co_ci_u32_e32 v14, vcc_lo, 0, v12, vcc_lo
	s_delay_alu instid0(VALU_DEP_2) | instskip(SKIP_1) | instid1(VALU_DEP_3)
	v_mul_lo_u32 v15, s45, v3
	v_mad_u64_u32 v[12:13], null, s44, v3, 0
	v_mul_lo_u32 v16, s44, v14
	s_delay_alu instid0(VALU_DEP_2) | instskip(NEXT) | instid1(VALU_DEP_2)
	v_sub_co_u32 v12, vcc_lo, v22, v12
	v_add3_u32 v13, v13, v16, v15
	s_delay_alu instid0(VALU_DEP_1) | instskip(NEXT) | instid1(VALU_DEP_1)
	v_sub_nc_u32_e32 v15, v24, v13
	v_subrev_co_ci_u32_e64 v15, s0, s45, v15, vcc_lo
	v_add_co_u32 v16, s0, v3, 2
	s_delay_alu instid0(VALU_DEP_1) | instskip(SKIP_3) | instid1(VALU_DEP_3)
	v_add_co_ci_u32_e64 v17, s0, 0, v14, s0
	v_sub_co_u32 v22, s0, v12, s44
	v_sub_co_ci_u32_e32 v13, vcc_lo, v24, v13, vcc_lo
	v_subrev_co_ci_u32_e64 v15, s0, 0, v15, s0
	v_cmp_le_u32_e32 vcc_lo, s44, v22
	s_delay_alu instid0(VALU_DEP_3) | instskip(SKIP_1) | instid1(VALU_DEP_4)
	v_cmp_eq_u32_e64 s0, s45, v13
	v_cndmask_b32_e64 v22, 0, -1, vcc_lo
	v_cmp_le_u32_e32 vcc_lo, s45, v15
	v_cndmask_b32_e64 v23, 0, -1, vcc_lo
	v_cmp_le_u32_e32 vcc_lo, s44, v12
	;; [unrolled: 2-line block ×3, first 2 shown]
	v_cndmask_b32_e64 v24, 0, -1, vcc_lo
	v_cmp_eq_u32_e32 vcc_lo, s45, v15
	s_delay_alu instid0(VALU_DEP_2) | instskip(SKIP_3) | instid1(VALU_DEP_3)
	v_cndmask_b32_e64 v12, v24, v12, s0
	v_cndmask_b32_e32 v15, v23, v22, vcc_lo
	v_add_co_u32 v22, vcc_lo, v3, 1
	v_add_co_ci_u32_e32 v23, vcc_lo, 0, v14, vcc_lo
	v_cmp_ne_u32_e32 vcc_lo, 0, v15
	s_delay_alu instid0(VALU_DEP_2) | instskip(NEXT) | instid1(VALU_DEP_4)
	v_cndmask_b32_e32 v13, v23, v17, vcc_lo
	v_cndmask_b32_e32 v15, v22, v16, vcc_lo
	v_cmp_ne_u32_e32 vcc_lo, 0, v12
	v_xor_b32_e32 v12, s42, v21
	s_delay_alu instid0(VALU_DEP_3) | instskip(SKIP_1) | instid1(VALU_DEP_2)
	v_cndmask_b32_e32 v3, v3, v15, vcc_lo
	v_cndmask_b32_e32 v13, v14, v13, vcc_lo
	v_xor_b32_e32 v3, v3, v12
	s_delay_alu instid0(VALU_DEP_2) | instskip(NEXT) | instid1(VALU_DEP_2)
	v_xor_b32_e32 v13, v13, v12
	v_sub_co_u32 v14, vcc_lo, v3, v12
	s_delay_alu instid0(VALU_DEP_2)
	v_sub_co_ci_u32_e32 v15, vcc_lo, v13, v12, vcc_lo
.LBB11_24:                              ;   in Loop: Header=BB11_22 Depth=2
	s_and_not1_saveexec_b32 s0, s31
	s_cbranch_execz .LBB11_21
; %bb.25:                               ;   in Loop: Header=BB11_22 Depth=2
	v_cvt_f32_u32_e32 v3, s40
	s_sub_i32 s31, 0, s40
	v_mov_b32_e32 v15, v2
	s_delay_alu instid0(VALU_DEP_2) | instskip(SKIP_2) | instid1(VALU_DEP_1)
	v_rcp_iflag_f32_e32 v3, v3
	s_waitcnt_depctr 0xfff
	v_mul_f32_e32 v3, 0x4f7ffffe, v3
	v_cvt_u32_f32_e32 v3, v3
	s_delay_alu instid0(VALU_DEP_1) | instskip(NEXT) | instid1(VALU_DEP_1)
	v_mul_lo_u32 v12, s31, v3
	v_mul_hi_u32 v12, v3, v12
	s_delay_alu instid0(VALU_DEP_1) | instskip(NEXT) | instid1(VALU_DEP_1)
	v_add_nc_u32_e32 v3, v3, v12
	v_mul_hi_u32 v3, v6, v3
	s_delay_alu instid0(VALU_DEP_1) | instskip(SKIP_1) | instid1(VALU_DEP_2)
	v_mul_lo_u32 v12, v3, s40
	v_add_nc_u32_e32 v13, 1, v3
	v_sub_nc_u32_e32 v12, v6, v12
	s_delay_alu instid0(VALU_DEP_1) | instskip(SKIP_1) | instid1(VALU_DEP_2)
	v_subrev_nc_u32_e32 v14, s40, v12
	v_cmp_le_u32_e32 vcc_lo, s40, v12
	v_dual_cndmask_b32 v12, v12, v14 :: v_dual_cndmask_b32 v3, v3, v13
	s_delay_alu instid0(VALU_DEP_1) | instskip(NEXT) | instid1(VALU_DEP_2)
	v_cmp_le_u32_e32 vcc_lo, s40, v12
	v_add_nc_u32_e32 v13, 1, v3
	s_delay_alu instid0(VALU_DEP_1)
	v_cndmask_b32_e32 v14, v3, v13, vcc_lo
	s_branch .LBB11_21
.LBB11_26:
	s_nop 0
	s_sendmsg sendmsg(MSG_DEALLOC_VGPRS)
	s_endpgm
	.section	.rodata,"a",@progbits
	.p2align	6, 0x0
	.amdhsa_kernel _ZN2at6native16triu_tril_kernelIilLb0ELi2ELb0EEEvNS_4cuda6detail10TensorInfoIT_T0_EENS4_IKS5_S6_EEllS6_
		.amdhsa_group_segment_fixed_size 0
		.amdhsa_private_segment_fixed_size 0
		.amdhsa_kernarg_size 1112
		.amdhsa_user_sgpr_count 15
		.amdhsa_user_sgpr_dispatch_ptr 0
		.amdhsa_user_sgpr_queue_ptr 0
		.amdhsa_user_sgpr_kernarg_segment_ptr 1
		.amdhsa_user_sgpr_dispatch_id 0
		.amdhsa_user_sgpr_private_segment_size 0
		.amdhsa_wavefront_size32 1
		.amdhsa_uses_dynamic_stack 0
		.amdhsa_enable_private_segment 0
		.amdhsa_system_sgpr_workgroup_id_x 1
		.amdhsa_system_sgpr_workgroup_id_y 0
		.amdhsa_system_sgpr_workgroup_id_z 0
		.amdhsa_system_sgpr_workgroup_info 0
		.amdhsa_system_vgpr_workitem_id 0
		.amdhsa_next_free_vgpr 26
		.amdhsa_next_free_sgpr 47
		.amdhsa_reserve_vcc 1
		.amdhsa_float_round_mode_32 0
		.amdhsa_float_round_mode_16_64 0
		.amdhsa_float_denorm_mode_32 3
		.amdhsa_float_denorm_mode_16_64 3
		.amdhsa_dx10_clamp 1
		.amdhsa_ieee_mode 1
		.amdhsa_fp16_overflow 0
		.amdhsa_workgroup_processor_mode 1
		.amdhsa_memory_ordered 1
		.amdhsa_forward_progress 0
		.amdhsa_shared_vgpr_count 0
		.amdhsa_exception_fp_ieee_invalid_op 0
		.amdhsa_exception_fp_denorm_src 0
		.amdhsa_exception_fp_ieee_div_zero 0
		.amdhsa_exception_fp_ieee_overflow 0
		.amdhsa_exception_fp_ieee_underflow 0
		.amdhsa_exception_fp_ieee_inexact 0
		.amdhsa_exception_int_div_zero 0
	.end_amdhsa_kernel
	.section	.text._ZN2at6native16triu_tril_kernelIilLb0ELi2ELb0EEEvNS_4cuda6detail10TensorInfoIT_T0_EENS4_IKS5_S6_EEllS6_,"axG",@progbits,_ZN2at6native16triu_tril_kernelIilLb0ELi2ELb0EEEvNS_4cuda6detail10TensorInfoIT_T0_EENS4_IKS5_S6_EEllS6_,comdat
.Lfunc_end11:
	.size	_ZN2at6native16triu_tril_kernelIilLb0ELi2ELb0EEEvNS_4cuda6detail10TensorInfoIT_T0_EENS4_IKS5_S6_EEllS6_, .Lfunc_end11-_ZN2at6native16triu_tril_kernelIilLb0ELi2ELb0EEEvNS_4cuda6detail10TensorInfoIT_T0_EENS4_IKS5_S6_EEllS6_
                                        ; -- End function
	.section	.AMDGPU.csdata,"",@progbits
; Kernel info:
; codeLenInByte = 4152
; NumSgprs: 49
; NumVgprs: 26
; ScratchSize: 0
; MemoryBound: 0
; FloatMode: 240
; IeeeMode: 1
; LDSByteSize: 0 bytes/workgroup (compile time only)
; SGPRBlocks: 6
; VGPRBlocks: 3
; NumSGPRsForWavesPerEU: 49
; NumVGPRsForWavesPerEU: 26
; Occupancy: 16
; WaveLimiterHint : 0
; COMPUTE_PGM_RSRC2:SCRATCH_EN: 0
; COMPUTE_PGM_RSRC2:USER_SGPR: 15
; COMPUTE_PGM_RSRC2:TRAP_HANDLER: 0
; COMPUTE_PGM_RSRC2:TGID_X_EN: 1
; COMPUTE_PGM_RSRC2:TGID_Y_EN: 0
; COMPUTE_PGM_RSRC2:TGID_Z_EN: 0
; COMPUTE_PGM_RSRC2:TIDIG_COMP_CNT: 0
	.section	.text._ZN2at6native16triu_tril_kernelIliLb0ELi2ELb1EEEvNS_4cuda6detail10TensorInfoIT_T0_EENS4_IKS5_S6_EEllS6_,"axG",@progbits,_ZN2at6native16triu_tril_kernelIliLb0ELi2ELb1EEEvNS_4cuda6detail10TensorInfoIT_T0_EENS4_IKS5_S6_EEllS6_,comdat
	.protected	_ZN2at6native16triu_tril_kernelIliLb0ELi2ELb1EEEvNS_4cuda6detail10TensorInfoIT_T0_EENS4_IKS5_S6_EEllS6_ ; -- Begin function _ZN2at6native16triu_tril_kernelIliLb0ELi2ELb1EEEvNS_4cuda6detail10TensorInfoIT_T0_EENS4_IKS5_S6_EEllS6_
	.globl	_ZN2at6native16triu_tril_kernelIliLb0ELi2ELb1EEEvNS_4cuda6detail10TensorInfoIT_T0_EENS4_IKS5_S6_EEllS6_
	.p2align	8
	.type	_ZN2at6native16triu_tril_kernelIliLb0ELi2ELb1EEEvNS_4cuda6detail10TensorInfoIT_T0_EENS4_IKS5_S6_EEllS6_,@function
_ZN2at6native16triu_tril_kernelIliLb0ELi2ELb1EEEvNS_4cuda6detail10TensorInfoIT_T0_EENS4_IKS5_S6_EEllS6_: ; @_ZN2at6native16triu_tril_kernelIliLb0ELi2ELb1EEEvNS_4cuda6detail10TensorInfoIT_T0_EENS4_IKS5_S6_EEllS6_
; %bb.0:
	s_clause 0x1
	s_load_b32 s2, s[0:1], 0x1d4
	s_load_b128 s[4:7], s[0:1], 0x1b0
	v_mov_b32_e32 v2, 0
	s_add_u32 s8, s0, 0x1c8
	s_addc_u32 s9, s1, 0
	s_delay_alu instid0(VALU_DEP_1) | instskip(SKIP_3) | instid1(VALU_DEP_1)
	v_mov_b32_e32 v1, v2
	s_waitcnt lgkmcnt(0)
	s_and_b32 s14, s2, 0xffff
	s_mov_b32 s2, exec_lo
	v_mad_u64_u32 v[3:4], null, s14, s15, v[0:1]
	s_delay_alu instid0(VALU_DEP_1) | instskip(NEXT) | instid1(VALU_DEP_1)
	v_lshlrev_b64 v[0:1], 1, v[3:4]
	v_cmpx_gt_i64_e64 s[6:7], v[0:1]
	s_cbranch_execz .LBB12_64
; %bb.1:
	s_clause 0x2
	s_load_b32 s24, s[0:1], 0x1c0
	s_load_b32 s16, s[0:1], 0x1a8
	s_load_b64 s[2:3], s[0:1], 0x0
	s_load_b32 s19, s[8:9], 0x0
	s_mov_b32 s38, 0
	s_waitcnt lgkmcnt(0)
	s_ashr_i32 s25, s24, 31
	s_ashr_i32 s17, s16, 31
	s_add_u32 s26, s0, 0xe0
	s_addc_u32 s27, s1, 0
	s_lshl_b64 s[10:11], s[16:17], 2
	v_cvt_f32_u32_e32 v3, s24
	s_add_u32 s15, s10, -8
	s_addc_u32 s18, s11, -1
	s_add_u32 s12, s26, s15
	s_addc_u32 s13, s27, s18
	v_rcp_iflag_f32_e32 v3, v3
	s_load_b32 s28, s[12:13], 0x0
	s_mul_i32 s19, s19, s14
	v_cmp_gt_i64_e64 s37, s[16:17], 2
	s_waitcnt_depctr 0xfff
	v_mul_f32_e32 v3, 0x4f7ffffe, v3
	s_delay_alu instid0(VALU_DEP_1)
	v_cvt_u32_f32_e32 v3, v3
	s_waitcnt lgkmcnt(0)
	s_ashr_i32 s29, s28, 31
	s_add_u32 s12, s10, -4
	s_addc_u32 s13, s11, -1
	s_add_u32 s30, s0, 0x6c
	s_addc_u32 s1, s1, 0
	s_add_u32 s8, s30, s12
	s_addc_u32 s9, s1, s13
	;; [unrolled: 2-line block ×3, first 2 shown]
	s_add_i32 s31, s16, -3
	s_add_u32 s12, s26, s12
	s_addc_u32 s13, s27, s13
	s_add_i32 s0, s16, 6
	s_lshl_b32 s34, s19, 1
	s_and_b32 s33, s0, 7
	s_mov_b32 s15, 0
	s_cmp_lg_u32 s33, 0
	s_cselect_b32 s35, -1, 0
	s_cmp_gt_u32 s31, 6
	s_cselect_b32 s36, -1, 0
	s_sub_i32 s0, 0, s24
	s_delay_alu instid0(SALU_CYCLE_1) | instskip(NEXT) | instid1(VALU_DEP_1)
	v_mul_lo_u32 v4, s0, v3
	v_mul_hi_u32 v4, v3, v4
	s_delay_alu instid0(VALU_DEP_1)
	v_add_nc_u32_e32 v25, v3, v4
	s_branch .LBB12_3
.LBB12_2:                               ;   in Loop: Header=BB12_3 Depth=1
	s_or_b32 exec_lo, exec_lo, s39
	v_add_co_u32 v0, vcc_lo, v0, s34
	v_add_co_ci_u32_e32 v1, vcc_lo, 0, v1, vcc_lo
	s_delay_alu instid0(VALU_DEP_1) | instskip(SKIP_1) | instid1(SALU_CYCLE_1)
	v_cmp_le_i64_e32 vcc_lo, s[6:7], v[0:1]
	s_or_b32 s38, vcc_lo, s38
	s_and_not1_b32 exec_lo, exec_lo, s38
	s_cbranch_execz .LBB12_64
.LBB12_3:                               ; =>This Loop Header: Depth=1
                                        ;     Child Loop BB12_15 Depth 2
                                        ;     Child Loop BB12_24 Depth 2
	v_or_b32_e32 v3, s25, v1
                                        ; implicit-def: $vgpr4_vgpr5
	s_mov_b32 s0, exec_lo
	s_delay_alu instid0(VALU_DEP_1)
	v_cmpx_ne_u64_e32 0, v[2:3]
	s_xor_b32 s14, exec_lo, s0
	s_cbranch_execz .LBB12_5
; %bb.4:                                ;   in Loop: Header=BB12_3 Depth=1
	s_add_u32 s18, s24, s25
	s_mov_b32 s16, s25
	s_mov_b32 s17, s25
	s_addc_u32 s19, s25, s25
	s_delay_alu instid0(SALU_CYCLE_1) | instskip(NEXT) | instid1(SALU_CYCLE_1)
	s_xor_b64 s[18:19], s[18:19], s[16:17]
	v_cvt_f32_u32_e32 v3, s18
	v_cvt_f32_u32_e32 v4, s19
	s_sub_u32 s0, 0, s18
	s_subb_u32 s20, 0, s19
	s_delay_alu instid0(VALU_DEP_1) | instskip(NEXT) | instid1(VALU_DEP_1)
	v_fmac_f32_e32 v3, 0x4f800000, v4
	v_rcp_f32_e32 v3, v3
	s_waitcnt_depctr 0xfff
	v_mul_f32_e32 v3, 0x5f7ffffc, v3
	s_delay_alu instid0(VALU_DEP_1) | instskip(NEXT) | instid1(VALU_DEP_1)
	v_mul_f32_e32 v4, 0x2f800000, v3
	v_trunc_f32_e32 v4, v4
	s_delay_alu instid0(VALU_DEP_1) | instskip(SKIP_1) | instid1(VALU_DEP_2)
	v_fmac_f32_e32 v3, 0xcf800000, v4
	v_cvt_u32_f32_e32 v4, v4
	v_cvt_u32_f32_e32 v3, v3
	s_delay_alu instid0(VALU_DEP_2) | instskip(NEXT) | instid1(VALU_DEP_2)
	v_mul_lo_u32 v5, s0, v4
	v_mul_hi_u32 v6, s0, v3
	v_mul_lo_u32 v7, s20, v3
	s_delay_alu instid0(VALU_DEP_2) | instskip(SKIP_1) | instid1(VALU_DEP_2)
	v_add_nc_u32_e32 v5, v6, v5
	v_mul_lo_u32 v6, s0, v3
	v_add_nc_u32_e32 v5, v5, v7
	s_delay_alu instid0(VALU_DEP_2) | instskip(NEXT) | instid1(VALU_DEP_2)
	v_mul_hi_u32 v7, v3, v6
	v_mul_lo_u32 v8, v3, v5
	v_mul_hi_u32 v9, v3, v5
	v_mul_hi_u32 v10, v4, v6
	v_mul_lo_u32 v6, v4, v6
	v_mul_hi_u32 v11, v4, v5
	v_mul_lo_u32 v5, v4, v5
	v_add_co_u32 v7, vcc_lo, v7, v8
	v_add_co_ci_u32_e32 v8, vcc_lo, 0, v9, vcc_lo
	s_delay_alu instid0(VALU_DEP_2) | instskip(NEXT) | instid1(VALU_DEP_2)
	v_add_co_u32 v6, vcc_lo, v7, v6
	v_add_co_ci_u32_e32 v6, vcc_lo, v8, v10, vcc_lo
	v_add_co_ci_u32_e32 v7, vcc_lo, 0, v11, vcc_lo
	v_ashrrev_i32_e32 v10, 31, v1
	s_delay_alu instid0(VALU_DEP_3) | instskip(NEXT) | instid1(VALU_DEP_3)
	v_add_co_u32 v5, vcc_lo, v6, v5
	v_add_co_ci_u32_e32 v6, vcc_lo, 0, v7, vcc_lo
	s_delay_alu instid0(VALU_DEP_2) | instskip(NEXT) | instid1(VALU_DEP_2)
	v_add_co_u32 v3, vcc_lo, v3, v5
	v_add_co_ci_u32_e32 v4, vcc_lo, v4, v6, vcc_lo
	s_delay_alu instid0(VALU_DEP_2) | instskip(SKIP_1) | instid1(VALU_DEP_3)
	v_mul_hi_u32 v5, s0, v3
	v_mul_lo_u32 v7, s20, v3
	v_mul_lo_u32 v6, s0, v4
	s_delay_alu instid0(VALU_DEP_1) | instskip(SKIP_1) | instid1(VALU_DEP_2)
	v_add_nc_u32_e32 v5, v5, v6
	v_mul_lo_u32 v6, s0, v3
	v_add_nc_u32_e32 v5, v5, v7
	s_delay_alu instid0(VALU_DEP_2) | instskip(NEXT) | instid1(VALU_DEP_2)
	v_mul_hi_u32 v7, v3, v6
	v_mul_lo_u32 v8, v3, v5
	v_mul_hi_u32 v9, v3, v5
	v_mul_hi_u32 v11, v4, v6
	v_mul_lo_u32 v6, v4, v6
	v_mul_hi_u32 v12, v4, v5
	v_mul_lo_u32 v5, v4, v5
	v_add_co_u32 v7, vcc_lo, v7, v8
	v_add_co_ci_u32_e32 v8, vcc_lo, 0, v9, vcc_lo
	s_delay_alu instid0(VALU_DEP_2) | instskip(NEXT) | instid1(VALU_DEP_2)
	v_add_co_u32 v6, vcc_lo, v7, v6
	v_add_co_ci_u32_e32 v6, vcc_lo, v8, v11, vcc_lo
	v_add_co_ci_u32_e32 v7, vcc_lo, 0, v12, vcc_lo
	v_add_co_u32 v8, vcc_lo, v0, v10
	v_add_co_ci_u32_e32 v9, vcc_lo, v1, v10, vcc_lo
	s_delay_alu instid0(VALU_DEP_4) | instskip(NEXT) | instid1(VALU_DEP_4)
	v_add_co_u32 v5, vcc_lo, v6, v5
	v_add_co_ci_u32_e32 v6, vcc_lo, 0, v7, vcc_lo
	s_delay_alu instid0(VALU_DEP_4) | instskip(NEXT) | instid1(VALU_DEP_3)
	v_xor_b32_e32 v11, v8, v10
	v_add_co_u32 v7, vcc_lo, v3, v5
	s_delay_alu instid0(VALU_DEP_3) | instskip(SKIP_1) | instid1(VALU_DEP_3)
	v_add_co_ci_u32_e32 v12, vcc_lo, v4, v6, vcc_lo
	v_xor_b32_e32 v9, v9, v10
	v_mul_hi_u32 v13, v11, v7
	s_delay_alu instid0(VALU_DEP_3) | instskip(NEXT) | instid1(VALU_DEP_3)
	v_mad_u64_u32 v[3:4], null, v11, v12, 0
	v_mad_u64_u32 v[5:6], null, v9, v7, 0
	;; [unrolled: 1-line block ×3, first 2 shown]
	s_delay_alu instid0(VALU_DEP_3) | instskip(NEXT) | instid1(VALU_DEP_4)
	v_add_co_u32 v3, vcc_lo, v13, v3
	v_add_co_ci_u32_e32 v4, vcc_lo, 0, v4, vcc_lo
	s_delay_alu instid0(VALU_DEP_2) | instskip(NEXT) | instid1(VALU_DEP_2)
	v_add_co_u32 v3, vcc_lo, v3, v5
	v_add_co_ci_u32_e32 v3, vcc_lo, v4, v6, vcc_lo
	v_add_co_ci_u32_e32 v4, vcc_lo, 0, v8, vcc_lo
	s_delay_alu instid0(VALU_DEP_2) | instskip(NEXT) | instid1(VALU_DEP_2)
	v_add_co_u32 v5, vcc_lo, v3, v7
	v_add_co_ci_u32_e32 v6, vcc_lo, 0, v4, vcc_lo
	s_delay_alu instid0(VALU_DEP_2) | instskip(SKIP_1) | instid1(VALU_DEP_3)
	v_mul_lo_u32 v7, s19, v5
	v_mad_u64_u32 v[3:4], null, s18, v5, 0
	v_mul_lo_u32 v8, s18, v6
	s_delay_alu instid0(VALU_DEP_2) | instskip(NEXT) | instid1(VALU_DEP_2)
	v_sub_co_u32 v3, vcc_lo, v11, v3
	v_add3_u32 v4, v4, v8, v7
	s_delay_alu instid0(VALU_DEP_1) | instskip(NEXT) | instid1(VALU_DEP_1)
	v_sub_nc_u32_e32 v7, v9, v4
	v_subrev_co_ci_u32_e64 v7, s0, s19, v7, vcc_lo
	v_add_co_u32 v8, s0, v5, 2
	s_delay_alu instid0(VALU_DEP_1) | instskip(SKIP_3) | instid1(VALU_DEP_3)
	v_add_co_ci_u32_e64 v11, s0, 0, v6, s0
	v_sub_co_u32 v12, s0, v3, s18
	v_sub_co_ci_u32_e32 v4, vcc_lo, v9, v4, vcc_lo
	v_subrev_co_ci_u32_e64 v7, s0, 0, v7, s0
	v_cmp_le_u32_e32 vcc_lo, s18, v12
	s_delay_alu instid0(VALU_DEP_3) | instskip(SKIP_1) | instid1(VALU_DEP_4)
	v_cmp_eq_u32_e64 s0, s19, v4
	v_cndmask_b32_e64 v9, 0, -1, vcc_lo
	v_cmp_le_u32_e32 vcc_lo, s19, v7
	v_cndmask_b32_e64 v12, 0, -1, vcc_lo
	v_cmp_le_u32_e32 vcc_lo, s18, v3
	;; [unrolled: 2-line block ×3, first 2 shown]
	v_cndmask_b32_e64 v13, 0, -1, vcc_lo
	v_cmp_eq_u32_e32 vcc_lo, s19, v7
	s_delay_alu instid0(VALU_DEP_2) | instskip(SKIP_3) | instid1(VALU_DEP_3)
	v_cndmask_b32_e64 v3, v13, v3, s0
	v_cndmask_b32_e32 v7, v12, v9, vcc_lo
	v_add_co_u32 v9, vcc_lo, v5, 1
	v_add_co_ci_u32_e32 v12, vcc_lo, 0, v6, vcc_lo
	v_cmp_ne_u32_e32 vcc_lo, 0, v7
	s_delay_alu instid0(VALU_DEP_2) | instskip(SKIP_2) | instid1(VALU_DEP_3)
	v_dual_cndmask_b32 v4, v12, v11 :: v_dual_cndmask_b32 v7, v9, v8
	v_cmp_ne_u32_e32 vcc_lo, 0, v3
	v_xor_b32_e32 v3, s16, v10
	v_dual_cndmask_b32 v5, v5, v7 :: v_dual_cndmask_b32 v4, v6, v4
	v_xor_b32_e32 v6, s17, v10
	s_delay_alu instid0(VALU_DEP_2) | instskip(NEXT) | instid1(VALU_DEP_2)
	v_xor_b32_e32 v5, v5, v3
	v_xor_b32_e32 v7, v4, v6
	s_delay_alu instid0(VALU_DEP_2) | instskip(NEXT) | instid1(VALU_DEP_2)
	v_sub_co_u32 v4, vcc_lo, v5, v3
	v_sub_co_ci_u32_e32 v5, vcc_lo, v7, v6, vcc_lo
.LBB12_5:                               ;   in Loop: Header=BB12_3 Depth=1
	s_and_not1_saveexec_b32 s0, s14
; %bb.6:                                ;   in Loop: Header=BB12_3 Depth=1
	v_mul_hi_u32 v3, v0, v25
	s_delay_alu instid0(VALU_DEP_1) | instskip(NEXT) | instid1(VALU_DEP_1)
	v_mul_lo_u32 v4, v3, s24
	v_sub_nc_u32_e32 v4, v0, v4
	s_delay_alu instid0(VALU_DEP_1) | instskip(SKIP_1) | instid1(VALU_DEP_2)
	v_subrev_nc_u32_e32 v6, s24, v4
	v_cmp_le_u32_e32 vcc_lo, s24, v4
	v_dual_cndmask_b32 v4, v4, v6 :: v_dual_add_nc_u32 v5, 1, v3
	s_delay_alu instid0(VALU_DEP_1) | instskip(NEXT) | instid1(VALU_DEP_2)
	v_cndmask_b32_e32 v3, v3, v5, vcc_lo
	v_cmp_le_u32_e32 vcc_lo, s24, v4
	s_delay_alu instid0(VALU_DEP_2) | instskip(NEXT) | instid1(VALU_DEP_1)
	v_add_nc_u32_e32 v5, 1, v3
	v_dual_cndmask_b32 v4, v3, v5 :: v_dual_mov_b32 v5, v2
; %bb.7:                                ;   in Loop: Header=BB12_3 Depth=1
	s_or_b32 exec_lo, exec_lo, s0
	s_delay_alu instid0(VALU_DEP_1) | instskip(SKIP_1) | instid1(VALU_DEP_1)
	v_or_b32_e32 v3, s29, v5
                                        ; implicit-def: $vgpr7_vgpr8
	s_mov_b32 s0, exec_lo
	v_cmpx_ne_u64_e32 0, v[2:3]
	s_xor_b32 s14, exec_lo, s0
	s_cbranch_execz .LBB12_9
; %bb.8:                                ;   in Loop: Header=BB12_3 Depth=1
	s_add_u32 s18, s28, s29
	s_mov_b32 s16, s29
	s_mov_b32 s17, s29
	s_addc_u32 s19, s29, s29
	s_delay_alu instid0(SALU_CYCLE_1) | instskip(NEXT) | instid1(SALU_CYCLE_1)
	s_xor_b64 s[18:19], s[18:19], s[16:17]
	v_cvt_f32_u32_e32 v3, s18
	v_cvt_f32_u32_e32 v6, s19
	s_sub_u32 s0, 0, s18
	s_subb_u32 s20, 0, s19
	s_delay_alu instid0(VALU_DEP_1) | instskip(NEXT) | instid1(VALU_DEP_1)
	v_fmac_f32_e32 v3, 0x4f800000, v6
	v_rcp_f32_e32 v3, v3
	s_waitcnt_depctr 0xfff
	v_mul_f32_e32 v3, 0x5f7ffffc, v3
	s_delay_alu instid0(VALU_DEP_1) | instskip(NEXT) | instid1(VALU_DEP_1)
	v_mul_f32_e32 v6, 0x2f800000, v3
	v_trunc_f32_e32 v6, v6
	s_delay_alu instid0(VALU_DEP_1) | instskip(SKIP_1) | instid1(VALU_DEP_2)
	v_fmac_f32_e32 v3, 0xcf800000, v6
	v_cvt_u32_f32_e32 v6, v6
	v_cvt_u32_f32_e32 v3, v3
	s_delay_alu instid0(VALU_DEP_2) | instskip(NEXT) | instid1(VALU_DEP_2)
	v_mul_lo_u32 v7, s0, v6
	v_mul_hi_u32 v8, s0, v3
	v_mul_lo_u32 v9, s20, v3
	s_delay_alu instid0(VALU_DEP_2) | instskip(SKIP_1) | instid1(VALU_DEP_2)
	v_add_nc_u32_e32 v7, v8, v7
	v_mul_lo_u32 v8, s0, v3
	v_add_nc_u32_e32 v7, v7, v9
	s_delay_alu instid0(VALU_DEP_2) | instskip(NEXT) | instid1(VALU_DEP_2)
	v_mul_hi_u32 v9, v3, v8
	v_mul_lo_u32 v10, v3, v7
	v_mul_hi_u32 v11, v3, v7
	v_mul_hi_u32 v12, v6, v8
	v_mul_lo_u32 v8, v6, v8
	v_mul_hi_u32 v13, v6, v7
	v_mul_lo_u32 v7, v6, v7
	v_add_co_u32 v9, vcc_lo, v9, v10
	v_add_co_ci_u32_e32 v10, vcc_lo, 0, v11, vcc_lo
	s_delay_alu instid0(VALU_DEP_2) | instskip(NEXT) | instid1(VALU_DEP_2)
	v_add_co_u32 v8, vcc_lo, v9, v8
	v_add_co_ci_u32_e32 v8, vcc_lo, v10, v12, vcc_lo
	v_add_co_ci_u32_e32 v9, vcc_lo, 0, v13, vcc_lo
	v_ashrrev_i32_e32 v12, 31, v5
	s_delay_alu instid0(VALU_DEP_3) | instskip(NEXT) | instid1(VALU_DEP_3)
	v_add_co_u32 v7, vcc_lo, v8, v7
	v_add_co_ci_u32_e32 v8, vcc_lo, 0, v9, vcc_lo
	s_delay_alu instid0(VALU_DEP_2) | instskip(NEXT) | instid1(VALU_DEP_2)
	v_add_co_u32 v3, vcc_lo, v3, v7
	v_add_co_ci_u32_e32 v6, vcc_lo, v6, v8, vcc_lo
	s_delay_alu instid0(VALU_DEP_2) | instskip(SKIP_1) | instid1(VALU_DEP_3)
	v_mul_hi_u32 v7, s0, v3
	v_mul_lo_u32 v9, s20, v3
	v_mul_lo_u32 v8, s0, v6
	s_delay_alu instid0(VALU_DEP_1) | instskip(SKIP_1) | instid1(VALU_DEP_2)
	v_add_nc_u32_e32 v7, v7, v8
	v_mul_lo_u32 v8, s0, v3
	v_add_nc_u32_e32 v7, v7, v9
	s_delay_alu instid0(VALU_DEP_2) | instskip(NEXT) | instid1(VALU_DEP_2)
	v_mul_hi_u32 v9, v3, v8
	v_mul_lo_u32 v10, v3, v7
	v_mul_hi_u32 v11, v3, v7
	v_mul_hi_u32 v13, v6, v8
	v_mul_lo_u32 v8, v6, v8
	v_mul_hi_u32 v14, v6, v7
	v_mul_lo_u32 v7, v6, v7
	v_add_co_u32 v9, vcc_lo, v9, v10
	v_add_co_ci_u32_e32 v10, vcc_lo, 0, v11, vcc_lo
	s_delay_alu instid0(VALU_DEP_2) | instskip(NEXT) | instid1(VALU_DEP_2)
	v_add_co_u32 v8, vcc_lo, v9, v8
	v_add_co_ci_u32_e32 v8, vcc_lo, v10, v13, vcc_lo
	v_add_co_ci_u32_e32 v9, vcc_lo, 0, v14, vcc_lo
	v_add_co_u32 v10, vcc_lo, v4, v12
	v_add_co_ci_u32_e32 v5, vcc_lo, v5, v12, vcc_lo
	s_delay_alu instid0(VALU_DEP_4) | instskip(NEXT) | instid1(VALU_DEP_4)
	v_add_co_u32 v7, vcc_lo, v8, v7
	v_add_co_ci_u32_e32 v8, vcc_lo, 0, v9, vcc_lo
	s_delay_alu instid0(VALU_DEP_4) | instskip(NEXT) | instid1(VALU_DEP_3)
	v_xor_b32_e32 v11, v10, v12
	v_add_co_u32 v3, vcc_lo, v3, v7
	s_delay_alu instid0(VALU_DEP_3) | instskip(SKIP_1) | instid1(VALU_DEP_3)
	v_add_co_ci_u32_e32 v13, vcc_lo, v6, v8, vcc_lo
	v_xor_b32_e32 v14, v5, v12
	v_mul_hi_u32 v15, v11, v3
	s_delay_alu instid0(VALU_DEP_3) | instskip(NEXT) | instid1(VALU_DEP_3)
	v_mad_u64_u32 v[5:6], null, v11, v13, 0
	v_mad_u64_u32 v[7:8], null, v14, v3, 0
	;; [unrolled: 1-line block ×3, first 2 shown]
	s_delay_alu instid0(VALU_DEP_3) | instskip(NEXT) | instid1(VALU_DEP_4)
	v_add_co_u32 v3, vcc_lo, v15, v5
	v_add_co_ci_u32_e32 v5, vcc_lo, 0, v6, vcc_lo
	s_delay_alu instid0(VALU_DEP_2) | instskip(NEXT) | instid1(VALU_DEP_2)
	v_add_co_u32 v3, vcc_lo, v3, v7
	v_add_co_ci_u32_e32 v3, vcc_lo, v5, v8, vcc_lo
	v_add_co_ci_u32_e32 v5, vcc_lo, 0, v10, vcc_lo
	s_delay_alu instid0(VALU_DEP_2) | instskip(NEXT) | instid1(VALU_DEP_2)
	v_add_co_u32 v3, vcc_lo, v3, v9
	v_add_co_ci_u32_e32 v7, vcc_lo, 0, v5, vcc_lo
	s_delay_alu instid0(VALU_DEP_2) | instskip(SKIP_1) | instid1(VALU_DEP_3)
	v_mul_lo_u32 v8, s19, v3
	v_mad_u64_u32 v[5:6], null, s18, v3, 0
	v_mul_lo_u32 v9, s18, v7
	s_delay_alu instid0(VALU_DEP_2) | instskip(NEXT) | instid1(VALU_DEP_2)
	v_sub_co_u32 v5, vcc_lo, v11, v5
	v_add3_u32 v6, v6, v9, v8
	s_delay_alu instid0(VALU_DEP_1) | instskip(NEXT) | instid1(VALU_DEP_1)
	v_sub_nc_u32_e32 v8, v14, v6
	v_subrev_co_ci_u32_e64 v8, s0, s19, v8, vcc_lo
	v_add_co_u32 v9, s0, v3, 2
	s_delay_alu instid0(VALU_DEP_1) | instskip(SKIP_3) | instid1(VALU_DEP_3)
	v_add_co_ci_u32_e64 v10, s0, 0, v7, s0
	v_sub_co_u32 v11, s0, v5, s18
	v_sub_co_ci_u32_e32 v6, vcc_lo, v14, v6, vcc_lo
	v_subrev_co_ci_u32_e64 v8, s0, 0, v8, s0
	v_cmp_le_u32_e32 vcc_lo, s18, v11
	s_delay_alu instid0(VALU_DEP_3) | instskip(SKIP_1) | instid1(VALU_DEP_4)
	v_cmp_eq_u32_e64 s0, s19, v6
	v_cndmask_b32_e64 v11, 0, -1, vcc_lo
	v_cmp_le_u32_e32 vcc_lo, s19, v8
	v_cndmask_b32_e64 v13, 0, -1, vcc_lo
	v_cmp_le_u32_e32 vcc_lo, s18, v5
	v_cndmask_b32_e64 v5, 0, -1, vcc_lo
	v_cmp_le_u32_e32 vcc_lo, s19, v6
	v_cndmask_b32_e64 v14, 0, -1, vcc_lo
	v_cmp_eq_u32_e32 vcc_lo, s19, v8
	s_delay_alu instid0(VALU_DEP_2) | instskip(SKIP_3) | instid1(VALU_DEP_3)
	v_cndmask_b32_e64 v5, v14, v5, s0
	v_cndmask_b32_e32 v8, v13, v11, vcc_lo
	v_add_co_u32 v11, vcc_lo, v3, 1
	v_add_co_ci_u32_e32 v13, vcc_lo, 0, v7, vcc_lo
	v_cmp_ne_u32_e32 vcc_lo, 0, v8
	s_delay_alu instid0(VALU_DEP_3) | instskip(NEXT) | instid1(VALU_DEP_3)
	v_cndmask_b32_e32 v8, v11, v9, vcc_lo
	v_cndmask_b32_e32 v6, v13, v10, vcc_lo
	v_cmp_ne_u32_e32 vcc_lo, 0, v5
	v_xor_b32_e32 v5, s16, v12
	s_delay_alu instid0(VALU_DEP_4) | instskip(NEXT) | instid1(VALU_DEP_4)
	v_cndmask_b32_e32 v3, v3, v8, vcc_lo
	v_cndmask_b32_e32 v6, v7, v6, vcc_lo
	v_xor_b32_e32 v8, s17, v12
	s_delay_alu instid0(VALU_DEP_3) | instskip(NEXT) | instid1(VALU_DEP_2)
	v_xor_b32_e32 v3, v3, v5
	v_xor_b32_e32 v6, v6, v8
	s_delay_alu instid0(VALU_DEP_2) | instskip(NEXT) | instid1(VALU_DEP_2)
	v_sub_co_u32 v7, vcc_lo, v3, v5
	v_sub_co_ci_u32_e32 v8, vcc_lo, v6, v8, vcc_lo
.LBB12_9:                               ;   in Loop: Header=BB12_3 Depth=1
	s_and_not1_saveexec_b32 s0, s14
	s_cbranch_execz .LBB12_11
; %bb.10:                               ;   in Loop: Header=BB12_3 Depth=1
	v_cvt_f32_u32_e32 v3, s28
	s_sub_i32 s14, 0, s28
	v_mov_b32_e32 v8, v2
	s_delay_alu instid0(VALU_DEP_2) | instskip(SKIP_2) | instid1(VALU_DEP_1)
	v_rcp_iflag_f32_e32 v3, v3
	s_waitcnt_depctr 0xfff
	v_mul_f32_e32 v3, 0x4f7ffffe, v3
	v_cvt_u32_f32_e32 v3, v3
	s_delay_alu instid0(VALU_DEP_1) | instskip(NEXT) | instid1(VALU_DEP_1)
	v_mul_lo_u32 v5, s14, v3
	v_mul_hi_u32 v5, v3, v5
	s_delay_alu instid0(VALU_DEP_1) | instskip(NEXT) | instid1(VALU_DEP_1)
	v_add_nc_u32_e32 v3, v3, v5
	v_mul_hi_u32 v3, v4, v3
	s_delay_alu instid0(VALU_DEP_1) | instskip(SKIP_1) | instid1(VALU_DEP_2)
	v_mul_lo_u32 v5, v3, s28
	v_add_nc_u32_e32 v6, 1, v3
	v_sub_nc_u32_e32 v5, v4, v5
	s_delay_alu instid0(VALU_DEP_1) | instskip(SKIP_1) | instid1(VALU_DEP_2)
	v_subrev_nc_u32_e32 v7, s28, v5
	v_cmp_le_u32_e32 vcc_lo, s28, v5
	v_cndmask_b32_e32 v5, v5, v7, vcc_lo
	v_cndmask_b32_e32 v3, v3, v6, vcc_lo
	s_delay_alu instid0(VALU_DEP_2) | instskip(NEXT) | instid1(VALU_DEP_2)
	v_cmp_le_u32_e32 vcc_lo, s28, v5
	v_add_nc_u32_e32 v6, 1, v3
	s_delay_alu instid0(VALU_DEP_1)
	v_cndmask_b32_e32 v7, v3, v6, vcc_lo
.LBB12_11:                              ;   in Loop: Header=BB12_3 Depth=1
	s_or_b32 exec_lo, exec_lo, s0
	v_mad_u64_u32 v[5:6], null, v4, s24, 0
	s_delay_alu instid0(VALU_DEP_2) | instskip(SKIP_1) | instid1(VALU_DEP_2)
	v_mad_u64_u32 v[9:10], null, v7, s28, 0
	s_mov_b32 s39, exec_lo
	v_sub_co_u32 v27, null, v0, v5
	s_delay_alu instid0(VALU_DEP_2) | instskip(NEXT) | instid1(VALU_DEP_1)
	v_sub_co_u32 v26, null, v4, v9
	v_sub_nc_u32_e32 v6, v27, v26
	s_delay_alu instid0(VALU_DEP_1) | instskip(NEXT) | instid1(VALU_DEP_1)
	v_add_nc_u32_e32 v3, 2, v6
	v_ashrrev_i32_e32 v4, 31, v3
	s_delay_alu instid0(VALU_DEP_1)
	v_cmpx_lt_i64_e64 s[4:5], v[3:4]
	s_cbranch_execz .LBB12_2
; %bb.12:                               ;   in Loop: Header=BB12_3 Depth=1
	s_clause 0x1
	s_load_b32 s40, s[8:9], 0x0
	s_load_b32 s0, s[10:11], 0x0
	s_and_not1_b32 vcc_lo, exec_lo, s37
	s_waitcnt lgkmcnt(0)
	v_mul_lo_u32 v3, s40, v27
	s_delay_alu instid0(VALU_DEP_1)
	v_mad_u64_u32 v[4:5], null, s0, v26, v[3:4]
	s_cbranch_vccnz .LBB12_58
; %bb.13:                               ;   in Loop: Header=BB12_3 Depth=1
	s_and_not1_b32 vcc_lo, exec_lo, s35
	s_cbranch_vccnz .LBB12_21
; %bb.14:                               ;   in Loop: Header=BB12_3 Depth=1
	v_dual_mov_b32 v10, v8 :: v_dual_mov_b32 v9, v7
	s_mov_b32 s22, s33
	s_mov_b32 s14, s31
.LBB12_15:                              ;   Parent Loop BB12_3 Depth=1
                                        ; =>  This Inner Loop Header: Depth=2
	s_delay_alu instid0(SALU_CYCLE_1) | instskip(NEXT) | instid1(SALU_CYCLE_1)
	s_lshl_b64 s[16:17], s[14:15], 2
                                        ; implicit-def: $vgpr7_vgpr8
	s_add_u32 s18, s26, s16
	s_addc_u32 s19, s27, s17
	s_load_b32 s23, s[18:19], 0x0
	s_mov_b32 s18, exec_lo
	s_waitcnt lgkmcnt(0)
	s_ashr_i32 s0, s23, 31
	s_delay_alu instid0(SALU_CYCLE_1) | instskip(NEXT) | instid1(VALU_DEP_1)
	v_or_b32_e32 v3, s0, v10
	v_cmpx_ne_u64_e32 0, v[2:3]
	s_xor_b32 s41, exec_lo, s18
	s_cbranch_execz .LBB12_17
; %bb.16:                               ;   in Loop: Header=BB12_15 Depth=2
	s_add_u32 s20, s23, s0
	s_mov_b32 s18, s0
	s_mov_b32 s19, s0
	s_addc_u32 s21, s0, s0
	s_delay_alu instid0(SALU_CYCLE_1) | instskip(NEXT) | instid1(SALU_CYCLE_1)
	s_xor_b64 s[20:21], s[20:21], s[18:19]
	v_cvt_f32_u32_e32 v3, s20
	v_cvt_f32_u32_e32 v5, s21
	s_sub_u32 s0, 0, s20
	s_subb_u32 s42, 0, s21
	s_delay_alu instid0(VALU_DEP_1) | instskip(NEXT) | instid1(VALU_DEP_1)
	v_fmac_f32_e32 v3, 0x4f800000, v5
	v_rcp_f32_e32 v3, v3
	s_waitcnt_depctr 0xfff
	v_mul_f32_e32 v3, 0x5f7ffffc, v3
	s_delay_alu instid0(VALU_DEP_1) | instskip(NEXT) | instid1(VALU_DEP_1)
	v_mul_f32_e32 v5, 0x2f800000, v3
	v_trunc_f32_e32 v5, v5
	s_delay_alu instid0(VALU_DEP_1) | instskip(SKIP_1) | instid1(VALU_DEP_2)
	v_fmac_f32_e32 v3, 0xcf800000, v5
	v_cvt_u32_f32_e32 v5, v5
	v_cvt_u32_f32_e32 v3, v3
	s_delay_alu instid0(VALU_DEP_2) | instskip(NEXT) | instid1(VALU_DEP_2)
	v_mul_lo_u32 v7, s0, v5
	v_mul_hi_u32 v8, s0, v3
	v_mul_lo_u32 v11, s42, v3
	s_delay_alu instid0(VALU_DEP_2) | instskip(SKIP_1) | instid1(VALU_DEP_2)
	v_add_nc_u32_e32 v7, v8, v7
	v_mul_lo_u32 v8, s0, v3
	v_add_nc_u32_e32 v7, v7, v11
	s_delay_alu instid0(VALU_DEP_2) | instskip(NEXT) | instid1(VALU_DEP_2)
	v_mul_hi_u32 v11, v3, v8
	v_mul_lo_u32 v12, v3, v7
	v_mul_hi_u32 v13, v3, v7
	v_mul_hi_u32 v14, v5, v8
	v_mul_lo_u32 v8, v5, v8
	v_mul_hi_u32 v15, v5, v7
	v_mul_lo_u32 v7, v5, v7
	v_add_co_u32 v11, vcc_lo, v11, v12
	v_add_co_ci_u32_e32 v12, vcc_lo, 0, v13, vcc_lo
	s_delay_alu instid0(VALU_DEP_2) | instskip(NEXT) | instid1(VALU_DEP_2)
	v_add_co_u32 v8, vcc_lo, v11, v8
	v_add_co_ci_u32_e32 v8, vcc_lo, v12, v14, vcc_lo
	v_add_co_ci_u32_e32 v11, vcc_lo, 0, v15, vcc_lo
	v_ashrrev_i32_e32 v14, 31, v10
	s_delay_alu instid0(VALU_DEP_3) | instskip(NEXT) | instid1(VALU_DEP_3)
	v_add_co_u32 v7, vcc_lo, v8, v7
	v_add_co_ci_u32_e32 v8, vcc_lo, 0, v11, vcc_lo
	s_delay_alu instid0(VALU_DEP_2) | instskip(NEXT) | instid1(VALU_DEP_2)
	v_add_co_u32 v3, vcc_lo, v3, v7
	v_add_co_ci_u32_e32 v5, vcc_lo, v5, v8, vcc_lo
	s_delay_alu instid0(VALU_DEP_2) | instskip(SKIP_1) | instid1(VALU_DEP_3)
	v_mul_hi_u32 v7, s0, v3
	v_mul_lo_u32 v11, s42, v3
	v_mul_lo_u32 v8, s0, v5
	s_delay_alu instid0(VALU_DEP_1) | instskip(SKIP_1) | instid1(VALU_DEP_2)
	v_add_nc_u32_e32 v7, v7, v8
	v_mul_lo_u32 v8, s0, v3
	v_add_nc_u32_e32 v7, v7, v11
	s_delay_alu instid0(VALU_DEP_2) | instskip(NEXT) | instid1(VALU_DEP_2)
	v_mul_hi_u32 v11, v3, v8
	v_mul_lo_u32 v12, v3, v7
	v_mul_hi_u32 v13, v3, v7
	v_mul_hi_u32 v15, v5, v8
	v_mul_lo_u32 v8, v5, v8
	v_mul_hi_u32 v16, v5, v7
	v_mul_lo_u32 v7, v5, v7
	v_add_co_u32 v11, vcc_lo, v11, v12
	v_add_co_ci_u32_e32 v12, vcc_lo, 0, v13, vcc_lo
	s_delay_alu instid0(VALU_DEP_2) | instskip(NEXT) | instid1(VALU_DEP_2)
	v_add_co_u32 v8, vcc_lo, v11, v8
	v_add_co_ci_u32_e32 v8, vcc_lo, v12, v15, vcc_lo
	v_add_co_ci_u32_e32 v11, vcc_lo, 0, v16, vcc_lo
	v_add_co_u32 v12, vcc_lo, v9, v14
	v_add_co_ci_u32_e32 v10, vcc_lo, v10, v14, vcc_lo
	s_delay_alu instid0(VALU_DEP_4) | instskip(NEXT) | instid1(VALU_DEP_4)
	v_add_co_u32 v7, vcc_lo, v8, v7
	v_add_co_ci_u32_e32 v8, vcc_lo, 0, v11, vcc_lo
	s_delay_alu instid0(VALU_DEP_4) | instskip(NEXT) | instid1(VALU_DEP_3)
	v_xor_b32_e32 v15, v12, v14
	v_add_co_u32 v3, vcc_lo, v3, v7
	s_delay_alu instid0(VALU_DEP_3) | instskip(SKIP_1) | instid1(VALU_DEP_3)
	v_add_co_ci_u32_e32 v5, vcc_lo, v5, v8, vcc_lo
	v_xor_b32_e32 v16, v10, v14
	v_mul_hi_u32 v17, v15, v3
	s_delay_alu instid0(VALU_DEP_3) | instskip(NEXT) | instid1(VALU_DEP_3)
	v_mad_u64_u32 v[7:8], null, v15, v5, 0
	v_mad_u64_u32 v[10:11], null, v16, v3, 0
	v_mad_u64_u32 v[12:13], null, v16, v5, 0
	s_delay_alu instid0(VALU_DEP_3) | instskip(NEXT) | instid1(VALU_DEP_4)
	v_add_co_u32 v3, vcc_lo, v17, v7
	v_add_co_ci_u32_e32 v5, vcc_lo, 0, v8, vcc_lo
	s_delay_alu instid0(VALU_DEP_2) | instskip(NEXT) | instid1(VALU_DEP_2)
	v_add_co_u32 v3, vcc_lo, v3, v10
	v_add_co_ci_u32_e32 v3, vcc_lo, v5, v11, vcc_lo
	v_add_co_ci_u32_e32 v5, vcc_lo, 0, v13, vcc_lo
	s_delay_alu instid0(VALU_DEP_2) | instskip(NEXT) | instid1(VALU_DEP_2)
	v_add_co_u32 v3, vcc_lo, v3, v12
	v_add_co_ci_u32_e32 v5, vcc_lo, 0, v5, vcc_lo
	s_delay_alu instid0(VALU_DEP_2) | instskip(SKIP_1) | instid1(VALU_DEP_3)
	v_mul_lo_u32 v10, s21, v3
	v_mad_u64_u32 v[7:8], null, s20, v3, 0
	v_mul_lo_u32 v11, s20, v5
	s_delay_alu instid0(VALU_DEP_2) | instskip(NEXT) | instid1(VALU_DEP_2)
	v_sub_co_u32 v7, vcc_lo, v15, v7
	v_add3_u32 v8, v8, v11, v10
	s_delay_alu instid0(VALU_DEP_1) | instskip(NEXT) | instid1(VALU_DEP_1)
	v_sub_nc_u32_e32 v10, v16, v8
	v_subrev_co_ci_u32_e64 v10, s0, s21, v10, vcc_lo
	v_add_co_u32 v11, s0, v3, 2
	s_delay_alu instid0(VALU_DEP_1) | instskip(SKIP_3) | instid1(VALU_DEP_3)
	v_add_co_ci_u32_e64 v12, s0, 0, v5, s0
	v_sub_co_u32 v13, s0, v7, s20
	v_sub_co_ci_u32_e32 v8, vcc_lo, v16, v8, vcc_lo
	v_subrev_co_ci_u32_e64 v10, s0, 0, v10, s0
	v_cmp_le_u32_e32 vcc_lo, s20, v13
	s_delay_alu instid0(VALU_DEP_3) | instskip(SKIP_1) | instid1(VALU_DEP_4)
	v_cmp_eq_u32_e64 s0, s21, v8
	v_cndmask_b32_e64 v13, 0, -1, vcc_lo
	v_cmp_le_u32_e32 vcc_lo, s21, v10
	v_cndmask_b32_e64 v15, 0, -1, vcc_lo
	v_cmp_le_u32_e32 vcc_lo, s20, v7
	;; [unrolled: 2-line block ×3, first 2 shown]
	v_cndmask_b32_e64 v16, 0, -1, vcc_lo
	v_cmp_eq_u32_e32 vcc_lo, s21, v10
	s_delay_alu instid0(VALU_DEP_2) | instskip(SKIP_3) | instid1(VALU_DEP_3)
	v_cndmask_b32_e64 v7, v16, v7, s0
	v_cndmask_b32_e32 v10, v15, v13, vcc_lo
	v_add_co_u32 v13, vcc_lo, v3, 1
	v_add_co_ci_u32_e32 v15, vcc_lo, 0, v5, vcc_lo
	v_cmp_ne_u32_e32 vcc_lo, 0, v10
	s_delay_alu instid0(VALU_DEP_3) | instskip(NEXT) | instid1(VALU_DEP_3)
	v_cndmask_b32_e32 v10, v13, v11, vcc_lo
	v_cndmask_b32_e32 v8, v15, v12, vcc_lo
	v_cmp_ne_u32_e32 vcc_lo, 0, v7
	v_xor_b32_e32 v7, s18, v14
	s_delay_alu instid0(VALU_DEP_4) | instskip(NEXT) | instid1(VALU_DEP_4)
	v_cndmask_b32_e32 v3, v3, v10, vcc_lo
	v_cndmask_b32_e32 v5, v5, v8, vcc_lo
	v_xor_b32_e32 v8, s19, v14
	s_delay_alu instid0(VALU_DEP_3) | instskip(NEXT) | instid1(VALU_DEP_2)
	v_xor_b32_e32 v3, v3, v7
	v_xor_b32_e32 v5, v5, v8
	s_delay_alu instid0(VALU_DEP_2) | instskip(NEXT) | instid1(VALU_DEP_2)
	v_sub_co_u32 v7, vcc_lo, v3, v7
	v_sub_co_ci_u32_e32 v8, vcc_lo, v5, v8, vcc_lo
.LBB12_17:                              ;   in Loop: Header=BB12_15 Depth=2
	s_and_not1_saveexec_b32 s0, s41
	s_cbranch_execz .LBB12_19
; %bb.18:                               ;   in Loop: Header=BB12_15 Depth=2
	v_cvt_f32_u32_e32 v3, s23
	s_sub_i32 s18, 0, s23
	s_delay_alu instid0(VALU_DEP_1) | instskip(SKIP_2) | instid1(VALU_DEP_1)
	v_rcp_iflag_f32_e32 v3, v3
	s_waitcnt_depctr 0xfff
	v_mul_f32_e32 v3, 0x4f7ffffe, v3
	v_cvt_u32_f32_e32 v3, v3
	s_delay_alu instid0(VALU_DEP_1) | instskip(NEXT) | instid1(VALU_DEP_1)
	v_mul_lo_u32 v5, s18, v3
	v_mul_hi_u32 v5, v3, v5
	s_delay_alu instid0(VALU_DEP_1) | instskip(NEXT) | instid1(VALU_DEP_1)
	v_add_nc_u32_e32 v3, v3, v5
	v_mul_hi_u32 v3, v9, v3
	s_delay_alu instid0(VALU_DEP_1) | instskip(SKIP_1) | instid1(VALU_DEP_2)
	v_mul_lo_u32 v5, v3, s23
	v_add_nc_u32_e32 v7, 1, v3
	v_sub_nc_u32_e32 v5, v9, v5
	s_delay_alu instid0(VALU_DEP_1) | instskip(SKIP_1) | instid1(VALU_DEP_2)
	v_subrev_nc_u32_e32 v8, s23, v5
	v_cmp_le_u32_e32 vcc_lo, s23, v5
	v_dual_cndmask_b32 v5, v5, v8 :: v_dual_mov_b32 v8, v2
	v_cndmask_b32_e32 v3, v3, v7, vcc_lo
	s_delay_alu instid0(VALU_DEP_2) | instskip(NEXT) | instid1(VALU_DEP_2)
	v_cmp_le_u32_e32 vcc_lo, s23, v5
	v_add_nc_u32_e32 v7, 1, v3
	s_delay_alu instid0(VALU_DEP_1)
	v_cndmask_b32_e32 v7, v3, v7, vcc_lo
.LBB12_19:                              ;   in Loop: Header=BB12_15 Depth=2
	s_or_b32 exec_lo, exec_lo, s0
	s_add_u32 s16, s30, s16
	s_addc_u32 s17, s1, s17
	s_delay_alu instid0(VALU_DEP_1) | instskip(SKIP_4) | instid1(VALU_DEP_1)
	v_mul_lo_u32 v3, v7, s23
	s_load_b32 s0, s[16:17], 0x0
	s_add_i32 s22, s22, -1
	s_add_i32 s14, s14, -1
	s_cmp_lg_u32 s22, 0
	v_sub_nc_u32_e32 v3, v9, v3
	s_waitcnt lgkmcnt(0)
	s_delay_alu instid0(VALU_DEP_1) | instskip(NEXT) | instid1(VALU_DEP_1)
	v_mad_u64_u32 v[9:10], null, s0, v3, v[4:5]
	v_mov_b32_e32 v4, v9
	s_cbranch_scc0 .LBB12_22
; %bb.20:                               ;   in Loop: Header=BB12_15 Depth=2
	v_dual_mov_b32 v10, v8 :: v_dual_mov_b32 v9, v7
	s_branch .LBB12_15
.LBB12_21:                              ;   in Loop: Header=BB12_3 Depth=1
	s_mov_b32 s14, s31
.LBB12_22:                              ;   in Loop: Header=BB12_3 Depth=1
	s_and_not1_b32 vcc_lo, exec_lo, s36
	s_cbranch_vccnz .LBB12_58
; %bb.23:                               ;   in Loop: Header=BB12_3 Depth=1
	s_add_i32 s16, s14, -7
.LBB12_24:                              ;   Parent Loop BB12_3 Depth=1
                                        ; =>  This Inner Loop Header: Depth=2
	s_delay_alu instid0(SALU_CYCLE_1) | instskip(NEXT) | instid1(SALU_CYCLE_1)
	s_add_i32 s14, s16, 7
                                        ; implicit-def: $vgpr9_vgpr10
	s_lshl_b64 s[18:19], s[14:15], 2
	s_mov_b32 s14, exec_lo
	s_add_u32 s20, s26, s18
	s_addc_u32 s21, s27, s19
	s_load_b32 s41, s[20:21], 0x0
	s_waitcnt lgkmcnt(0)
	s_ashr_i32 s0, s41, 31
	s_delay_alu instid0(SALU_CYCLE_1) | instskip(NEXT) | instid1(VALU_DEP_1)
	v_or_b32_e32 v3, s0, v8
	v_cmpx_ne_u64_e32 0, v[2:3]
	s_xor_b32 s14, exec_lo, s14
	s_cbranch_execz .LBB12_26
; %bb.25:                               ;   in Loop: Header=BB12_24 Depth=2
	s_add_u32 s22, s41, s0
	s_mov_b32 s20, s0
	s_mov_b32 s21, s0
	s_addc_u32 s23, s0, s0
	s_delay_alu instid0(SALU_CYCLE_1) | instskip(NEXT) | instid1(SALU_CYCLE_1)
	s_xor_b64 s[22:23], s[22:23], s[20:21]
	v_cvt_f32_u32_e32 v3, s22
	v_cvt_f32_u32_e32 v5, s23
	s_sub_u32 s0, 0, s22
	s_subb_u32 s17, 0, s23
	s_delay_alu instid0(VALU_DEP_1) | instskip(NEXT) | instid1(VALU_DEP_1)
	v_fmac_f32_e32 v3, 0x4f800000, v5
	v_rcp_f32_e32 v3, v3
	s_waitcnt_depctr 0xfff
	v_mul_f32_e32 v3, 0x5f7ffffc, v3
	s_delay_alu instid0(VALU_DEP_1) | instskip(NEXT) | instid1(VALU_DEP_1)
	v_mul_f32_e32 v5, 0x2f800000, v3
	v_trunc_f32_e32 v5, v5
	s_delay_alu instid0(VALU_DEP_1) | instskip(SKIP_1) | instid1(VALU_DEP_2)
	v_fmac_f32_e32 v3, 0xcf800000, v5
	v_cvt_u32_f32_e32 v5, v5
	v_cvt_u32_f32_e32 v3, v3
	s_delay_alu instid0(VALU_DEP_2) | instskip(NEXT) | instid1(VALU_DEP_2)
	v_mul_lo_u32 v9, s0, v5
	v_mul_hi_u32 v10, s0, v3
	v_mul_lo_u32 v11, s17, v3
	s_delay_alu instid0(VALU_DEP_2) | instskip(SKIP_1) | instid1(VALU_DEP_2)
	v_add_nc_u32_e32 v9, v10, v9
	v_mul_lo_u32 v10, s0, v3
	v_add_nc_u32_e32 v9, v9, v11
	s_delay_alu instid0(VALU_DEP_2) | instskip(NEXT) | instid1(VALU_DEP_2)
	v_mul_hi_u32 v11, v3, v10
	v_mul_lo_u32 v12, v3, v9
	v_mul_hi_u32 v13, v3, v9
	v_mul_hi_u32 v14, v5, v10
	v_mul_lo_u32 v10, v5, v10
	v_mul_hi_u32 v15, v5, v9
	v_mul_lo_u32 v9, v5, v9
	v_add_co_u32 v11, vcc_lo, v11, v12
	v_add_co_ci_u32_e32 v12, vcc_lo, 0, v13, vcc_lo
	s_delay_alu instid0(VALU_DEP_2) | instskip(NEXT) | instid1(VALU_DEP_2)
	v_add_co_u32 v10, vcc_lo, v11, v10
	v_add_co_ci_u32_e32 v10, vcc_lo, v12, v14, vcc_lo
	v_add_co_ci_u32_e32 v11, vcc_lo, 0, v15, vcc_lo
	v_ashrrev_i32_e32 v14, 31, v8
	s_delay_alu instid0(VALU_DEP_3) | instskip(NEXT) | instid1(VALU_DEP_3)
	v_add_co_u32 v9, vcc_lo, v10, v9
	v_add_co_ci_u32_e32 v10, vcc_lo, 0, v11, vcc_lo
	s_delay_alu instid0(VALU_DEP_2) | instskip(NEXT) | instid1(VALU_DEP_2)
	v_add_co_u32 v3, vcc_lo, v3, v9
	v_add_co_ci_u32_e32 v5, vcc_lo, v5, v10, vcc_lo
	s_delay_alu instid0(VALU_DEP_2) | instskip(SKIP_1) | instid1(VALU_DEP_3)
	v_mul_hi_u32 v9, s0, v3
	v_mul_lo_u32 v11, s17, v3
	v_mul_lo_u32 v10, s0, v5
	s_delay_alu instid0(VALU_DEP_1) | instskip(SKIP_1) | instid1(VALU_DEP_2)
	v_add_nc_u32_e32 v9, v9, v10
	v_mul_lo_u32 v10, s0, v3
	v_add_nc_u32_e32 v9, v9, v11
	s_delay_alu instid0(VALU_DEP_2) | instskip(NEXT) | instid1(VALU_DEP_2)
	v_mul_hi_u32 v11, v3, v10
	v_mul_lo_u32 v12, v3, v9
	v_mul_hi_u32 v13, v3, v9
	v_mul_hi_u32 v15, v5, v10
	v_mul_lo_u32 v10, v5, v10
	v_mul_hi_u32 v16, v5, v9
	v_mul_lo_u32 v9, v5, v9
	v_add_co_u32 v11, vcc_lo, v11, v12
	v_add_co_ci_u32_e32 v12, vcc_lo, 0, v13, vcc_lo
	s_delay_alu instid0(VALU_DEP_2) | instskip(NEXT) | instid1(VALU_DEP_2)
	v_add_co_u32 v10, vcc_lo, v11, v10
	v_add_co_ci_u32_e32 v10, vcc_lo, v12, v15, vcc_lo
	v_add_co_ci_u32_e32 v11, vcc_lo, 0, v16, vcc_lo
	v_add_co_u32 v12, vcc_lo, v7, v14
	v_add_co_ci_u32_e32 v8, vcc_lo, v8, v14, vcc_lo
	s_delay_alu instid0(VALU_DEP_4) | instskip(NEXT) | instid1(VALU_DEP_4)
	v_add_co_u32 v9, vcc_lo, v10, v9
	v_add_co_ci_u32_e32 v10, vcc_lo, 0, v11, vcc_lo
	s_delay_alu instid0(VALU_DEP_4) | instskip(NEXT) | instid1(VALU_DEP_3)
	v_xor_b32_e32 v15, v12, v14
	v_add_co_u32 v3, vcc_lo, v3, v9
	s_delay_alu instid0(VALU_DEP_3) | instskip(SKIP_1) | instid1(VALU_DEP_3)
	v_add_co_ci_u32_e32 v5, vcc_lo, v5, v10, vcc_lo
	v_xor_b32_e32 v16, v8, v14
	v_mul_hi_u32 v17, v15, v3
	s_delay_alu instid0(VALU_DEP_3) | instskip(NEXT) | instid1(VALU_DEP_3)
	v_mad_u64_u32 v[8:9], null, v15, v5, 0
	v_mad_u64_u32 v[10:11], null, v16, v3, 0
	;; [unrolled: 1-line block ×3, first 2 shown]
	s_delay_alu instid0(VALU_DEP_3) | instskip(NEXT) | instid1(VALU_DEP_4)
	v_add_co_u32 v3, vcc_lo, v17, v8
	v_add_co_ci_u32_e32 v5, vcc_lo, 0, v9, vcc_lo
	s_delay_alu instid0(VALU_DEP_2) | instskip(NEXT) | instid1(VALU_DEP_2)
	v_add_co_u32 v3, vcc_lo, v3, v10
	v_add_co_ci_u32_e32 v3, vcc_lo, v5, v11, vcc_lo
	v_add_co_ci_u32_e32 v5, vcc_lo, 0, v13, vcc_lo
	s_delay_alu instid0(VALU_DEP_2) | instskip(NEXT) | instid1(VALU_DEP_2)
	v_add_co_u32 v3, vcc_lo, v3, v12
	v_add_co_ci_u32_e32 v5, vcc_lo, 0, v5, vcc_lo
	s_delay_alu instid0(VALU_DEP_2) | instskip(SKIP_1) | instid1(VALU_DEP_3)
	v_mul_lo_u32 v10, s23, v3
	v_mad_u64_u32 v[8:9], null, s22, v3, 0
	v_mul_lo_u32 v11, s22, v5
	s_delay_alu instid0(VALU_DEP_2) | instskip(NEXT) | instid1(VALU_DEP_2)
	v_sub_co_u32 v8, vcc_lo, v15, v8
	v_add3_u32 v9, v9, v11, v10
	s_delay_alu instid0(VALU_DEP_1) | instskip(NEXT) | instid1(VALU_DEP_1)
	v_sub_nc_u32_e32 v10, v16, v9
	v_subrev_co_ci_u32_e64 v10, s0, s23, v10, vcc_lo
	v_add_co_u32 v11, s0, v3, 2
	s_delay_alu instid0(VALU_DEP_1) | instskip(SKIP_3) | instid1(VALU_DEP_3)
	v_add_co_ci_u32_e64 v12, s0, 0, v5, s0
	v_sub_co_u32 v13, s0, v8, s22
	v_sub_co_ci_u32_e32 v9, vcc_lo, v16, v9, vcc_lo
	v_subrev_co_ci_u32_e64 v10, s0, 0, v10, s0
	v_cmp_le_u32_e32 vcc_lo, s22, v13
	s_delay_alu instid0(VALU_DEP_3) | instskip(SKIP_1) | instid1(VALU_DEP_4)
	v_cmp_eq_u32_e64 s0, s23, v9
	v_cndmask_b32_e64 v13, 0, -1, vcc_lo
	v_cmp_le_u32_e32 vcc_lo, s23, v10
	v_cndmask_b32_e64 v15, 0, -1, vcc_lo
	v_cmp_le_u32_e32 vcc_lo, s22, v8
	;; [unrolled: 2-line block ×3, first 2 shown]
	v_cndmask_b32_e64 v16, 0, -1, vcc_lo
	v_cmp_eq_u32_e32 vcc_lo, s23, v10
	s_delay_alu instid0(VALU_DEP_2) | instskip(SKIP_3) | instid1(VALU_DEP_3)
	v_cndmask_b32_e64 v8, v16, v8, s0
	v_cndmask_b32_e32 v10, v15, v13, vcc_lo
	v_add_co_u32 v13, vcc_lo, v3, 1
	v_add_co_ci_u32_e32 v15, vcc_lo, 0, v5, vcc_lo
	v_cmp_ne_u32_e32 vcc_lo, 0, v10
	s_delay_alu instid0(VALU_DEP_2) | instskip(SKIP_2) | instid1(VALU_DEP_3)
	v_dual_cndmask_b32 v9, v15, v12 :: v_dual_cndmask_b32 v10, v13, v11
	v_cmp_ne_u32_e32 vcc_lo, 0, v8
	v_xor_b32_e32 v8, s20, v14
	v_cndmask_b32_e32 v3, v3, v10, vcc_lo
	s_delay_alu instid0(VALU_DEP_4) | instskip(SKIP_1) | instid1(VALU_DEP_3)
	v_cndmask_b32_e32 v5, v5, v9, vcc_lo
	v_xor_b32_e32 v10, s21, v14
	v_xor_b32_e32 v3, v3, v8
	s_delay_alu instid0(VALU_DEP_2) | instskip(NEXT) | instid1(VALU_DEP_2)
	v_xor_b32_e32 v5, v5, v10
	v_sub_co_u32 v9, vcc_lo, v3, v8
	s_delay_alu instid0(VALU_DEP_2)
	v_sub_co_ci_u32_e32 v10, vcc_lo, v5, v10, vcc_lo
.LBB12_26:                              ;   in Loop: Header=BB12_24 Depth=2
	s_and_not1_saveexec_b32 s0, s14
	s_cbranch_execz .LBB12_28
; %bb.27:                               ;   in Loop: Header=BB12_24 Depth=2
	v_cvt_f32_u32_e32 v3, s41
	s_sub_i32 s14, 0, s41
	v_mov_b32_e32 v10, v2
	s_delay_alu instid0(VALU_DEP_2) | instskip(SKIP_2) | instid1(VALU_DEP_1)
	v_rcp_iflag_f32_e32 v3, v3
	s_waitcnt_depctr 0xfff
	v_mul_f32_e32 v3, 0x4f7ffffe, v3
	v_cvt_u32_f32_e32 v3, v3
	s_delay_alu instid0(VALU_DEP_1) | instskip(NEXT) | instid1(VALU_DEP_1)
	v_mul_lo_u32 v5, s14, v3
	v_mul_hi_u32 v5, v3, v5
	s_delay_alu instid0(VALU_DEP_1) | instskip(NEXT) | instid1(VALU_DEP_1)
	v_add_nc_u32_e32 v3, v3, v5
	v_mul_hi_u32 v3, v7, v3
	s_delay_alu instid0(VALU_DEP_1) | instskip(NEXT) | instid1(VALU_DEP_1)
	v_mul_lo_u32 v5, v3, s41
	v_sub_nc_u32_e32 v5, v7, v5
	s_delay_alu instid0(VALU_DEP_1) | instskip(SKIP_1) | instid1(VALU_DEP_2)
	v_subrev_nc_u32_e32 v9, s41, v5
	v_cmp_le_u32_e32 vcc_lo, s41, v5
	v_dual_cndmask_b32 v5, v5, v9 :: v_dual_add_nc_u32 v8, 1, v3
	s_delay_alu instid0(VALU_DEP_1) | instskip(NEXT) | instid1(VALU_DEP_2)
	v_cndmask_b32_e32 v3, v3, v8, vcc_lo
	v_cmp_le_u32_e32 vcc_lo, s41, v5
	s_delay_alu instid0(VALU_DEP_2) | instskip(NEXT) | instid1(VALU_DEP_1)
	v_add_nc_u32_e32 v8, 1, v3
	v_cndmask_b32_e32 v9, v3, v8, vcc_lo
.LBB12_28:                              ;   in Loop: Header=BB12_24 Depth=2
	s_or_b32 exec_lo, exec_lo, s0
	s_add_u32 s20, s30, s18
	s_addc_u32 s21, s1, s19
	s_add_i32 s14, s16, 6
                                        ; implicit-def: $vgpr11_vgpr12
	s_delay_alu instid0(SALU_CYCLE_1)
	s_lshl_b64 s[18:19], s[14:15], 2
	s_mov_b32 s14, exec_lo
	s_add_u32 s22, s26, s18
	s_addc_u32 s23, s27, s19
	s_clause 0x1
	s_load_b32 s43, s[22:23], 0x0
	s_load_b32 s42, s[20:21], 0x0
	s_waitcnt lgkmcnt(0)
	s_ashr_i32 s0, s43, 31
	s_delay_alu instid0(SALU_CYCLE_1) | instskip(NEXT) | instid1(VALU_DEP_1)
	v_or_b32_e32 v3, s0, v10
	v_cmpx_ne_u64_e32 0, v[2:3]
	s_xor_b32 s14, exec_lo, s14
	s_cbranch_execz .LBB12_30
; %bb.29:                               ;   in Loop: Header=BB12_24 Depth=2
	s_add_u32 s22, s43, s0
	s_mov_b32 s20, s0
	s_mov_b32 s21, s0
	s_addc_u32 s23, s0, s0
	s_delay_alu instid0(SALU_CYCLE_1) | instskip(NEXT) | instid1(SALU_CYCLE_1)
	s_xor_b64 s[22:23], s[22:23], s[20:21]
	v_cvt_f32_u32_e32 v3, s22
	v_cvt_f32_u32_e32 v5, s23
	s_sub_u32 s0, 0, s22
	s_subb_u32 s17, 0, s23
	s_delay_alu instid0(VALU_DEP_1) | instskip(NEXT) | instid1(VALU_DEP_1)
	v_fmac_f32_e32 v3, 0x4f800000, v5
	v_rcp_f32_e32 v3, v3
	s_waitcnt_depctr 0xfff
	v_mul_f32_e32 v3, 0x5f7ffffc, v3
	s_delay_alu instid0(VALU_DEP_1) | instskip(NEXT) | instid1(VALU_DEP_1)
	v_mul_f32_e32 v5, 0x2f800000, v3
	v_trunc_f32_e32 v5, v5
	s_delay_alu instid0(VALU_DEP_1) | instskip(SKIP_1) | instid1(VALU_DEP_2)
	v_fmac_f32_e32 v3, 0xcf800000, v5
	v_cvt_u32_f32_e32 v5, v5
	v_cvt_u32_f32_e32 v3, v3
	s_delay_alu instid0(VALU_DEP_2) | instskip(NEXT) | instid1(VALU_DEP_2)
	v_mul_lo_u32 v8, s0, v5
	v_mul_hi_u32 v11, s0, v3
	v_mul_lo_u32 v12, s17, v3
	s_delay_alu instid0(VALU_DEP_2) | instskip(SKIP_1) | instid1(VALU_DEP_2)
	v_add_nc_u32_e32 v8, v11, v8
	v_mul_lo_u32 v11, s0, v3
	v_add_nc_u32_e32 v8, v8, v12
	s_delay_alu instid0(VALU_DEP_2) | instskip(NEXT) | instid1(VALU_DEP_2)
	v_mul_hi_u32 v12, v3, v11
	v_mul_lo_u32 v13, v3, v8
	v_mul_hi_u32 v14, v3, v8
	v_mul_hi_u32 v15, v5, v11
	v_mul_lo_u32 v11, v5, v11
	v_mul_hi_u32 v16, v5, v8
	v_mul_lo_u32 v8, v5, v8
	v_add_co_u32 v12, vcc_lo, v12, v13
	v_add_co_ci_u32_e32 v13, vcc_lo, 0, v14, vcc_lo
	s_delay_alu instid0(VALU_DEP_2) | instskip(NEXT) | instid1(VALU_DEP_2)
	v_add_co_u32 v11, vcc_lo, v12, v11
	v_add_co_ci_u32_e32 v11, vcc_lo, v13, v15, vcc_lo
	v_add_co_ci_u32_e32 v12, vcc_lo, 0, v16, vcc_lo
	v_ashrrev_i32_e32 v16, 31, v10
	s_delay_alu instid0(VALU_DEP_3) | instskip(NEXT) | instid1(VALU_DEP_3)
	v_add_co_u32 v8, vcc_lo, v11, v8
	v_add_co_ci_u32_e32 v11, vcc_lo, 0, v12, vcc_lo
	s_delay_alu instid0(VALU_DEP_2) | instskip(NEXT) | instid1(VALU_DEP_2)
	v_add_co_u32 v3, vcc_lo, v3, v8
	v_add_co_ci_u32_e32 v5, vcc_lo, v5, v11, vcc_lo
	s_delay_alu instid0(VALU_DEP_2) | instskip(SKIP_1) | instid1(VALU_DEP_3)
	v_mul_hi_u32 v8, s0, v3
	v_mul_lo_u32 v12, s17, v3
	v_mul_lo_u32 v11, s0, v5
	s_delay_alu instid0(VALU_DEP_1) | instskip(SKIP_1) | instid1(VALU_DEP_2)
	v_add_nc_u32_e32 v8, v8, v11
	v_mul_lo_u32 v11, s0, v3
	v_add_nc_u32_e32 v8, v8, v12
	s_delay_alu instid0(VALU_DEP_2) | instskip(NEXT) | instid1(VALU_DEP_2)
	v_mul_hi_u32 v12, v3, v11
	v_mul_lo_u32 v13, v3, v8
	v_mul_hi_u32 v14, v3, v8
	v_mul_hi_u32 v15, v5, v11
	v_mul_lo_u32 v11, v5, v11
	v_mul_hi_u32 v17, v5, v8
	v_mul_lo_u32 v8, v5, v8
	v_add_co_u32 v12, vcc_lo, v12, v13
	v_add_co_ci_u32_e32 v13, vcc_lo, 0, v14, vcc_lo
	s_delay_alu instid0(VALU_DEP_2) | instskip(NEXT) | instid1(VALU_DEP_2)
	v_add_co_u32 v11, vcc_lo, v12, v11
	v_add_co_ci_u32_e32 v11, vcc_lo, v13, v15, vcc_lo
	v_add_co_ci_u32_e32 v12, vcc_lo, 0, v17, vcc_lo
	v_add_co_u32 v13, vcc_lo, v9, v16
	v_add_co_ci_u32_e32 v10, vcc_lo, v10, v16, vcc_lo
	s_delay_alu instid0(VALU_DEP_4) | instskip(NEXT) | instid1(VALU_DEP_4)
	v_add_co_u32 v8, vcc_lo, v11, v8
	v_add_co_ci_u32_e32 v11, vcc_lo, 0, v12, vcc_lo
	s_delay_alu instid0(VALU_DEP_4) | instskip(NEXT) | instid1(VALU_DEP_3)
	v_xor_b32_e32 v17, v13, v16
	v_add_co_u32 v3, vcc_lo, v3, v8
	s_delay_alu instid0(VALU_DEP_3) | instskip(SKIP_1) | instid1(VALU_DEP_3)
	v_add_co_ci_u32_e32 v5, vcc_lo, v5, v11, vcc_lo
	v_xor_b32_e32 v8, v10, v16
	v_mul_hi_u32 v18, v17, v3
	s_delay_alu instid0(VALU_DEP_3) | instskip(NEXT) | instid1(VALU_DEP_3)
	v_mad_u64_u32 v[10:11], null, v17, v5, 0
	v_mad_u64_u32 v[12:13], null, v8, v3, 0
	;; [unrolled: 1-line block ×3, first 2 shown]
	s_delay_alu instid0(VALU_DEP_3) | instskip(NEXT) | instid1(VALU_DEP_4)
	v_add_co_u32 v3, vcc_lo, v18, v10
	v_add_co_ci_u32_e32 v5, vcc_lo, 0, v11, vcc_lo
	s_delay_alu instid0(VALU_DEP_2) | instskip(NEXT) | instid1(VALU_DEP_2)
	v_add_co_u32 v3, vcc_lo, v3, v12
	v_add_co_ci_u32_e32 v3, vcc_lo, v5, v13, vcc_lo
	v_add_co_ci_u32_e32 v5, vcc_lo, 0, v15, vcc_lo
	s_delay_alu instid0(VALU_DEP_2) | instskip(NEXT) | instid1(VALU_DEP_2)
	v_add_co_u32 v3, vcc_lo, v3, v14
	v_add_co_ci_u32_e32 v5, vcc_lo, 0, v5, vcc_lo
	s_delay_alu instid0(VALU_DEP_2) | instskip(SKIP_1) | instid1(VALU_DEP_3)
	v_mul_lo_u32 v12, s23, v3
	v_mad_u64_u32 v[10:11], null, s22, v3, 0
	v_mul_lo_u32 v13, s22, v5
	s_delay_alu instid0(VALU_DEP_2) | instskip(NEXT) | instid1(VALU_DEP_2)
	v_sub_co_u32 v10, vcc_lo, v17, v10
	v_add3_u32 v11, v11, v13, v12
	s_delay_alu instid0(VALU_DEP_1) | instskip(NEXT) | instid1(VALU_DEP_1)
	v_sub_nc_u32_e32 v12, v8, v11
	v_subrev_co_ci_u32_e64 v12, s0, s23, v12, vcc_lo
	v_add_co_u32 v13, s0, v3, 2
	s_delay_alu instid0(VALU_DEP_1) | instskip(SKIP_3) | instid1(VALU_DEP_3)
	v_add_co_ci_u32_e64 v14, s0, 0, v5, s0
	v_sub_co_u32 v15, s0, v10, s22
	v_sub_co_ci_u32_e32 v8, vcc_lo, v8, v11, vcc_lo
	v_subrev_co_ci_u32_e64 v12, s0, 0, v12, s0
	v_cmp_le_u32_e32 vcc_lo, s22, v15
	s_delay_alu instid0(VALU_DEP_3) | instskip(SKIP_1) | instid1(VALU_DEP_4)
	v_cmp_eq_u32_e64 s0, s23, v8
	v_cndmask_b32_e64 v11, 0, -1, vcc_lo
	v_cmp_le_u32_e32 vcc_lo, s23, v12
	v_cndmask_b32_e64 v15, 0, -1, vcc_lo
	v_cmp_le_u32_e32 vcc_lo, s22, v10
	;; [unrolled: 2-line block ×3, first 2 shown]
	v_cndmask_b32_e64 v17, 0, -1, vcc_lo
	v_cmp_eq_u32_e32 vcc_lo, s23, v12
	s_delay_alu instid0(VALU_DEP_2) | instskip(SKIP_3) | instid1(VALU_DEP_3)
	v_cndmask_b32_e64 v8, v17, v10, s0
	v_cndmask_b32_e32 v11, v15, v11, vcc_lo
	v_add_co_u32 v12, vcc_lo, v3, 1
	v_add_co_ci_u32_e32 v15, vcc_lo, 0, v5, vcc_lo
	v_cmp_ne_u32_e32 vcc_lo, 0, v11
	s_delay_alu instid0(VALU_DEP_2) | instskip(SKIP_2) | instid1(VALU_DEP_3)
	v_dual_cndmask_b32 v10, v15, v14 :: v_dual_cndmask_b32 v11, v12, v13
	v_cmp_ne_u32_e32 vcc_lo, 0, v8
	v_xor_b32_e32 v8, s20, v16
	v_cndmask_b32_e32 v3, v3, v11, vcc_lo
	s_delay_alu instid0(VALU_DEP_4) | instskip(SKIP_1) | instid1(VALU_DEP_3)
	v_cndmask_b32_e32 v5, v5, v10, vcc_lo
	v_xor_b32_e32 v10, s21, v16
	v_xor_b32_e32 v3, v3, v8
	s_delay_alu instid0(VALU_DEP_2) | instskip(NEXT) | instid1(VALU_DEP_2)
	v_xor_b32_e32 v5, v5, v10
	v_sub_co_u32 v11, vcc_lo, v3, v8
	s_delay_alu instid0(VALU_DEP_2)
	v_sub_co_ci_u32_e32 v12, vcc_lo, v5, v10, vcc_lo
.LBB12_30:                              ;   in Loop: Header=BB12_24 Depth=2
	s_and_not1_saveexec_b32 s0, s14
	s_cbranch_execz .LBB12_32
; %bb.31:                               ;   in Loop: Header=BB12_24 Depth=2
	v_cvt_f32_u32_e32 v3, s43
	s_sub_i32 s14, 0, s43
	v_mov_b32_e32 v12, v2
	s_delay_alu instid0(VALU_DEP_2) | instskip(SKIP_2) | instid1(VALU_DEP_1)
	v_rcp_iflag_f32_e32 v3, v3
	s_waitcnt_depctr 0xfff
	v_mul_f32_e32 v3, 0x4f7ffffe, v3
	v_cvt_u32_f32_e32 v3, v3
	s_delay_alu instid0(VALU_DEP_1) | instskip(NEXT) | instid1(VALU_DEP_1)
	v_mul_lo_u32 v5, s14, v3
	v_mul_hi_u32 v5, v3, v5
	s_delay_alu instid0(VALU_DEP_1) | instskip(NEXT) | instid1(VALU_DEP_1)
	v_add_nc_u32_e32 v3, v3, v5
	v_mul_hi_u32 v3, v9, v3
	s_delay_alu instid0(VALU_DEP_1) | instskip(NEXT) | instid1(VALU_DEP_1)
	v_mul_lo_u32 v5, v3, s43
	v_sub_nc_u32_e32 v5, v9, v5
	s_delay_alu instid0(VALU_DEP_1) | instskip(SKIP_1) | instid1(VALU_DEP_2)
	v_subrev_nc_u32_e32 v10, s43, v5
	v_cmp_le_u32_e32 vcc_lo, s43, v5
	v_dual_cndmask_b32 v5, v5, v10 :: v_dual_add_nc_u32 v8, 1, v3
	s_delay_alu instid0(VALU_DEP_1) | instskip(NEXT) | instid1(VALU_DEP_2)
	v_cndmask_b32_e32 v3, v3, v8, vcc_lo
	v_cmp_le_u32_e32 vcc_lo, s43, v5
	s_delay_alu instid0(VALU_DEP_2) | instskip(NEXT) | instid1(VALU_DEP_1)
	v_add_nc_u32_e32 v8, 1, v3
	v_cndmask_b32_e32 v11, v3, v8, vcc_lo
.LBB12_32:                              ;   in Loop: Header=BB12_24 Depth=2
	s_or_b32 exec_lo, exec_lo, s0
	s_add_u32 s20, s30, s18
	s_addc_u32 s21, s1, s19
	s_add_i32 s14, s16, 5
                                        ; implicit-def: $vgpr13_vgpr14
	s_delay_alu instid0(SALU_CYCLE_1)
	s_lshl_b64 s[18:19], s[14:15], 2
	s_mov_b32 s14, exec_lo
	s_add_u32 s22, s26, s18
	s_addc_u32 s23, s27, s19
	s_clause 0x1
	s_load_b32 s45, s[22:23], 0x0
	s_load_b32 s44, s[20:21], 0x0
	s_waitcnt lgkmcnt(0)
	s_ashr_i32 s0, s45, 31
	s_delay_alu instid0(SALU_CYCLE_1) | instskip(NEXT) | instid1(VALU_DEP_1)
	v_or_b32_e32 v3, s0, v12
	v_cmpx_ne_u64_e32 0, v[2:3]
	s_xor_b32 s14, exec_lo, s14
	s_cbranch_execz .LBB12_34
; %bb.33:                               ;   in Loop: Header=BB12_24 Depth=2
	s_add_u32 s22, s45, s0
	s_mov_b32 s20, s0
	s_mov_b32 s21, s0
	s_addc_u32 s23, s0, s0
	v_ashrrev_i32_e32 v18, 31, v12
	s_xor_b64 s[22:23], s[22:23], s[20:21]
	s_delay_alu instid0(SALU_CYCLE_1) | instskip(SKIP_3) | instid1(VALU_DEP_1)
	v_cvt_f32_u32_e32 v3, s22
	v_cvt_f32_u32_e32 v5, s23
	s_sub_u32 s0, 0, s22
	s_subb_u32 s17, 0, s23
	v_fmac_f32_e32 v3, 0x4f800000, v5
	s_delay_alu instid0(VALU_DEP_1) | instskip(SKIP_2) | instid1(VALU_DEP_1)
	v_rcp_f32_e32 v3, v3
	s_waitcnt_depctr 0xfff
	v_mul_f32_e32 v3, 0x5f7ffffc, v3
	v_mul_f32_e32 v5, 0x2f800000, v3
	s_delay_alu instid0(VALU_DEP_1) | instskip(NEXT) | instid1(VALU_DEP_1)
	v_trunc_f32_e32 v5, v5
	v_fmac_f32_e32 v3, 0xcf800000, v5
	v_cvt_u32_f32_e32 v5, v5
	s_delay_alu instid0(VALU_DEP_2) | instskip(NEXT) | instid1(VALU_DEP_2)
	v_cvt_u32_f32_e32 v3, v3
	v_mul_lo_u32 v8, s0, v5
	s_delay_alu instid0(VALU_DEP_2) | instskip(SKIP_1) | instid1(VALU_DEP_2)
	v_mul_hi_u32 v10, s0, v3
	v_mul_lo_u32 v13, s17, v3
	v_add_nc_u32_e32 v8, v10, v8
	v_mul_lo_u32 v10, s0, v3
	s_delay_alu instid0(VALU_DEP_2) | instskip(NEXT) | instid1(VALU_DEP_2)
	v_add_nc_u32_e32 v8, v8, v13
	v_mul_hi_u32 v13, v3, v10
	s_delay_alu instid0(VALU_DEP_2)
	v_mul_lo_u32 v14, v3, v8
	v_mul_hi_u32 v15, v3, v8
	v_mul_hi_u32 v16, v5, v10
	v_mul_lo_u32 v10, v5, v10
	v_mul_hi_u32 v17, v5, v8
	v_mul_lo_u32 v8, v5, v8
	v_add_co_u32 v13, vcc_lo, v13, v14
	v_add_co_ci_u32_e32 v14, vcc_lo, 0, v15, vcc_lo
	s_delay_alu instid0(VALU_DEP_2) | instskip(NEXT) | instid1(VALU_DEP_2)
	v_add_co_u32 v10, vcc_lo, v13, v10
	v_add_co_ci_u32_e32 v10, vcc_lo, v14, v16, vcc_lo
	v_add_co_ci_u32_e32 v13, vcc_lo, 0, v17, vcc_lo
	s_delay_alu instid0(VALU_DEP_2) | instskip(NEXT) | instid1(VALU_DEP_2)
	v_add_co_u32 v8, vcc_lo, v10, v8
	v_add_co_ci_u32_e32 v10, vcc_lo, 0, v13, vcc_lo
	s_delay_alu instid0(VALU_DEP_2) | instskip(NEXT) | instid1(VALU_DEP_2)
	v_add_co_u32 v3, vcc_lo, v3, v8
	v_add_co_ci_u32_e32 v5, vcc_lo, v5, v10, vcc_lo
	s_delay_alu instid0(VALU_DEP_2) | instskip(SKIP_1) | instid1(VALU_DEP_3)
	v_mul_hi_u32 v8, s0, v3
	v_mul_lo_u32 v13, s17, v3
	v_mul_lo_u32 v10, s0, v5
	s_delay_alu instid0(VALU_DEP_1) | instskip(SKIP_1) | instid1(VALU_DEP_2)
	v_add_nc_u32_e32 v8, v8, v10
	v_mul_lo_u32 v10, s0, v3
	v_add_nc_u32_e32 v8, v8, v13
	s_delay_alu instid0(VALU_DEP_2) | instskip(NEXT) | instid1(VALU_DEP_2)
	v_mul_hi_u32 v13, v3, v10
	v_mul_lo_u32 v14, v3, v8
	v_mul_hi_u32 v15, v3, v8
	v_mul_hi_u32 v16, v5, v10
	v_mul_lo_u32 v10, v5, v10
	v_mul_hi_u32 v17, v5, v8
	v_mul_lo_u32 v8, v5, v8
	v_add_co_u32 v13, vcc_lo, v13, v14
	v_add_co_ci_u32_e32 v14, vcc_lo, 0, v15, vcc_lo
	s_delay_alu instid0(VALU_DEP_2) | instskip(NEXT) | instid1(VALU_DEP_2)
	v_add_co_u32 v10, vcc_lo, v13, v10
	v_add_co_ci_u32_e32 v10, vcc_lo, v14, v16, vcc_lo
	v_add_co_ci_u32_e32 v13, vcc_lo, 0, v17, vcc_lo
	v_add_co_u32 v14, vcc_lo, v11, v18
	v_add_co_ci_u32_e32 v12, vcc_lo, v12, v18, vcc_lo
	s_delay_alu instid0(VALU_DEP_4) | instskip(NEXT) | instid1(VALU_DEP_4)
	v_add_co_u32 v8, vcc_lo, v10, v8
	v_add_co_ci_u32_e32 v10, vcc_lo, 0, v13, vcc_lo
	s_delay_alu instid0(VALU_DEP_4) | instskip(NEXT) | instid1(VALU_DEP_3)
	v_xor_b32_e32 v19, v14, v18
	v_add_co_u32 v3, vcc_lo, v3, v8
	s_delay_alu instid0(VALU_DEP_3) | instskip(SKIP_1) | instid1(VALU_DEP_3)
	v_add_co_ci_u32_e32 v5, vcc_lo, v5, v10, vcc_lo
	v_xor_b32_e32 v8, v12, v18
	v_mul_hi_u32 v10, v19, v3
	s_delay_alu instid0(VALU_DEP_3) | instskip(NEXT) | instid1(VALU_DEP_3)
	v_mad_u64_u32 v[12:13], null, v19, v5, 0
	v_mad_u64_u32 v[14:15], null, v8, v3, 0
	;; [unrolled: 1-line block ×3, first 2 shown]
	s_delay_alu instid0(VALU_DEP_3) | instskip(NEXT) | instid1(VALU_DEP_4)
	v_add_co_u32 v3, vcc_lo, v10, v12
	v_add_co_ci_u32_e32 v5, vcc_lo, 0, v13, vcc_lo
	s_delay_alu instid0(VALU_DEP_2) | instskip(NEXT) | instid1(VALU_DEP_2)
	v_add_co_u32 v3, vcc_lo, v3, v14
	v_add_co_ci_u32_e32 v3, vcc_lo, v5, v15, vcc_lo
	v_add_co_ci_u32_e32 v5, vcc_lo, 0, v17, vcc_lo
	s_delay_alu instid0(VALU_DEP_2) | instskip(NEXT) | instid1(VALU_DEP_2)
	v_add_co_u32 v3, vcc_lo, v3, v16
	v_add_co_ci_u32_e32 v5, vcc_lo, 0, v5, vcc_lo
	s_delay_alu instid0(VALU_DEP_2) | instskip(SKIP_1) | instid1(VALU_DEP_3)
	v_mul_lo_u32 v10, s23, v3
	v_mad_u64_u32 v[12:13], null, s22, v3, 0
	v_mul_lo_u32 v14, s22, v5
	s_delay_alu instid0(VALU_DEP_2) | instskip(NEXT) | instid1(VALU_DEP_2)
	v_sub_co_u32 v12, vcc_lo, v19, v12
	v_add3_u32 v10, v13, v14, v10
	s_delay_alu instid0(VALU_DEP_1) | instskip(NEXT) | instid1(VALU_DEP_1)
	v_sub_nc_u32_e32 v13, v8, v10
	v_subrev_co_ci_u32_e64 v13, s0, s23, v13, vcc_lo
	v_add_co_u32 v14, s0, v3, 2
	s_delay_alu instid0(VALU_DEP_1) | instskip(SKIP_3) | instid1(VALU_DEP_3)
	v_add_co_ci_u32_e64 v15, s0, 0, v5, s0
	v_sub_co_u32 v16, s0, v12, s22
	v_sub_co_ci_u32_e32 v8, vcc_lo, v8, v10, vcc_lo
	v_subrev_co_ci_u32_e64 v13, s0, 0, v13, s0
	v_cmp_le_u32_e32 vcc_lo, s22, v16
	s_delay_alu instid0(VALU_DEP_3) | instskip(SKIP_1) | instid1(VALU_DEP_4)
	v_cmp_eq_u32_e64 s0, s23, v8
	v_cndmask_b32_e64 v10, 0, -1, vcc_lo
	v_cmp_le_u32_e32 vcc_lo, s23, v13
	v_cndmask_b32_e64 v16, 0, -1, vcc_lo
	v_cmp_le_u32_e32 vcc_lo, s22, v12
	;; [unrolled: 2-line block ×3, first 2 shown]
	v_cndmask_b32_e64 v17, 0, -1, vcc_lo
	v_cmp_eq_u32_e32 vcc_lo, s23, v13
	s_delay_alu instid0(VALU_DEP_2) | instskip(SKIP_3) | instid1(VALU_DEP_3)
	v_cndmask_b32_e64 v8, v17, v12, s0
	v_cndmask_b32_e32 v10, v16, v10, vcc_lo
	v_add_co_u32 v13, vcc_lo, v3, 1
	v_add_co_ci_u32_e32 v16, vcc_lo, 0, v5, vcc_lo
	v_cmp_ne_u32_e32 vcc_lo, 0, v10
	s_delay_alu instid0(VALU_DEP_3) | instskip(NEXT) | instid1(VALU_DEP_3)
	v_cndmask_b32_e32 v12, v13, v14, vcc_lo
	v_cndmask_b32_e32 v10, v16, v15, vcc_lo
	v_cmp_ne_u32_e32 vcc_lo, 0, v8
	v_xor_b32_e32 v8, s20, v18
	s_delay_alu instid0(VALU_DEP_4) | instskip(NEXT) | instid1(VALU_DEP_4)
	v_cndmask_b32_e32 v3, v3, v12, vcc_lo
	v_cndmask_b32_e32 v5, v5, v10, vcc_lo
	v_xor_b32_e32 v10, s21, v18
	s_delay_alu instid0(VALU_DEP_3) | instskip(NEXT) | instid1(VALU_DEP_2)
	v_xor_b32_e32 v3, v3, v8
	v_xor_b32_e32 v5, v5, v10
	s_delay_alu instid0(VALU_DEP_2) | instskip(NEXT) | instid1(VALU_DEP_2)
	v_sub_co_u32 v13, vcc_lo, v3, v8
	v_sub_co_ci_u32_e32 v14, vcc_lo, v5, v10, vcc_lo
.LBB12_34:                              ;   in Loop: Header=BB12_24 Depth=2
	s_and_not1_saveexec_b32 s0, s14
	s_cbranch_execz .LBB12_36
; %bb.35:                               ;   in Loop: Header=BB12_24 Depth=2
	v_cvt_f32_u32_e32 v3, s45
	s_sub_i32 s14, 0, s45
	v_mov_b32_e32 v14, v2
	s_delay_alu instid0(VALU_DEP_2) | instskip(SKIP_2) | instid1(VALU_DEP_1)
	v_rcp_iflag_f32_e32 v3, v3
	s_waitcnt_depctr 0xfff
	v_mul_f32_e32 v3, 0x4f7ffffe, v3
	v_cvt_u32_f32_e32 v3, v3
	s_delay_alu instid0(VALU_DEP_1) | instskip(NEXT) | instid1(VALU_DEP_1)
	v_mul_lo_u32 v5, s14, v3
	v_mul_hi_u32 v5, v3, v5
	s_delay_alu instid0(VALU_DEP_1) | instskip(NEXT) | instid1(VALU_DEP_1)
	v_add_nc_u32_e32 v3, v3, v5
	v_mul_hi_u32 v3, v11, v3
	s_delay_alu instid0(VALU_DEP_1) | instskip(NEXT) | instid1(VALU_DEP_1)
	v_mul_lo_u32 v5, v3, s45
	v_sub_nc_u32_e32 v5, v11, v5
	s_delay_alu instid0(VALU_DEP_1) | instskip(SKIP_1) | instid1(VALU_DEP_2)
	v_subrev_nc_u32_e32 v10, s45, v5
	v_cmp_le_u32_e32 vcc_lo, s45, v5
	v_dual_cndmask_b32 v5, v5, v10 :: v_dual_add_nc_u32 v8, 1, v3
	s_delay_alu instid0(VALU_DEP_1) | instskip(NEXT) | instid1(VALU_DEP_2)
	v_cndmask_b32_e32 v3, v3, v8, vcc_lo
	v_cmp_le_u32_e32 vcc_lo, s45, v5
	s_delay_alu instid0(VALU_DEP_2) | instskip(NEXT) | instid1(VALU_DEP_1)
	v_add_nc_u32_e32 v8, 1, v3
	v_cndmask_b32_e32 v13, v3, v8, vcc_lo
.LBB12_36:                              ;   in Loop: Header=BB12_24 Depth=2
	s_or_b32 exec_lo, exec_lo, s0
	s_add_u32 s20, s30, s18
	s_addc_u32 s21, s1, s19
	s_add_i32 s14, s16, 4
                                        ; implicit-def: $vgpr15_vgpr16
	s_delay_alu instid0(SALU_CYCLE_1)
	s_lshl_b64 s[18:19], s[14:15], 2
	s_mov_b32 s14, exec_lo
	s_add_u32 s22, s26, s18
	s_addc_u32 s23, s27, s19
	s_clause 0x1
	s_load_b32 s47, s[22:23], 0x0
	s_load_b32 s46, s[20:21], 0x0
	s_waitcnt lgkmcnt(0)
	s_ashr_i32 s0, s47, 31
	s_delay_alu instid0(SALU_CYCLE_1) | instskip(NEXT) | instid1(VALU_DEP_1)
	v_or_b32_e32 v3, s0, v14
	v_cmpx_ne_u64_e32 0, v[2:3]
	s_xor_b32 s14, exec_lo, s14
	s_cbranch_execz .LBB12_38
; %bb.37:                               ;   in Loop: Header=BB12_24 Depth=2
	s_add_u32 s22, s47, s0
	s_mov_b32 s20, s0
	s_mov_b32 s21, s0
	s_addc_u32 s23, s0, s0
	v_ashrrev_i32_e32 v20, 31, v14
	s_xor_b64 s[22:23], s[22:23], s[20:21]
	s_delay_alu instid0(SALU_CYCLE_1) | instskip(SKIP_3) | instid1(VALU_DEP_1)
	v_cvt_f32_u32_e32 v3, s22
	v_cvt_f32_u32_e32 v5, s23
	s_sub_u32 s0, 0, s22
	s_subb_u32 s17, 0, s23
	v_fmac_f32_e32 v3, 0x4f800000, v5
	s_delay_alu instid0(VALU_DEP_1) | instskip(SKIP_2) | instid1(VALU_DEP_1)
	v_rcp_f32_e32 v3, v3
	s_waitcnt_depctr 0xfff
	v_mul_f32_e32 v3, 0x5f7ffffc, v3
	v_mul_f32_e32 v5, 0x2f800000, v3
	s_delay_alu instid0(VALU_DEP_1) | instskip(NEXT) | instid1(VALU_DEP_1)
	v_trunc_f32_e32 v5, v5
	v_fmac_f32_e32 v3, 0xcf800000, v5
	v_cvt_u32_f32_e32 v5, v5
	s_delay_alu instid0(VALU_DEP_2) | instskip(NEXT) | instid1(VALU_DEP_2)
	v_cvt_u32_f32_e32 v3, v3
	v_mul_lo_u32 v8, s0, v5
	s_delay_alu instid0(VALU_DEP_2) | instskip(SKIP_1) | instid1(VALU_DEP_2)
	v_mul_hi_u32 v10, s0, v3
	v_mul_lo_u32 v12, s17, v3
	v_add_nc_u32_e32 v8, v10, v8
	v_mul_lo_u32 v10, s0, v3
	s_delay_alu instid0(VALU_DEP_2) | instskip(NEXT) | instid1(VALU_DEP_2)
	v_add_nc_u32_e32 v8, v8, v12
	v_mul_hi_u32 v12, v3, v10
	s_delay_alu instid0(VALU_DEP_2)
	v_mul_lo_u32 v15, v3, v8
	v_mul_hi_u32 v16, v3, v8
	v_mul_hi_u32 v17, v5, v10
	v_mul_lo_u32 v10, v5, v10
	v_mul_hi_u32 v18, v5, v8
	v_mul_lo_u32 v8, v5, v8
	v_add_co_u32 v12, vcc_lo, v12, v15
	v_add_co_ci_u32_e32 v15, vcc_lo, 0, v16, vcc_lo
	s_delay_alu instid0(VALU_DEP_2) | instskip(NEXT) | instid1(VALU_DEP_2)
	v_add_co_u32 v10, vcc_lo, v12, v10
	v_add_co_ci_u32_e32 v10, vcc_lo, v15, v17, vcc_lo
	v_add_co_ci_u32_e32 v12, vcc_lo, 0, v18, vcc_lo
	s_delay_alu instid0(VALU_DEP_2) | instskip(NEXT) | instid1(VALU_DEP_2)
	v_add_co_u32 v8, vcc_lo, v10, v8
	v_add_co_ci_u32_e32 v10, vcc_lo, 0, v12, vcc_lo
	s_delay_alu instid0(VALU_DEP_2) | instskip(NEXT) | instid1(VALU_DEP_2)
	v_add_co_u32 v3, vcc_lo, v3, v8
	v_add_co_ci_u32_e32 v5, vcc_lo, v5, v10, vcc_lo
	s_delay_alu instid0(VALU_DEP_2) | instskip(SKIP_1) | instid1(VALU_DEP_3)
	v_mul_hi_u32 v8, s0, v3
	v_mul_lo_u32 v12, s17, v3
	v_mul_lo_u32 v10, s0, v5
	s_delay_alu instid0(VALU_DEP_1) | instskip(SKIP_1) | instid1(VALU_DEP_2)
	v_add_nc_u32_e32 v8, v8, v10
	v_mul_lo_u32 v10, s0, v3
	v_add_nc_u32_e32 v8, v8, v12
	s_delay_alu instid0(VALU_DEP_2) | instskip(NEXT) | instid1(VALU_DEP_2)
	v_mul_hi_u32 v12, v3, v10
	v_mul_lo_u32 v15, v3, v8
	v_mul_hi_u32 v16, v3, v8
	v_mul_hi_u32 v17, v5, v10
	v_mul_lo_u32 v10, v5, v10
	v_mul_hi_u32 v18, v5, v8
	v_mul_lo_u32 v8, v5, v8
	v_add_co_u32 v12, vcc_lo, v12, v15
	v_add_co_ci_u32_e32 v15, vcc_lo, 0, v16, vcc_lo
	s_delay_alu instid0(VALU_DEP_2) | instskip(NEXT) | instid1(VALU_DEP_2)
	v_add_co_u32 v10, vcc_lo, v12, v10
	v_add_co_ci_u32_e32 v10, vcc_lo, v15, v17, vcc_lo
	v_add_co_ci_u32_e32 v12, vcc_lo, 0, v18, vcc_lo
	v_add_co_u32 v15, vcc_lo, v13, v20
	v_add_co_ci_u32_e32 v14, vcc_lo, v14, v20, vcc_lo
	s_delay_alu instid0(VALU_DEP_4) | instskip(NEXT) | instid1(VALU_DEP_4)
	v_add_co_u32 v8, vcc_lo, v10, v8
	v_add_co_ci_u32_e32 v10, vcc_lo, 0, v12, vcc_lo
	s_delay_alu instid0(VALU_DEP_4) | instskip(NEXT) | instid1(VALU_DEP_3)
	v_xor_b32_e32 v12, v15, v20
	v_add_co_u32 v3, vcc_lo, v3, v8
	s_delay_alu instid0(VALU_DEP_3) | instskip(SKIP_1) | instid1(VALU_DEP_3)
	v_add_co_ci_u32_e32 v5, vcc_lo, v5, v10, vcc_lo
	v_xor_b32_e32 v8, v14, v20
	v_mul_hi_u32 v10, v12, v3
	s_delay_alu instid0(VALU_DEP_3) | instskip(NEXT) | instid1(VALU_DEP_3)
	v_mad_u64_u32 v[14:15], null, v12, v5, 0
	v_mad_u64_u32 v[16:17], null, v8, v3, 0
	;; [unrolled: 1-line block ×3, first 2 shown]
	s_delay_alu instid0(VALU_DEP_3) | instskip(NEXT) | instid1(VALU_DEP_4)
	v_add_co_u32 v3, vcc_lo, v10, v14
	v_add_co_ci_u32_e32 v5, vcc_lo, 0, v15, vcc_lo
	s_delay_alu instid0(VALU_DEP_2) | instskip(NEXT) | instid1(VALU_DEP_2)
	v_add_co_u32 v3, vcc_lo, v3, v16
	v_add_co_ci_u32_e32 v3, vcc_lo, v5, v17, vcc_lo
	v_add_co_ci_u32_e32 v5, vcc_lo, 0, v19, vcc_lo
	s_delay_alu instid0(VALU_DEP_2) | instskip(NEXT) | instid1(VALU_DEP_2)
	v_add_co_u32 v3, vcc_lo, v3, v18
	v_add_co_ci_u32_e32 v5, vcc_lo, 0, v5, vcc_lo
	s_delay_alu instid0(VALU_DEP_2) | instskip(SKIP_1) | instid1(VALU_DEP_3)
	v_mul_lo_u32 v10, s23, v3
	v_mad_u64_u32 v[14:15], null, s22, v3, 0
	v_mul_lo_u32 v16, s22, v5
	s_delay_alu instid0(VALU_DEP_2) | instskip(NEXT) | instid1(VALU_DEP_2)
	v_sub_co_u32 v12, vcc_lo, v12, v14
	v_add3_u32 v10, v15, v16, v10
	s_delay_alu instid0(VALU_DEP_1) | instskip(NEXT) | instid1(VALU_DEP_1)
	v_sub_nc_u32_e32 v15, v8, v10
	v_subrev_co_ci_u32_e64 v14, s0, s23, v15, vcc_lo
	v_add_co_u32 v15, s0, v3, 2
	s_delay_alu instid0(VALU_DEP_1) | instskip(SKIP_3) | instid1(VALU_DEP_3)
	v_add_co_ci_u32_e64 v16, s0, 0, v5, s0
	v_sub_co_u32 v17, s0, v12, s22
	v_sub_co_ci_u32_e32 v8, vcc_lo, v8, v10, vcc_lo
	v_subrev_co_ci_u32_e64 v14, s0, 0, v14, s0
	v_cmp_le_u32_e32 vcc_lo, s22, v17
	s_delay_alu instid0(VALU_DEP_3) | instskip(SKIP_1) | instid1(VALU_DEP_4)
	v_cmp_eq_u32_e64 s0, s23, v8
	v_cndmask_b32_e64 v10, 0, -1, vcc_lo
	v_cmp_le_u32_e32 vcc_lo, s23, v14
	v_cndmask_b32_e64 v17, 0, -1, vcc_lo
	v_cmp_le_u32_e32 vcc_lo, s22, v12
	;; [unrolled: 2-line block ×3, first 2 shown]
	v_cndmask_b32_e64 v18, 0, -1, vcc_lo
	v_cmp_eq_u32_e32 vcc_lo, s23, v14
	s_delay_alu instid0(VALU_DEP_2) | instskip(SKIP_3) | instid1(VALU_DEP_3)
	v_cndmask_b32_e64 v8, v18, v12, s0
	v_cndmask_b32_e32 v10, v17, v10, vcc_lo
	v_add_co_u32 v14, vcc_lo, v3, 1
	v_add_co_ci_u32_e32 v17, vcc_lo, 0, v5, vcc_lo
	v_cmp_ne_u32_e32 vcc_lo, 0, v10
	s_delay_alu instid0(VALU_DEP_2) | instskip(NEXT) | instid1(VALU_DEP_4)
	v_cndmask_b32_e32 v10, v17, v16, vcc_lo
	v_cndmask_b32_e32 v12, v14, v15, vcc_lo
	v_cmp_ne_u32_e32 vcc_lo, 0, v8
	v_xor_b32_e32 v8, s20, v20
	s_delay_alu instid0(VALU_DEP_4) | instskip(NEXT) | instid1(VALU_DEP_4)
	v_cndmask_b32_e32 v5, v5, v10, vcc_lo
	v_cndmask_b32_e32 v3, v3, v12, vcc_lo
	v_xor_b32_e32 v10, s21, v20
	s_delay_alu instid0(VALU_DEP_2) | instskip(NEXT) | instid1(VALU_DEP_2)
	v_xor_b32_e32 v3, v3, v8
	v_xor_b32_e32 v5, v5, v10
	s_delay_alu instid0(VALU_DEP_2) | instskip(NEXT) | instid1(VALU_DEP_2)
	v_sub_co_u32 v15, vcc_lo, v3, v8
	v_sub_co_ci_u32_e32 v16, vcc_lo, v5, v10, vcc_lo
.LBB12_38:                              ;   in Loop: Header=BB12_24 Depth=2
	s_and_not1_saveexec_b32 s0, s14
	s_cbranch_execz .LBB12_40
; %bb.39:                               ;   in Loop: Header=BB12_24 Depth=2
	v_cvt_f32_u32_e32 v3, s47
	s_sub_i32 s14, 0, s47
	v_mov_b32_e32 v16, v2
	s_delay_alu instid0(VALU_DEP_2) | instskip(SKIP_2) | instid1(VALU_DEP_1)
	v_rcp_iflag_f32_e32 v3, v3
	s_waitcnt_depctr 0xfff
	v_mul_f32_e32 v3, 0x4f7ffffe, v3
	v_cvt_u32_f32_e32 v3, v3
	s_delay_alu instid0(VALU_DEP_1) | instskip(NEXT) | instid1(VALU_DEP_1)
	v_mul_lo_u32 v5, s14, v3
	v_mul_hi_u32 v5, v3, v5
	s_delay_alu instid0(VALU_DEP_1) | instskip(NEXT) | instid1(VALU_DEP_1)
	v_add_nc_u32_e32 v3, v3, v5
	v_mul_hi_u32 v3, v13, v3
	s_delay_alu instid0(VALU_DEP_1) | instskip(NEXT) | instid1(VALU_DEP_1)
	v_mul_lo_u32 v5, v3, s47
	v_sub_nc_u32_e32 v5, v13, v5
	s_delay_alu instid0(VALU_DEP_1) | instskip(SKIP_1) | instid1(VALU_DEP_2)
	v_subrev_nc_u32_e32 v10, s47, v5
	v_cmp_le_u32_e32 vcc_lo, s47, v5
	v_dual_cndmask_b32 v5, v5, v10 :: v_dual_add_nc_u32 v8, 1, v3
	s_delay_alu instid0(VALU_DEP_1) | instskip(NEXT) | instid1(VALU_DEP_2)
	v_cndmask_b32_e32 v3, v3, v8, vcc_lo
	v_cmp_le_u32_e32 vcc_lo, s47, v5
	s_delay_alu instid0(VALU_DEP_2) | instskip(NEXT) | instid1(VALU_DEP_1)
	v_add_nc_u32_e32 v8, 1, v3
	v_cndmask_b32_e32 v15, v3, v8, vcc_lo
.LBB12_40:                              ;   in Loop: Header=BB12_24 Depth=2
	s_or_b32 exec_lo, exec_lo, s0
	s_add_u32 s20, s30, s18
	s_addc_u32 s21, s1, s19
	s_add_i32 s14, s16, 3
                                        ; implicit-def: $vgpr17_vgpr18
	s_delay_alu instid0(SALU_CYCLE_1)
	s_lshl_b64 s[18:19], s[14:15], 2
	s_mov_b32 s14, exec_lo
	s_add_u32 s22, s26, s18
	s_addc_u32 s23, s27, s19
	s_clause 0x1
	s_load_b32 s49, s[22:23], 0x0
	s_load_b32 s48, s[20:21], 0x0
	s_waitcnt lgkmcnt(0)
	s_ashr_i32 s0, s49, 31
	s_delay_alu instid0(SALU_CYCLE_1) | instskip(NEXT) | instid1(VALU_DEP_1)
	v_or_b32_e32 v3, s0, v16
	v_cmpx_ne_u64_e32 0, v[2:3]
	s_xor_b32 s14, exec_lo, s14
	s_cbranch_execz .LBB12_42
; %bb.41:                               ;   in Loop: Header=BB12_24 Depth=2
	s_add_u32 s22, s49, s0
	s_mov_b32 s20, s0
	s_mov_b32 s21, s0
	s_addc_u32 s23, s0, s0
	v_ashrrev_i32_e32 v22, 31, v16
	s_xor_b64 s[22:23], s[22:23], s[20:21]
	s_delay_alu instid0(SALU_CYCLE_1) | instskip(SKIP_3) | instid1(VALU_DEP_1)
	v_cvt_f32_u32_e32 v3, s22
	v_cvt_f32_u32_e32 v5, s23
	s_sub_u32 s0, 0, s22
	s_subb_u32 s17, 0, s23
	v_fmac_f32_e32 v3, 0x4f800000, v5
	s_delay_alu instid0(VALU_DEP_1) | instskip(SKIP_2) | instid1(VALU_DEP_1)
	v_rcp_f32_e32 v3, v3
	s_waitcnt_depctr 0xfff
	v_mul_f32_e32 v3, 0x5f7ffffc, v3
	v_mul_f32_e32 v5, 0x2f800000, v3
	s_delay_alu instid0(VALU_DEP_1) | instskip(NEXT) | instid1(VALU_DEP_1)
	v_trunc_f32_e32 v5, v5
	v_fmac_f32_e32 v3, 0xcf800000, v5
	v_cvt_u32_f32_e32 v5, v5
	s_delay_alu instid0(VALU_DEP_2) | instskip(NEXT) | instid1(VALU_DEP_2)
	v_cvt_u32_f32_e32 v3, v3
	v_mul_lo_u32 v8, s0, v5
	s_delay_alu instid0(VALU_DEP_2) | instskip(SKIP_1) | instid1(VALU_DEP_2)
	v_mul_hi_u32 v10, s0, v3
	v_mul_lo_u32 v12, s17, v3
	v_add_nc_u32_e32 v8, v10, v8
	v_mul_lo_u32 v10, s0, v3
	s_delay_alu instid0(VALU_DEP_2) | instskip(NEXT) | instid1(VALU_DEP_2)
	v_add_nc_u32_e32 v8, v8, v12
	v_mul_hi_u32 v12, v3, v10
	s_delay_alu instid0(VALU_DEP_2)
	v_mul_lo_u32 v14, v3, v8
	v_mul_hi_u32 v17, v3, v8
	v_mul_hi_u32 v18, v5, v10
	v_mul_lo_u32 v10, v5, v10
	v_mul_hi_u32 v19, v5, v8
	v_mul_lo_u32 v8, v5, v8
	v_add_co_u32 v12, vcc_lo, v12, v14
	v_add_co_ci_u32_e32 v14, vcc_lo, 0, v17, vcc_lo
	s_delay_alu instid0(VALU_DEP_2) | instskip(NEXT) | instid1(VALU_DEP_2)
	v_add_co_u32 v10, vcc_lo, v12, v10
	v_add_co_ci_u32_e32 v10, vcc_lo, v14, v18, vcc_lo
	v_add_co_ci_u32_e32 v12, vcc_lo, 0, v19, vcc_lo
	s_delay_alu instid0(VALU_DEP_2) | instskip(NEXT) | instid1(VALU_DEP_2)
	v_add_co_u32 v8, vcc_lo, v10, v8
	v_add_co_ci_u32_e32 v10, vcc_lo, 0, v12, vcc_lo
	s_delay_alu instid0(VALU_DEP_2) | instskip(NEXT) | instid1(VALU_DEP_2)
	v_add_co_u32 v3, vcc_lo, v3, v8
	v_add_co_ci_u32_e32 v5, vcc_lo, v5, v10, vcc_lo
	s_delay_alu instid0(VALU_DEP_2) | instskip(SKIP_1) | instid1(VALU_DEP_3)
	v_mul_hi_u32 v8, s0, v3
	v_mul_lo_u32 v12, s17, v3
	v_mul_lo_u32 v10, s0, v5
	s_delay_alu instid0(VALU_DEP_1) | instskip(SKIP_1) | instid1(VALU_DEP_2)
	v_add_nc_u32_e32 v8, v8, v10
	v_mul_lo_u32 v10, s0, v3
	v_add_nc_u32_e32 v8, v8, v12
	s_delay_alu instid0(VALU_DEP_2) | instskip(NEXT) | instid1(VALU_DEP_2)
	v_mul_hi_u32 v12, v3, v10
	v_mul_lo_u32 v14, v3, v8
	v_mul_hi_u32 v17, v3, v8
	v_mul_hi_u32 v18, v5, v10
	v_mul_lo_u32 v10, v5, v10
	v_mul_hi_u32 v19, v5, v8
	v_mul_lo_u32 v8, v5, v8
	v_add_co_u32 v12, vcc_lo, v12, v14
	v_add_co_ci_u32_e32 v14, vcc_lo, 0, v17, vcc_lo
	s_delay_alu instid0(VALU_DEP_2) | instskip(NEXT) | instid1(VALU_DEP_2)
	v_add_co_u32 v10, vcc_lo, v12, v10
	v_add_co_ci_u32_e32 v10, vcc_lo, v14, v18, vcc_lo
	v_add_co_ci_u32_e32 v12, vcc_lo, 0, v19, vcc_lo
	v_add_co_u32 v14, vcc_lo, v15, v22
	v_add_co_ci_u32_e32 v16, vcc_lo, v16, v22, vcc_lo
	s_delay_alu instid0(VALU_DEP_4) | instskip(NEXT) | instid1(VALU_DEP_4)
	v_add_co_u32 v8, vcc_lo, v10, v8
	v_add_co_ci_u32_e32 v10, vcc_lo, 0, v12, vcc_lo
	s_delay_alu instid0(VALU_DEP_4) | instskip(NEXT) | instid1(VALU_DEP_3)
	v_xor_b32_e32 v12, v14, v22
	v_add_co_u32 v3, vcc_lo, v3, v8
	s_delay_alu instid0(VALU_DEP_3) | instskip(SKIP_1) | instid1(VALU_DEP_3)
	v_add_co_ci_u32_e32 v5, vcc_lo, v5, v10, vcc_lo
	v_xor_b32_e32 v8, v16, v22
	v_mul_hi_u32 v10, v12, v3
	s_delay_alu instid0(VALU_DEP_3) | instskip(NEXT) | instid1(VALU_DEP_3)
	v_mad_u64_u32 v[16:17], null, v12, v5, 0
	v_mad_u64_u32 v[18:19], null, v8, v3, 0
	;; [unrolled: 1-line block ×3, first 2 shown]
	s_delay_alu instid0(VALU_DEP_3) | instskip(NEXT) | instid1(VALU_DEP_4)
	v_add_co_u32 v3, vcc_lo, v10, v16
	v_add_co_ci_u32_e32 v5, vcc_lo, 0, v17, vcc_lo
	s_delay_alu instid0(VALU_DEP_2) | instskip(NEXT) | instid1(VALU_DEP_2)
	v_add_co_u32 v3, vcc_lo, v3, v18
	v_add_co_ci_u32_e32 v3, vcc_lo, v5, v19, vcc_lo
	v_add_co_ci_u32_e32 v5, vcc_lo, 0, v21, vcc_lo
	s_delay_alu instid0(VALU_DEP_2) | instskip(NEXT) | instid1(VALU_DEP_2)
	v_add_co_u32 v3, vcc_lo, v3, v20
	v_add_co_ci_u32_e32 v5, vcc_lo, 0, v5, vcc_lo
	s_delay_alu instid0(VALU_DEP_2) | instskip(SKIP_1) | instid1(VALU_DEP_3)
	v_mul_lo_u32 v10, s23, v3
	v_mad_u64_u32 v[16:17], null, s22, v3, 0
	v_mul_lo_u32 v14, s22, v5
	s_delay_alu instid0(VALU_DEP_2) | instskip(NEXT) | instid1(VALU_DEP_2)
	v_sub_co_u32 v12, vcc_lo, v12, v16
	v_add3_u32 v10, v17, v14, v10
	s_delay_alu instid0(VALU_DEP_1) | instskip(NEXT) | instid1(VALU_DEP_1)
	v_sub_nc_u32_e32 v14, v8, v10
	v_subrev_co_ci_u32_e64 v14, s0, s23, v14, vcc_lo
	v_add_co_u32 v16, s0, v3, 2
	s_delay_alu instid0(VALU_DEP_1) | instskip(SKIP_3) | instid1(VALU_DEP_3)
	v_add_co_ci_u32_e64 v17, s0, 0, v5, s0
	v_sub_co_u32 v18, s0, v12, s22
	v_sub_co_ci_u32_e32 v8, vcc_lo, v8, v10, vcc_lo
	v_subrev_co_ci_u32_e64 v14, s0, 0, v14, s0
	v_cmp_le_u32_e32 vcc_lo, s22, v18
	s_delay_alu instid0(VALU_DEP_3) | instskip(SKIP_1) | instid1(VALU_DEP_4)
	v_cmp_eq_u32_e64 s0, s23, v8
	v_cndmask_b32_e64 v10, 0, -1, vcc_lo
	v_cmp_le_u32_e32 vcc_lo, s23, v14
	v_cndmask_b32_e64 v18, 0, -1, vcc_lo
	v_cmp_le_u32_e32 vcc_lo, s22, v12
	;; [unrolled: 2-line block ×3, first 2 shown]
	v_cndmask_b32_e64 v19, 0, -1, vcc_lo
	v_cmp_eq_u32_e32 vcc_lo, s23, v14
	s_delay_alu instid0(VALU_DEP_2) | instskip(SKIP_3) | instid1(VALU_DEP_3)
	v_cndmask_b32_e64 v8, v19, v12, s0
	v_cndmask_b32_e32 v10, v18, v10, vcc_lo
	v_add_co_u32 v14, vcc_lo, v3, 1
	v_add_co_ci_u32_e32 v18, vcc_lo, 0, v5, vcc_lo
	v_cmp_ne_u32_e32 vcc_lo, 0, v10
	s_delay_alu instid0(VALU_DEP_2) | instskip(NEXT) | instid1(VALU_DEP_4)
	v_cndmask_b32_e32 v10, v18, v17, vcc_lo
	v_cndmask_b32_e32 v12, v14, v16, vcc_lo
	v_cmp_ne_u32_e32 vcc_lo, 0, v8
	v_xor_b32_e32 v8, s20, v22
	s_delay_alu instid0(VALU_DEP_4) | instskip(NEXT) | instid1(VALU_DEP_4)
	v_cndmask_b32_e32 v5, v5, v10, vcc_lo
	v_cndmask_b32_e32 v3, v3, v12, vcc_lo
	v_xor_b32_e32 v10, s21, v22
	s_delay_alu instid0(VALU_DEP_2) | instskip(NEXT) | instid1(VALU_DEP_2)
	v_xor_b32_e32 v3, v3, v8
	v_xor_b32_e32 v5, v5, v10
	s_delay_alu instid0(VALU_DEP_2) | instskip(NEXT) | instid1(VALU_DEP_2)
	v_sub_co_u32 v17, vcc_lo, v3, v8
	v_sub_co_ci_u32_e32 v18, vcc_lo, v5, v10, vcc_lo
.LBB12_42:                              ;   in Loop: Header=BB12_24 Depth=2
	s_and_not1_saveexec_b32 s0, s14
	s_cbranch_execz .LBB12_44
; %bb.43:                               ;   in Loop: Header=BB12_24 Depth=2
	v_cvt_f32_u32_e32 v3, s49
	s_sub_i32 s14, 0, s49
	v_mov_b32_e32 v18, v2
	s_delay_alu instid0(VALU_DEP_2) | instskip(SKIP_2) | instid1(VALU_DEP_1)
	v_rcp_iflag_f32_e32 v3, v3
	s_waitcnt_depctr 0xfff
	v_mul_f32_e32 v3, 0x4f7ffffe, v3
	v_cvt_u32_f32_e32 v3, v3
	s_delay_alu instid0(VALU_DEP_1) | instskip(NEXT) | instid1(VALU_DEP_1)
	v_mul_lo_u32 v5, s14, v3
	v_mul_hi_u32 v5, v3, v5
	s_delay_alu instid0(VALU_DEP_1) | instskip(NEXT) | instid1(VALU_DEP_1)
	v_add_nc_u32_e32 v3, v3, v5
	v_mul_hi_u32 v3, v15, v3
	s_delay_alu instid0(VALU_DEP_1) | instskip(NEXT) | instid1(VALU_DEP_1)
	v_mul_lo_u32 v5, v3, s49
	v_sub_nc_u32_e32 v5, v15, v5
	s_delay_alu instid0(VALU_DEP_1) | instskip(SKIP_1) | instid1(VALU_DEP_2)
	v_subrev_nc_u32_e32 v10, s49, v5
	v_cmp_le_u32_e32 vcc_lo, s49, v5
	v_dual_cndmask_b32 v5, v5, v10 :: v_dual_add_nc_u32 v8, 1, v3
	s_delay_alu instid0(VALU_DEP_1) | instskip(NEXT) | instid1(VALU_DEP_2)
	v_cndmask_b32_e32 v3, v3, v8, vcc_lo
	v_cmp_le_u32_e32 vcc_lo, s49, v5
	s_delay_alu instid0(VALU_DEP_2) | instskip(NEXT) | instid1(VALU_DEP_1)
	v_add_nc_u32_e32 v8, 1, v3
	v_cndmask_b32_e32 v17, v3, v8, vcc_lo
.LBB12_44:                              ;   in Loop: Header=BB12_24 Depth=2
	s_or_b32 exec_lo, exec_lo, s0
	s_add_u32 s20, s30, s18
	s_addc_u32 s21, s1, s19
	s_add_i32 s14, s16, 2
                                        ; implicit-def: $vgpr19_vgpr20
	s_delay_alu instid0(SALU_CYCLE_1)
	s_lshl_b64 s[18:19], s[14:15], 2
	s_mov_b32 s14, exec_lo
	s_add_u32 s22, s26, s18
	s_addc_u32 s23, s27, s19
	s_clause 0x1
	s_load_b32 s51, s[22:23], 0x0
	s_load_b32 s50, s[20:21], 0x0
	s_waitcnt lgkmcnt(0)
	s_ashr_i32 s0, s51, 31
	s_delay_alu instid0(SALU_CYCLE_1) | instskip(NEXT) | instid1(VALU_DEP_1)
	v_or_b32_e32 v3, s0, v18
	v_cmpx_ne_u64_e32 0, v[2:3]
	s_xor_b32 s14, exec_lo, s14
	s_cbranch_execz .LBB12_46
; %bb.45:                               ;   in Loop: Header=BB12_24 Depth=2
	s_add_u32 s22, s51, s0
	s_mov_b32 s20, s0
	s_mov_b32 s21, s0
	s_addc_u32 s23, s0, s0
	v_ashrrev_i32_e32 v24, 31, v18
	s_xor_b64 s[22:23], s[22:23], s[20:21]
	s_delay_alu instid0(SALU_CYCLE_1) | instskip(SKIP_3) | instid1(VALU_DEP_1)
	v_cvt_f32_u32_e32 v3, s22
	v_cvt_f32_u32_e32 v5, s23
	s_sub_u32 s0, 0, s22
	s_subb_u32 s17, 0, s23
	v_fmac_f32_e32 v3, 0x4f800000, v5
	s_delay_alu instid0(VALU_DEP_1) | instskip(SKIP_2) | instid1(VALU_DEP_1)
	v_rcp_f32_e32 v3, v3
	s_waitcnt_depctr 0xfff
	v_mul_f32_e32 v3, 0x5f7ffffc, v3
	v_mul_f32_e32 v5, 0x2f800000, v3
	s_delay_alu instid0(VALU_DEP_1) | instskip(NEXT) | instid1(VALU_DEP_1)
	v_trunc_f32_e32 v5, v5
	v_fmac_f32_e32 v3, 0xcf800000, v5
	v_cvt_u32_f32_e32 v5, v5
	s_delay_alu instid0(VALU_DEP_2) | instskip(NEXT) | instid1(VALU_DEP_2)
	v_cvt_u32_f32_e32 v3, v3
	v_mul_lo_u32 v8, s0, v5
	s_delay_alu instid0(VALU_DEP_2) | instskip(SKIP_1) | instid1(VALU_DEP_2)
	v_mul_hi_u32 v10, s0, v3
	v_mul_lo_u32 v12, s17, v3
	v_add_nc_u32_e32 v8, v10, v8
	v_mul_lo_u32 v10, s0, v3
	s_delay_alu instid0(VALU_DEP_2) | instskip(NEXT) | instid1(VALU_DEP_2)
	v_add_nc_u32_e32 v8, v8, v12
	v_mul_hi_u32 v12, v3, v10
	s_delay_alu instid0(VALU_DEP_2)
	v_mul_lo_u32 v14, v3, v8
	v_mul_hi_u32 v16, v3, v8
	v_mul_hi_u32 v19, v5, v10
	v_mul_lo_u32 v10, v5, v10
	v_mul_hi_u32 v20, v5, v8
	v_mul_lo_u32 v8, v5, v8
	v_add_co_u32 v12, vcc_lo, v12, v14
	v_add_co_ci_u32_e32 v14, vcc_lo, 0, v16, vcc_lo
	s_delay_alu instid0(VALU_DEP_2) | instskip(NEXT) | instid1(VALU_DEP_2)
	v_add_co_u32 v10, vcc_lo, v12, v10
	v_add_co_ci_u32_e32 v10, vcc_lo, v14, v19, vcc_lo
	v_add_co_ci_u32_e32 v12, vcc_lo, 0, v20, vcc_lo
	s_delay_alu instid0(VALU_DEP_2) | instskip(NEXT) | instid1(VALU_DEP_2)
	v_add_co_u32 v8, vcc_lo, v10, v8
	v_add_co_ci_u32_e32 v10, vcc_lo, 0, v12, vcc_lo
	s_delay_alu instid0(VALU_DEP_2) | instskip(NEXT) | instid1(VALU_DEP_2)
	v_add_co_u32 v3, vcc_lo, v3, v8
	v_add_co_ci_u32_e32 v5, vcc_lo, v5, v10, vcc_lo
	s_delay_alu instid0(VALU_DEP_2) | instskip(SKIP_1) | instid1(VALU_DEP_3)
	v_mul_hi_u32 v8, s0, v3
	v_mul_lo_u32 v12, s17, v3
	v_mul_lo_u32 v10, s0, v5
	s_delay_alu instid0(VALU_DEP_1) | instskip(SKIP_1) | instid1(VALU_DEP_2)
	v_add_nc_u32_e32 v8, v8, v10
	v_mul_lo_u32 v10, s0, v3
	v_add_nc_u32_e32 v8, v8, v12
	s_delay_alu instid0(VALU_DEP_2) | instskip(NEXT) | instid1(VALU_DEP_2)
	v_mul_hi_u32 v12, v3, v10
	v_mul_lo_u32 v14, v3, v8
	v_mul_hi_u32 v16, v3, v8
	v_mul_hi_u32 v19, v5, v10
	v_mul_lo_u32 v10, v5, v10
	v_mul_hi_u32 v20, v5, v8
	v_mul_lo_u32 v8, v5, v8
	v_add_co_u32 v12, vcc_lo, v12, v14
	v_add_co_ci_u32_e32 v14, vcc_lo, 0, v16, vcc_lo
	s_delay_alu instid0(VALU_DEP_2) | instskip(NEXT) | instid1(VALU_DEP_2)
	v_add_co_u32 v10, vcc_lo, v12, v10
	v_add_co_ci_u32_e32 v10, vcc_lo, v14, v19, vcc_lo
	v_add_co_ci_u32_e32 v12, vcc_lo, 0, v20, vcc_lo
	v_add_co_u32 v14, vcc_lo, v17, v24
	v_add_co_ci_u32_e32 v16, vcc_lo, v18, v24, vcc_lo
	s_delay_alu instid0(VALU_DEP_4) | instskip(NEXT) | instid1(VALU_DEP_4)
	v_add_co_u32 v8, vcc_lo, v10, v8
	v_add_co_ci_u32_e32 v10, vcc_lo, 0, v12, vcc_lo
	s_delay_alu instid0(VALU_DEP_4) | instskip(NEXT) | instid1(VALU_DEP_3)
	v_xor_b32_e32 v12, v14, v24
	v_add_co_u32 v3, vcc_lo, v3, v8
	s_delay_alu instid0(VALU_DEP_3) | instskip(SKIP_1) | instid1(VALU_DEP_3)
	v_add_co_ci_u32_e32 v5, vcc_lo, v5, v10, vcc_lo
	v_xor_b32_e32 v8, v16, v24
	v_mul_hi_u32 v10, v12, v3
	s_delay_alu instid0(VALU_DEP_3) | instskip(NEXT) | instid1(VALU_DEP_3)
	v_mad_u64_u32 v[18:19], null, v12, v5, 0
	v_mad_u64_u32 v[20:21], null, v8, v3, 0
	;; [unrolled: 1-line block ×3, first 2 shown]
	s_delay_alu instid0(VALU_DEP_3) | instskip(NEXT) | instid1(VALU_DEP_4)
	v_add_co_u32 v3, vcc_lo, v10, v18
	v_add_co_ci_u32_e32 v5, vcc_lo, 0, v19, vcc_lo
	s_delay_alu instid0(VALU_DEP_2) | instskip(NEXT) | instid1(VALU_DEP_2)
	v_add_co_u32 v3, vcc_lo, v3, v20
	v_add_co_ci_u32_e32 v3, vcc_lo, v5, v21, vcc_lo
	v_add_co_ci_u32_e32 v5, vcc_lo, 0, v23, vcc_lo
	s_delay_alu instid0(VALU_DEP_2) | instskip(NEXT) | instid1(VALU_DEP_2)
	v_add_co_u32 v3, vcc_lo, v3, v22
	v_add_co_ci_u32_e32 v5, vcc_lo, 0, v5, vcc_lo
	s_delay_alu instid0(VALU_DEP_2) | instskip(SKIP_1) | instid1(VALU_DEP_3)
	v_mul_lo_u32 v10, s23, v3
	v_mad_u64_u32 v[18:19], null, s22, v3, 0
	v_mul_lo_u32 v14, s22, v5
	s_delay_alu instid0(VALU_DEP_2) | instskip(NEXT) | instid1(VALU_DEP_2)
	v_sub_co_u32 v12, vcc_lo, v12, v18
	v_add3_u32 v10, v19, v14, v10
	s_delay_alu instid0(VALU_DEP_1) | instskip(NEXT) | instid1(VALU_DEP_1)
	v_sub_nc_u32_e32 v14, v8, v10
	v_subrev_co_ci_u32_e64 v14, s0, s23, v14, vcc_lo
	v_add_co_u32 v16, s0, v3, 2
	s_delay_alu instid0(VALU_DEP_1) | instskip(SKIP_3) | instid1(VALU_DEP_3)
	v_add_co_ci_u32_e64 v18, s0, 0, v5, s0
	v_sub_co_u32 v19, s0, v12, s22
	v_sub_co_ci_u32_e32 v8, vcc_lo, v8, v10, vcc_lo
	v_subrev_co_ci_u32_e64 v14, s0, 0, v14, s0
	v_cmp_le_u32_e32 vcc_lo, s22, v19
	s_delay_alu instid0(VALU_DEP_3) | instskip(SKIP_1) | instid1(VALU_DEP_4)
	v_cmp_eq_u32_e64 s0, s23, v8
	v_cndmask_b32_e64 v10, 0, -1, vcc_lo
	v_cmp_le_u32_e32 vcc_lo, s23, v14
	v_cndmask_b32_e64 v19, 0, -1, vcc_lo
	v_cmp_le_u32_e32 vcc_lo, s22, v12
	;; [unrolled: 2-line block ×3, first 2 shown]
	v_cndmask_b32_e64 v20, 0, -1, vcc_lo
	v_cmp_eq_u32_e32 vcc_lo, s23, v14
	s_delay_alu instid0(VALU_DEP_2) | instskip(SKIP_3) | instid1(VALU_DEP_3)
	v_cndmask_b32_e64 v8, v20, v12, s0
	v_cndmask_b32_e32 v10, v19, v10, vcc_lo
	v_add_co_u32 v14, vcc_lo, v3, 1
	v_add_co_ci_u32_e32 v19, vcc_lo, 0, v5, vcc_lo
	v_cmp_ne_u32_e32 vcc_lo, 0, v10
	s_delay_alu instid0(VALU_DEP_2) | instskip(NEXT) | instid1(VALU_DEP_4)
	v_cndmask_b32_e32 v10, v19, v18, vcc_lo
	v_cndmask_b32_e32 v12, v14, v16, vcc_lo
	v_cmp_ne_u32_e32 vcc_lo, 0, v8
	v_xor_b32_e32 v8, s20, v24
	s_delay_alu instid0(VALU_DEP_4) | instskip(NEXT) | instid1(VALU_DEP_4)
	v_cndmask_b32_e32 v5, v5, v10, vcc_lo
	v_cndmask_b32_e32 v3, v3, v12, vcc_lo
	v_xor_b32_e32 v10, s21, v24
	s_delay_alu instid0(VALU_DEP_2) | instskip(NEXT) | instid1(VALU_DEP_2)
	v_xor_b32_e32 v3, v3, v8
	v_xor_b32_e32 v5, v5, v10
	s_delay_alu instid0(VALU_DEP_2) | instskip(NEXT) | instid1(VALU_DEP_2)
	v_sub_co_u32 v19, vcc_lo, v3, v8
	v_sub_co_ci_u32_e32 v20, vcc_lo, v5, v10, vcc_lo
.LBB12_46:                              ;   in Loop: Header=BB12_24 Depth=2
	s_and_not1_saveexec_b32 s0, s14
	s_cbranch_execz .LBB12_48
; %bb.47:                               ;   in Loop: Header=BB12_24 Depth=2
	v_cvt_f32_u32_e32 v3, s51
	s_sub_i32 s14, 0, s51
	v_mov_b32_e32 v20, v2
	s_delay_alu instid0(VALU_DEP_2) | instskip(SKIP_2) | instid1(VALU_DEP_1)
	v_rcp_iflag_f32_e32 v3, v3
	s_waitcnt_depctr 0xfff
	v_mul_f32_e32 v3, 0x4f7ffffe, v3
	v_cvt_u32_f32_e32 v3, v3
	s_delay_alu instid0(VALU_DEP_1) | instskip(NEXT) | instid1(VALU_DEP_1)
	v_mul_lo_u32 v5, s14, v3
	v_mul_hi_u32 v5, v3, v5
	s_delay_alu instid0(VALU_DEP_1) | instskip(NEXT) | instid1(VALU_DEP_1)
	v_add_nc_u32_e32 v3, v3, v5
	v_mul_hi_u32 v3, v17, v3
	s_delay_alu instid0(VALU_DEP_1) | instskip(NEXT) | instid1(VALU_DEP_1)
	v_mul_lo_u32 v5, v3, s51
	v_sub_nc_u32_e32 v5, v17, v5
	s_delay_alu instid0(VALU_DEP_1) | instskip(SKIP_1) | instid1(VALU_DEP_2)
	v_subrev_nc_u32_e32 v10, s51, v5
	v_cmp_le_u32_e32 vcc_lo, s51, v5
	v_dual_cndmask_b32 v5, v5, v10 :: v_dual_add_nc_u32 v8, 1, v3
	s_delay_alu instid0(VALU_DEP_1) | instskip(NEXT) | instid1(VALU_DEP_2)
	v_cndmask_b32_e32 v3, v3, v8, vcc_lo
	v_cmp_le_u32_e32 vcc_lo, s51, v5
	s_delay_alu instid0(VALU_DEP_2) | instskip(NEXT) | instid1(VALU_DEP_1)
	v_add_nc_u32_e32 v8, 1, v3
	v_cndmask_b32_e32 v19, v3, v8, vcc_lo
.LBB12_48:                              ;   in Loop: Header=BB12_24 Depth=2
	s_or_b32 exec_lo, exec_lo, s0
	s_add_u32 s20, s30, s18
	s_addc_u32 s21, s1, s19
	s_add_i32 s14, s16, 1
	s_mov_b32 s17, exec_lo
	s_lshl_b64 s[18:19], s[14:15], 2
                                        ; implicit-def: $vgpr21_vgpr22
	s_delay_alu instid0(SALU_CYCLE_1)
	s_add_u32 s22, s26, s18
	s_addc_u32 s23, s27, s19
	s_clause 0x1
	s_load_b32 s52, s[22:23], 0x0
	s_load_b32 s14, s[20:21], 0x0
	s_waitcnt lgkmcnt(0)
	s_ashr_i32 s0, s52, 31
	s_delay_alu instid0(SALU_CYCLE_1) | instskip(NEXT) | instid1(VALU_DEP_1)
	v_or_b32_e32 v3, s0, v20
	v_cmpx_ne_u64_e32 0, v[2:3]
	s_xor_b32 s17, exec_lo, s17
	s_cbranch_execz .LBB12_50
; %bb.49:                               ;   in Loop: Header=BB12_24 Depth=2
	s_add_u32 s22, s52, s0
	s_mov_b32 s20, s0
	s_mov_b32 s21, s0
	s_addc_u32 s23, s0, s0
	s_delay_alu instid0(SALU_CYCLE_1) | instskip(NEXT) | instid1(SALU_CYCLE_1)
	s_xor_b64 s[22:23], s[22:23], s[20:21]
	v_cvt_f32_u32_e32 v3, s22
	v_cvt_f32_u32_e32 v5, s23
	s_sub_u32 s0, 0, s22
	s_subb_u32 s53, 0, s23
	s_delay_alu instid0(VALU_DEP_1) | instskip(NEXT) | instid1(VALU_DEP_1)
	v_fmac_f32_e32 v3, 0x4f800000, v5
	v_rcp_f32_e32 v3, v3
	s_waitcnt_depctr 0xfff
	v_mul_f32_e32 v3, 0x5f7ffffc, v3
	s_delay_alu instid0(VALU_DEP_1) | instskip(NEXT) | instid1(VALU_DEP_1)
	v_mul_f32_e32 v5, 0x2f800000, v3
	v_trunc_f32_e32 v5, v5
	s_delay_alu instid0(VALU_DEP_1) | instskip(SKIP_1) | instid1(VALU_DEP_2)
	v_fmac_f32_e32 v3, 0xcf800000, v5
	v_cvt_u32_f32_e32 v5, v5
	v_cvt_u32_f32_e32 v3, v3
	s_delay_alu instid0(VALU_DEP_2) | instskip(NEXT) | instid1(VALU_DEP_2)
	v_mul_lo_u32 v8, s0, v5
	v_mul_hi_u32 v10, s0, v3
	v_mul_lo_u32 v12, s53, v3
	s_delay_alu instid0(VALU_DEP_2) | instskip(SKIP_1) | instid1(VALU_DEP_2)
	v_add_nc_u32_e32 v8, v10, v8
	v_mul_lo_u32 v10, s0, v3
	v_add_nc_u32_e32 v8, v8, v12
	s_delay_alu instid0(VALU_DEP_2) | instskip(NEXT) | instid1(VALU_DEP_2)
	v_mul_hi_u32 v12, v3, v10
	v_mul_lo_u32 v14, v3, v8
	v_mul_hi_u32 v16, v3, v8
	v_mul_hi_u32 v18, v5, v10
	v_mul_lo_u32 v10, v5, v10
	v_mul_hi_u32 v21, v5, v8
	v_mul_lo_u32 v8, v5, v8
	v_add_co_u32 v12, vcc_lo, v12, v14
	v_add_co_ci_u32_e32 v14, vcc_lo, 0, v16, vcc_lo
	s_delay_alu instid0(VALU_DEP_2) | instskip(NEXT) | instid1(VALU_DEP_2)
	v_add_co_u32 v10, vcc_lo, v12, v10
	v_add_co_ci_u32_e32 v10, vcc_lo, v14, v18, vcc_lo
	v_add_co_ci_u32_e32 v12, vcc_lo, 0, v21, vcc_lo
	v_ashrrev_i32_e32 v18, 31, v20
	s_delay_alu instid0(VALU_DEP_3) | instskip(NEXT) | instid1(VALU_DEP_3)
	v_add_co_u32 v8, vcc_lo, v10, v8
	v_add_co_ci_u32_e32 v10, vcc_lo, 0, v12, vcc_lo
	s_delay_alu instid0(VALU_DEP_2) | instskip(NEXT) | instid1(VALU_DEP_2)
	v_add_co_u32 v3, vcc_lo, v3, v8
	v_add_co_ci_u32_e32 v5, vcc_lo, v5, v10, vcc_lo
	s_delay_alu instid0(VALU_DEP_2) | instskip(SKIP_1) | instid1(VALU_DEP_3)
	v_mul_hi_u32 v8, s0, v3
	v_mul_lo_u32 v12, s53, v3
	v_mul_lo_u32 v10, s0, v5
	s_delay_alu instid0(VALU_DEP_1) | instskip(SKIP_1) | instid1(VALU_DEP_2)
	v_add_nc_u32_e32 v8, v8, v10
	v_mul_lo_u32 v10, s0, v3
	v_add_nc_u32_e32 v8, v8, v12
	s_delay_alu instid0(VALU_DEP_2) | instskip(NEXT) | instid1(VALU_DEP_2)
	v_mul_hi_u32 v12, v3, v10
	v_mul_lo_u32 v14, v3, v8
	v_mul_hi_u32 v16, v3, v8
	v_mul_hi_u32 v21, v5, v10
	v_mul_lo_u32 v10, v5, v10
	v_mul_hi_u32 v22, v5, v8
	v_mul_lo_u32 v8, v5, v8
	v_add_co_u32 v12, vcc_lo, v12, v14
	v_add_co_ci_u32_e32 v14, vcc_lo, 0, v16, vcc_lo
	s_delay_alu instid0(VALU_DEP_2) | instskip(NEXT) | instid1(VALU_DEP_2)
	v_add_co_u32 v10, vcc_lo, v12, v10
	v_add_co_ci_u32_e32 v10, vcc_lo, v14, v21, vcc_lo
	v_add_co_ci_u32_e32 v12, vcc_lo, 0, v22, vcc_lo
	v_add_co_u32 v14, vcc_lo, v19, v18
	v_add_co_ci_u32_e32 v16, vcc_lo, v20, v18, vcc_lo
	s_delay_alu instid0(VALU_DEP_4) | instskip(NEXT) | instid1(VALU_DEP_4)
	v_add_co_u32 v8, vcc_lo, v10, v8
	v_add_co_ci_u32_e32 v10, vcc_lo, 0, v12, vcc_lo
	s_delay_alu instid0(VALU_DEP_4) | instskip(NEXT) | instid1(VALU_DEP_3)
	v_xor_b32_e32 v12, v14, v18
	v_add_co_u32 v3, vcc_lo, v3, v8
	s_delay_alu instid0(VALU_DEP_3) | instskip(SKIP_1) | instid1(VALU_DEP_3)
	v_add_co_ci_u32_e32 v5, vcc_lo, v5, v10, vcc_lo
	v_xor_b32_e32 v8, v16, v18
	v_mul_hi_u32 v10, v12, v3
	s_delay_alu instid0(VALU_DEP_3) | instskip(NEXT) | instid1(VALU_DEP_3)
	v_mad_u64_u32 v[20:21], null, v12, v5, 0
	v_mad_u64_u32 v[22:23], null, v8, v3, 0
	;; [unrolled: 1-line block ×3, first 2 shown]
	s_delay_alu instid0(VALU_DEP_3) | instskip(NEXT) | instid1(VALU_DEP_4)
	v_add_co_u32 v3, vcc_lo, v10, v20
	v_add_co_ci_u32_e32 v5, vcc_lo, 0, v21, vcc_lo
	s_delay_alu instid0(VALU_DEP_2) | instskip(NEXT) | instid1(VALU_DEP_2)
	v_add_co_u32 v3, vcc_lo, v3, v22
	v_add_co_ci_u32_e32 v3, vcc_lo, v5, v23, vcc_lo
	v_add_co_ci_u32_e32 v5, vcc_lo, 0, v29, vcc_lo
	s_delay_alu instid0(VALU_DEP_2) | instskip(NEXT) | instid1(VALU_DEP_2)
	v_add_co_u32 v3, vcc_lo, v3, v28
	v_add_co_ci_u32_e32 v5, vcc_lo, 0, v5, vcc_lo
	s_delay_alu instid0(VALU_DEP_2) | instskip(SKIP_1) | instid1(VALU_DEP_3)
	v_mul_lo_u32 v10, s23, v3
	v_mad_u64_u32 v[20:21], null, s22, v3, 0
	v_mul_lo_u32 v14, s22, v5
	s_delay_alu instid0(VALU_DEP_2) | instskip(NEXT) | instid1(VALU_DEP_2)
	v_sub_co_u32 v12, vcc_lo, v12, v20
	v_add3_u32 v10, v21, v14, v10
	s_delay_alu instid0(VALU_DEP_1) | instskip(NEXT) | instid1(VALU_DEP_1)
	v_sub_nc_u32_e32 v14, v8, v10
	v_subrev_co_ci_u32_e64 v14, s0, s23, v14, vcc_lo
	v_add_co_u32 v16, s0, v3, 2
	s_delay_alu instid0(VALU_DEP_1) | instskip(SKIP_3) | instid1(VALU_DEP_3)
	v_add_co_ci_u32_e64 v20, s0, 0, v5, s0
	v_sub_co_u32 v21, s0, v12, s22
	v_sub_co_ci_u32_e32 v8, vcc_lo, v8, v10, vcc_lo
	v_subrev_co_ci_u32_e64 v14, s0, 0, v14, s0
	v_cmp_le_u32_e32 vcc_lo, s22, v21
	s_delay_alu instid0(VALU_DEP_3) | instskip(SKIP_1) | instid1(VALU_DEP_4)
	v_cmp_eq_u32_e64 s0, s23, v8
	v_cndmask_b32_e64 v10, 0, -1, vcc_lo
	v_cmp_le_u32_e32 vcc_lo, s23, v14
	v_cndmask_b32_e64 v21, 0, -1, vcc_lo
	v_cmp_le_u32_e32 vcc_lo, s22, v12
	;; [unrolled: 2-line block ×3, first 2 shown]
	v_cndmask_b32_e64 v22, 0, -1, vcc_lo
	v_cmp_eq_u32_e32 vcc_lo, s23, v14
	s_delay_alu instid0(VALU_DEP_2) | instskip(SKIP_3) | instid1(VALU_DEP_3)
	v_cndmask_b32_e64 v8, v22, v12, s0
	v_cndmask_b32_e32 v10, v21, v10, vcc_lo
	v_add_co_u32 v14, vcc_lo, v3, 1
	v_add_co_ci_u32_e32 v21, vcc_lo, 0, v5, vcc_lo
	v_cmp_ne_u32_e32 vcc_lo, 0, v10
	s_delay_alu instid0(VALU_DEP_2) | instskip(NEXT) | instid1(VALU_DEP_4)
	v_cndmask_b32_e32 v10, v21, v20, vcc_lo
	v_cndmask_b32_e32 v12, v14, v16, vcc_lo
	v_cmp_ne_u32_e32 vcc_lo, 0, v8
	v_xor_b32_e32 v8, s20, v18
	s_delay_alu instid0(VALU_DEP_4) | instskip(NEXT) | instid1(VALU_DEP_4)
	v_cndmask_b32_e32 v5, v5, v10, vcc_lo
	v_cndmask_b32_e32 v3, v3, v12, vcc_lo
	v_xor_b32_e32 v10, s21, v18
	s_delay_alu instid0(VALU_DEP_2) | instskip(NEXT) | instid1(VALU_DEP_2)
	v_xor_b32_e32 v3, v3, v8
	v_xor_b32_e32 v5, v5, v10
	s_delay_alu instid0(VALU_DEP_2) | instskip(NEXT) | instid1(VALU_DEP_2)
	v_sub_co_u32 v21, vcc_lo, v3, v8
	v_sub_co_ci_u32_e32 v22, vcc_lo, v5, v10, vcc_lo
.LBB12_50:                              ;   in Loop: Header=BB12_24 Depth=2
	s_and_not1_saveexec_b32 s0, s17
	s_cbranch_execz .LBB12_52
; %bb.51:                               ;   in Loop: Header=BB12_24 Depth=2
	v_cvt_f32_u32_e32 v3, s52
	s_sub_i32 s17, 0, s52
	v_mov_b32_e32 v22, v2
	s_delay_alu instid0(VALU_DEP_2) | instskip(SKIP_2) | instid1(VALU_DEP_1)
	v_rcp_iflag_f32_e32 v3, v3
	s_waitcnt_depctr 0xfff
	v_mul_f32_e32 v3, 0x4f7ffffe, v3
	v_cvt_u32_f32_e32 v3, v3
	s_delay_alu instid0(VALU_DEP_1) | instskip(NEXT) | instid1(VALU_DEP_1)
	v_mul_lo_u32 v5, s17, v3
	v_mul_hi_u32 v5, v3, v5
	s_delay_alu instid0(VALU_DEP_1) | instskip(NEXT) | instid1(VALU_DEP_1)
	v_add_nc_u32_e32 v3, v3, v5
	v_mul_hi_u32 v3, v19, v3
	s_delay_alu instid0(VALU_DEP_1) | instskip(NEXT) | instid1(VALU_DEP_1)
	v_mul_lo_u32 v5, v3, s52
	v_sub_nc_u32_e32 v5, v19, v5
	s_delay_alu instid0(VALU_DEP_1) | instskip(SKIP_1) | instid1(VALU_DEP_2)
	v_subrev_nc_u32_e32 v10, s52, v5
	v_cmp_le_u32_e32 vcc_lo, s52, v5
	v_dual_cndmask_b32 v5, v5, v10 :: v_dual_add_nc_u32 v8, 1, v3
	s_delay_alu instid0(VALU_DEP_1) | instskip(NEXT) | instid1(VALU_DEP_2)
	v_cndmask_b32_e32 v3, v3, v8, vcc_lo
	v_cmp_le_u32_e32 vcc_lo, s52, v5
	s_delay_alu instid0(VALU_DEP_2) | instskip(NEXT) | instid1(VALU_DEP_1)
	v_add_nc_u32_e32 v8, 1, v3
	v_cndmask_b32_e32 v21, v3, v8, vcc_lo
.LBB12_52:                              ;   in Loop: Header=BB12_24 Depth=2
	s_or_b32 exec_lo, exec_lo, s0
	s_mov_b32 s17, s15
	s_add_u32 s20, s30, s18
	s_addc_u32 s21, s1, s19
	s_lshl_b64 s[18:19], s[16:17], 2
                                        ; implicit-def: $vgpr23_vgpr24
	s_delay_alu instid0(SALU_CYCLE_1)
	s_add_u32 s22, s26, s18
	s_addc_u32 s23, s27, s19
	s_clause 0x1
	s_load_b32 s53, s[22:23], 0x0
	s_load_b32 s17, s[20:21], 0x0
	s_mov_b32 s20, exec_lo
	s_waitcnt lgkmcnt(0)
	s_ashr_i32 s0, s53, 31
	s_delay_alu instid0(SALU_CYCLE_1) | instskip(NEXT) | instid1(VALU_DEP_1)
	v_or_b32_e32 v3, s0, v22
	v_cmpx_ne_u64_e32 0, v[2:3]
	s_xor_b32 s54, exec_lo, s20
	s_cbranch_execz .LBB12_54
; %bb.53:                               ;   in Loop: Header=BB12_24 Depth=2
	s_add_u32 s22, s53, s0
	s_mov_b32 s20, s0
	s_mov_b32 s21, s0
	s_addc_u32 s23, s0, s0
	s_delay_alu instid0(SALU_CYCLE_1) | instskip(NEXT) | instid1(SALU_CYCLE_1)
	s_xor_b64 s[22:23], s[22:23], s[20:21]
	v_cvt_f32_u32_e32 v3, s22
	v_cvt_f32_u32_e32 v5, s23
	s_sub_u32 s0, 0, s22
	s_subb_u32 s55, 0, s23
	s_delay_alu instid0(VALU_DEP_1) | instskip(NEXT) | instid1(VALU_DEP_1)
	v_fmac_f32_e32 v3, 0x4f800000, v5
	v_rcp_f32_e32 v3, v3
	s_waitcnt_depctr 0xfff
	v_mul_f32_e32 v3, 0x5f7ffffc, v3
	s_delay_alu instid0(VALU_DEP_1) | instskip(NEXT) | instid1(VALU_DEP_1)
	v_mul_f32_e32 v5, 0x2f800000, v3
	v_trunc_f32_e32 v5, v5
	s_delay_alu instid0(VALU_DEP_1) | instskip(SKIP_1) | instid1(VALU_DEP_2)
	v_fmac_f32_e32 v3, 0xcf800000, v5
	v_cvt_u32_f32_e32 v5, v5
	v_cvt_u32_f32_e32 v3, v3
	s_delay_alu instid0(VALU_DEP_2) | instskip(NEXT) | instid1(VALU_DEP_2)
	v_mul_lo_u32 v8, s0, v5
	v_mul_hi_u32 v10, s0, v3
	v_mul_lo_u32 v12, s55, v3
	s_delay_alu instid0(VALU_DEP_2) | instskip(SKIP_1) | instid1(VALU_DEP_2)
	v_add_nc_u32_e32 v8, v10, v8
	v_mul_lo_u32 v10, s0, v3
	v_add_nc_u32_e32 v8, v8, v12
	s_delay_alu instid0(VALU_DEP_2) | instskip(NEXT) | instid1(VALU_DEP_2)
	v_mul_hi_u32 v12, v3, v10
	v_mul_lo_u32 v14, v3, v8
	v_mul_hi_u32 v16, v3, v8
	v_mul_hi_u32 v18, v5, v10
	v_mul_lo_u32 v10, v5, v10
	v_mul_hi_u32 v20, v5, v8
	v_mul_lo_u32 v8, v5, v8
	v_add_co_u32 v12, vcc_lo, v12, v14
	v_add_co_ci_u32_e32 v14, vcc_lo, 0, v16, vcc_lo
	s_delay_alu instid0(VALU_DEP_2) | instskip(NEXT) | instid1(VALU_DEP_2)
	v_add_co_u32 v10, vcc_lo, v12, v10
	v_add_co_ci_u32_e32 v10, vcc_lo, v14, v18, vcc_lo
	v_add_co_ci_u32_e32 v12, vcc_lo, 0, v20, vcc_lo
	v_ashrrev_i32_e32 v18, 31, v22
	s_delay_alu instid0(VALU_DEP_3) | instskip(NEXT) | instid1(VALU_DEP_3)
	v_add_co_u32 v8, vcc_lo, v10, v8
	v_add_co_ci_u32_e32 v10, vcc_lo, 0, v12, vcc_lo
	s_delay_alu instid0(VALU_DEP_2) | instskip(NEXT) | instid1(VALU_DEP_2)
	v_add_co_u32 v3, vcc_lo, v3, v8
	v_add_co_ci_u32_e32 v5, vcc_lo, v5, v10, vcc_lo
	s_delay_alu instid0(VALU_DEP_2) | instskip(SKIP_1) | instid1(VALU_DEP_3)
	v_mul_hi_u32 v8, s0, v3
	v_mul_lo_u32 v12, s55, v3
	v_mul_lo_u32 v10, s0, v5
	s_delay_alu instid0(VALU_DEP_1) | instskip(SKIP_1) | instid1(VALU_DEP_2)
	v_add_nc_u32_e32 v8, v8, v10
	v_mul_lo_u32 v10, s0, v3
	v_add_nc_u32_e32 v8, v8, v12
	s_delay_alu instid0(VALU_DEP_2) | instskip(NEXT) | instid1(VALU_DEP_2)
	v_mul_hi_u32 v12, v3, v10
	v_mul_lo_u32 v14, v3, v8
	v_mul_hi_u32 v16, v3, v8
	v_mul_hi_u32 v20, v5, v10
	v_mul_lo_u32 v10, v5, v10
	v_mul_hi_u32 v23, v5, v8
	v_mul_lo_u32 v8, v5, v8
	v_add_co_u32 v12, vcc_lo, v12, v14
	v_add_co_ci_u32_e32 v14, vcc_lo, 0, v16, vcc_lo
	s_delay_alu instid0(VALU_DEP_2) | instskip(NEXT) | instid1(VALU_DEP_2)
	v_add_co_u32 v10, vcc_lo, v12, v10
	v_add_co_ci_u32_e32 v10, vcc_lo, v14, v20, vcc_lo
	v_add_co_ci_u32_e32 v12, vcc_lo, 0, v23, vcc_lo
	v_add_co_u32 v14, vcc_lo, v21, v18
	v_add_co_ci_u32_e32 v16, vcc_lo, v22, v18, vcc_lo
	s_delay_alu instid0(VALU_DEP_4) | instskip(NEXT) | instid1(VALU_DEP_4)
	v_add_co_u32 v8, vcc_lo, v10, v8
	v_add_co_ci_u32_e32 v10, vcc_lo, 0, v12, vcc_lo
	s_delay_alu instid0(VALU_DEP_4) | instskip(NEXT) | instid1(VALU_DEP_3)
	v_xor_b32_e32 v12, v14, v18
	v_add_co_u32 v3, vcc_lo, v3, v8
	s_delay_alu instid0(VALU_DEP_3) | instskip(SKIP_1) | instid1(VALU_DEP_3)
	v_add_co_ci_u32_e32 v5, vcc_lo, v5, v10, vcc_lo
	v_xor_b32_e32 v8, v16, v18
	v_mul_hi_u32 v10, v12, v3
	s_delay_alu instid0(VALU_DEP_3) | instskip(NEXT) | instid1(VALU_DEP_3)
	v_mad_u64_u32 v[22:23], null, v12, v5, 0
	v_mad_u64_u32 v[28:29], null, v8, v3, 0
	;; [unrolled: 1-line block ×3, first 2 shown]
	s_delay_alu instid0(VALU_DEP_3) | instskip(NEXT) | instid1(VALU_DEP_4)
	v_add_co_u32 v3, vcc_lo, v10, v22
	v_add_co_ci_u32_e32 v5, vcc_lo, 0, v23, vcc_lo
	s_delay_alu instid0(VALU_DEP_2) | instskip(NEXT) | instid1(VALU_DEP_2)
	v_add_co_u32 v3, vcc_lo, v3, v28
	v_add_co_ci_u32_e32 v3, vcc_lo, v5, v29, vcc_lo
	v_add_co_ci_u32_e32 v5, vcc_lo, 0, v31, vcc_lo
	s_delay_alu instid0(VALU_DEP_2) | instskip(NEXT) | instid1(VALU_DEP_2)
	v_add_co_u32 v3, vcc_lo, v3, v30
	v_add_co_ci_u32_e32 v5, vcc_lo, 0, v5, vcc_lo
	s_delay_alu instid0(VALU_DEP_2) | instskip(SKIP_1) | instid1(VALU_DEP_3)
	v_mul_lo_u32 v10, s23, v3
	v_mad_u64_u32 v[22:23], null, s22, v3, 0
	v_mul_lo_u32 v14, s22, v5
	s_delay_alu instid0(VALU_DEP_2) | instskip(NEXT) | instid1(VALU_DEP_2)
	v_sub_co_u32 v12, vcc_lo, v12, v22
	v_add3_u32 v10, v23, v14, v10
	s_delay_alu instid0(VALU_DEP_1) | instskip(NEXT) | instid1(VALU_DEP_1)
	v_sub_nc_u32_e32 v14, v8, v10
	v_subrev_co_ci_u32_e64 v14, s0, s23, v14, vcc_lo
	v_add_co_u32 v16, s0, v3, 2
	s_delay_alu instid0(VALU_DEP_1) | instskip(SKIP_3) | instid1(VALU_DEP_3)
	v_add_co_ci_u32_e64 v20, s0, 0, v5, s0
	v_sub_co_u32 v22, s0, v12, s22
	v_sub_co_ci_u32_e32 v8, vcc_lo, v8, v10, vcc_lo
	v_subrev_co_ci_u32_e64 v14, s0, 0, v14, s0
	v_cmp_le_u32_e32 vcc_lo, s22, v22
	s_delay_alu instid0(VALU_DEP_3) | instskip(SKIP_1) | instid1(VALU_DEP_4)
	v_cmp_eq_u32_e64 s0, s23, v8
	v_cndmask_b32_e64 v10, 0, -1, vcc_lo
	v_cmp_le_u32_e32 vcc_lo, s23, v14
	v_cndmask_b32_e64 v22, 0, -1, vcc_lo
	v_cmp_le_u32_e32 vcc_lo, s22, v12
	;; [unrolled: 2-line block ×3, first 2 shown]
	v_cndmask_b32_e64 v23, 0, -1, vcc_lo
	v_cmp_eq_u32_e32 vcc_lo, s23, v14
	s_delay_alu instid0(VALU_DEP_2) | instskip(SKIP_3) | instid1(VALU_DEP_3)
	v_cndmask_b32_e64 v8, v23, v12, s0
	v_cndmask_b32_e32 v10, v22, v10, vcc_lo
	v_add_co_u32 v14, vcc_lo, v3, 1
	v_add_co_ci_u32_e32 v22, vcc_lo, 0, v5, vcc_lo
	v_cmp_ne_u32_e32 vcc_lo, 0, v10
	s_delay_alu instid0(VALU_DEP_2) | instskip(NEXT) | instid1(VALU_DEP_4)
	v_cndmask_b32_e32 v10, v22, v20, vcc_lo
	v_cndmask_b32_e32 v12, v14, v16, vcc_lo
	v_cmp_ne_u32_e32 vcc_lo, 0, v8
	v_xor_b32_e32 v8, s20, v18
	s_delay_alu instid0(VALU_DEP_4) | instskip(NEXT) | instid1(VALU_DEP_4)
	v_cndmask_b32_e32 v5, v5, v10, vcc_lo
	v_cndmask_b32_e32 v3, v3, v12, vcc_lo
	v_xor_b32_e32 v10, s21, v18
	s_delay_alu instid0(VALU_DEP_2) | instskip(NEXT) | instid1(VALU_DEP_2)
	v_xor_b32_e32 v3, v3, v8
	v_xor_b32_e32 v5, v5, v10
	s_delay_alu instid0(VALU_DEP_2) | instskip(NEXT) | instid1(VALU_DEP_2)
	v_sub_co_u32 v23, vcc_lo, v3, v8
	v_sub_co_ci_u32_e32 v24, vcc_lo, v5, v10, vcc_lo
.LBB12_54:                              ;   in Loop: Header=BB12_24 Depth=2
	s_and_not1_saveexec_b32 s0, s54
	s_cbranch_execz .LBB12_56
; %bb.55:                               ;   in Loop: Header=BB12_24 Depth=2
	v_cvt_f32_u32_e32 v3, s53
	s_sub_i32 s20, 0, s53
	v_mov_b32_e32 v24, v2
	s_delay_alu instid0(VALU_DEP_2) | instskip(SKIP_2) | instid1(VALU_DEP_1)
	v_rcp_iflag_f32_e32 v3, v3
	s_waitcnt_depctr 0xfff
	v_mul_f32_e32 v3, 0x4f7ffffe, v3
	v_cvt_u32_f32_e32 v3, v3
	s_delay_alu instid0(VALU_DEP_1) | instskip(NEXT) | instid1(VALU_DEP_1)
	v_mul_lo_u32 v5, s20, v3
	v_mul_hi_u32 v5, v3, v5
	s_delay_alu instid0(VALU_DEP_1) | instskip(NEXT) | instid1(VALU_DEP_1)
	v_add_nc_u32_e32 v3, v3, v5
	v_mul_hi_u32 v3, v21, v3
	s_delay_alu instid0(VALU_DEP_1) | instskip(NEXT) | instid1(VALU_DEP_1)
	v_mul_lo_u32 v5, v3, s53
	v_sub_nc_u32_e32 v5, v21, v5
	s_delay_alu instid0(VALU_DEP_1) | instskip(SKIP_1) | instid1(VALU_DEP_2)
	v_subrev_nc_u32_e32 v10, s53, v5
	v_cmp_le_u32_e32 vcc_lo, s53, v5
	v_dual_cndmask_b32 v5, v5, v10 :: v_dual_add_nc_u32 v8, 1, v3
	s_delay_alu instid0(VALU_DEP_1) | instskip(NEXT) | instid1(VALU_DEP_2)
	v_cndmask_b32_e32 v3, v3, v8, vcc_lo
	v_cmp_le_u32_e32 vcc_lo, s53, v5
	s_delay_alu instid0(VALU_DEP_2) | instskip(NEXT) | instid1(VALU_DEP_1)
	v_add_nc_u32_e32 v8, 1, v3
	v_cndmask_b32_e32 v23, v3, v8, vcc_lo
.LBB12_56:                              ;   in Loop: Header=BB12_24 Depth=2
	s_or_b32 exec_lo, exec_lo, s0
	v_mul_lo_u32 v3, v9, s41
	v_mul_lo_u32 v5, v11, s43
	v_mul_lo_u32 v8, v13, s45
	v_mul_lo_u32 v10, v15, s47
	s_add_u32 s18, s30, s18
	s_addc_u32 s19, s1, s19
	v_mul_lo_u32 v12, v17, s49
	s_load_b32 s0, s[18:19], 0x0
	v_sub_nc_u32_e32 v3, v7, v3
	v_sub_nc_u32_e32 v5, v9, v5
	v_mul_lo_u32 v7, v19, s51
	v_sub_nc_u32_e32 v8, v11, v8
	v_sub_nc_u32_e32 v10, v13, v10
	v_mul_lo_u32 v3, s42, v3
	v_mul_lo_u32 v5, s44, v5
	;; [unrolled: 1-line block ×4, first 2 shown]
	v_sub_nc_u32_e32 v12, v15, v12
	v_sub_nc_u32_e32 v7, v17, v7
	v_mul_lo_u32 v8, s46, v8
	v_mul_lo_u32 v10, s48, v10
	s_add_i32 s16, s16, -8
	v_add3_u32 v3, v3, v4, v5
	v_mul_lo_u32 v4, s50, v12
	v_sub_nc_u32_e32 v5, v19, v9
	v_sub_nc_u32_e32 v9, v21, v11
	v_mul_lo_u32 v7, s14, v7
	s_cmp_eq_u32 s16, -8
	v_add3_u32 v3, v8, v3, v10
	v_mul_lo_u32 v5, s17, v5
	s_waitcnt lgkmcnt(0)
	v_mul_lo_u32 v8, s0, v9
	s_delay_alu instid0(VALU_DEP_3) | instskip(NEXT) | instid1(VALU_DEP_1)
	v_add3_u32 v3, v4, v3, v7
	v_add3_u32 v4, v5, v3, v8
	s_cbranch_scc1 .LBB12_58
; %bb.57:                               ;   in Loop: Header=BB12_24 Depth=2
	v_dual_mov_b32 v7, v23 :: v_dual_mov_b32 v8, v24
	s_branch .LBB12_24
.LBB12_58:                              ;   in Loop: Header=BB12_3 Depth=1
	s_load_b32 s0, s[12:13], 0x0
	s_waitcnt lgkmcnt(0)
	v_cmp_gt_i32_e32 vcc_lo, s0, v27
	s_and_b32 exec_lo, exec_lo, vcc_lo
	s_cbranch_execz .LBB12_2
; %bb.59:                               ;   in Loop: Header=BB12_3 Depth=1
	v_ashrrev_i32_e32 v7, 31, v6
	s_mov_b32 s14, exec_lo
	s_delay_alu instid0(VALU_DEP_1)
	v_cmpx_lt_i64_e64 s[4:5], v[6:7]
	s_cbranch_execz .LBB12_61
; %bb.60:                               ;   in Loop: Header=BB12_3 Depth=1
	v_ashrrev_i32_e32 v5, 31, v4
	v_mov_b32_e32 v3, v2
	s_delay_alu instid0(VALU_DEP_2) | instskip(NEXT) | instid1(VALU_DEP_1)
	v_lshlrev_b64 v[5:6], 3, v[4:5]
	v_add_co_u32 v5, vcc_lo, s2, v5
	s_delay_alu instid0(VALU_DEP_2)
	v_add_co_ci_u32_e32 v6, vcc_lo, s3, v6, vcc_lo
	global_store_b64 v[5:6], v[2:3], off
.LBB12_61:                              ;   in Loop: Header=BB12_3 Depth=1
	s_or_b32 exec_lo, exec_lo, s14
	v_add_nc_u32_e32 v3, 1, v27
	s_delay_alu instid0(VALU_DEP_1)
	v_cmp_gt_i32_e32 vcc_lo, s0, v3
	s_and_b32 exec_lo, exec_lo, vcc_lo
	s_cbranch_execz .LBB12_2
; %bb.62:                               ;   in Loop: Header=BB12_3 Depth=1
	v_sub_nc_u32_e32 v5, v3, v26
	s_delay_alu instid0(VALU_DEP_1) | instskip(NEXT) | instid1(VALU_DEP_1)
	v_ashrrev_i32_e32 v6, 31, v5
	v_cmp_lt_i64_e32 vcc_lo, s[4:5], v[5:6]
	s_and_b32 exec_lo, exec_lo, vcc_lo
	s_cbranch_execz .LBB12_2
; %bb.63:                               ;   in Loop: Header=BB12_3 Depth=1
	v_add_nc_u32_e32 v3, s40, v4
	s_delay_alu instid0(VALU_DEP_1) | instskip(NEXT) | instid1(VALU_DEP_1)
	v_ashrrev_i32_e32 v4, 31, v3
	v_lshlrev_b64 v[3:4], 3, v[3:4]
	s_delay_alu instid0(VALU_DEP_1) | instskip(NEXT) | instid1(VALU_DEP_2)
	v_add_co_u32 v5, vcc_lo, s2, v3
	v_add_co_ci_u32_e32 v6, vcc_lo, s3, v4, vcc_lo
	v_mov_b32_e32 v3, v2
	global_store_b64 v[5:6], v[2:3], off
	s_branch .LBB12_2
.LBB12_64:
	s_nop 0
	s_sendmsg sendmsg(MSG_DEALLOC_VGPRS)
	s_endpgm
	.section	.rodata,"a",@progbits
	.p2align	6, 0x0
	.amdhsa_kernel _ZN2at6native16triu_tril_kernelIliLb0ELi2ELb1EEEvNS_4cuda6detail10TensorInfoIT_T0_EENS4_IKS5_S6_EEllS6_
		.amdhsa_group_segment_fixed_size 0
		.amdhsa_private_segment_fixed_size 0
		.amdhsa_kernarg_size 712
		.amdhsa_user_sgpr_count 15
		.amdhsa_user_sgpr_dispatch_ptr 0
		.amdhsa_user_sgpr_queue_ptr 0
		.amdhsa_user_sgpr_kernarg_segment_ptr 1
		.amdhsa_user_sgpr_dispatch_id 0
		.amdhsa_user_sgpr_private_segment_size 0
		.amdhsa_wavefront_size32 1
		.amdhsa_uses_dynamic_stack 0
		.amdhsa_enable_private_segment 0
		.amdhsa_system_sgpr_workgroup_id_x 1
		.amdhsa_system_sgpr_workgroup_id_y 0
		.amdhsa_system_sgpr_workgroup_id_z 0
		.amdhsa_system_sgpr_workgroup_info 0
		.amdhsa_system_vgpr_workitem_id 0
		.amdhsa_next_free_vgpr 32
		.amdhsa_next_free_sgpr 56
		.amdhsa_reserve_vcc 1
		.amdhsa_float_round_mode_32 0
		.amdhsa_float_round_mode_16_64 0
		.amdhsa_float_denorm_mode_32 3
		.amdhsa_float_denorm_mode_16_64 3
		.amdhsa_dx10_clamp 1
		.amdhsa_ieee_mode 1
		.amdhsa_fp16_overflow 0
		.amdhsa_workgroup_processor_mode 1
		.amdhsa_memory_ordered 1
		.amdhsa_forward_progress 0
		.amdhsa_shared_vgpr_count 0
		.amdhsa_exception_fp_ieee_invalid_op 0
		.amdhsa_exception_fp_denorm_src 0
		.amdhsa_exception_fp_ieee_div_zero 0
		.amdhsa_exception_fp_ieee_overflow 0
		.amdhsa_exception_fp_ieee_underflow 0
		.amdhsa_exception_fp_ieee_inexact 0
		.amdhsa_exception_int_div_zero 0
	.end_amdhsa_kernel
	.section	.text._ZN2at6native16triu_tril_kernelIliLb0ELi2ELb1EEEvNS_4cuda6detail10TensorInfoIT_T0_EENS4_IKS5_S6_EEllS6_,"axG",@progbits,_ZN2at6native16triu_tril_kernelIliLb0ELi2ELb1EEEvNS_4cuda6detail10TensorInfoIT_T0_EENS4_IKS5_S6_EEllS6_,comdat
.Lfunc_end12:
	.size	_ZN2at6native16triu_tril_kernelIliLb0ELi2ELb1EEEvNS_4cuda6detail10TensorInfoIT_T0_EENS4_IKS5_S6_EEllS6_, .Lfunc_end12-_ZN2at6native16triu_tril_kernelIliLb0ELi2ELb1EEEvNS_4cuda6detail10TensorInfoIT_T0_EENS4_IKS5_S6_EEllS6_
                                        ; -- End function
	.section	.AMDGPU.csdata,"",@progbits
; Kernel info:
; codeLenInByte = 12424
; NumSgprs: 58
; NumVgprs: 32
; ScratchSize: 0
; MemoryBound: 0
; FloatMode: 240
; IeeeMode: 1
; LDSByteSize: 0 bytes/workgroup (compile time only)
; SGPRBlocks: 7
; VGPRBlocks: 3
; NumSGPRsForWavesPerEU: 58
; NumVGPRsForWavesPerEU: 32
; Occupancy: 16
; WaveLimiterHint : 0
; COMPUTE_PGM_RSRC2:SCRATCH_EN: 0
; COMPUTE_PGM_RSRC2:USER_SGPR: 15
; COMPUTE_PGM_RSRC2:TRAP_HANDLER: 0
; COMPUTE_PGM_RSRC2:TGID_X_EN: 1
; COMPUTE_PGM_RSRC2:TGID_Y_EN: 0
; COMPUTE_PGM_RSRC2:TGID_Z_EN: 0
; COMPUTE_PGM_RSRC2:TIDIG_COMP_CNT: 0
	.section	.text._ZN2at6native16triu_tril_kernelIliLb0ELi2ELb0EEEvNS_4cuda6detail10TensorInfoIT_T0_EENS4_IKS5_S6_EEllS6_,"axG",@progbits,_ZN2at6native16triu_tril_kernelIliLb0ELi2ELb0EEEvNS_4cuda6detail10TensorInfoIT_T0_EENS4_IKS5_S6_EEllS6_,comdat
	.protected	_ZN2at6native16triu_tril_kernelIliLb0ELi2ELb0EEEvNS_4cuda6detail10TensorInfoIT_T0_EENS4_IKS5_S6_EEllS6_ ; -- Begin function _ZN2at6native16triu_tril_kernelIliLb0ELi2ELb0EEEvNS_4cuda6detail10TensorInfoIT_T0_EENS4_IKS5_S6_EEllS6_
	.globl	_ZN2at6native16triu_tril_kernelIliLb0ELi2ELb0EEEvNS_4cuda6detail10TensorInfoIT_T0_EENS4_IKS5_S6_EEllS6_
	.p2align	8
	.type	_ZN2at6native16triu_tril_kernelIliLb0ELi2ELb0EEEvNS_4cuda6detail10TensorInfoIT_T0_EENS4_IKS5_S6_EEllS6_,@function
_ZN2at6native16triu_tril_kernelIliLb0ELi2ELb0EEEvNS_4cuda6detail10TensorInfoIT_T0_EENS4_IKS5_S6_EEllS6_: ; @_ZN2at6native16triu_tril_kernelIliLb0ELi2ELb0EEEvNS_4cuda6detail10TensorInfoIT_T0_EENS4_IKS5_S6_EEllS6_
; %bb.0:
	s_clause 0x1
	s_load_b32 s2, s[0:1], 0x1d4
	s_load_b128 s[4:7], s[0:1], 0x1b0
	v_mov_b32_e32 v2, 0
	s_add_u32 s8, s0, 0x1c8
	s_addc_u32 s9, s1, 0
	s_delay_alu instid0(VALU_DEP_1) | instskip(SKIP_3) | instid1(VALU_DEP_1)
	v_mov_b32_e32 v1, v2
	s_waitcnt lgkmcnt(0)
	s_and_b32 s10, s2, 0xffff
	s_mov_b32 s2, exec_lo
	v_mad_u64_u32 v[3:4], null, s10, s15, v[0:1]
	s_delay_alu instid0(VALU_DEP_1) | instskip(NEXT) | instid1(VALU_DEP_1)
	v_lshlrev_b64 v[0:1], 1, v[3:4]
	v_cmpx_gt_i64_e64 s[6:7], v[0:1]
	s_cbranch_execz .LBB13_49
; %bb.1:
	s_clause 0x1
	s_load_b32 s16, s[0:1], 0x1a8
	s_load_b32 s30, s[0:1], 0x1c0
	s_add_u32 s31, s0, 0xd8
	s_addc_u32 s33, s1, 0
	s_load_b32 s11, s[8:9], 0x0
	s_load_b64 s[2:3], s[0:1], 0xd8
	s_waitcnt lgkmcnt(0)
	s_ashr_i32 s17, s16, 31
	s_ashr_i32 s34, s30, 31
	s_lshl_b64 s[8:9], s[16:17], 2
	v_cvt_f32_u32_e32 v3, s30
	s_add_u32 s14, s8, -8
	s_addc_u32 s15, s9, -1
	s_add_u32 s12, s31, s14
	s_addc_u32 s13, s33, s15
	v_rcp_iflag_f32_e32 v3, v3
	s_load_b64 s[8:9], s[12:13], 0x8
	s_mul_i32 s18, s11, s10
	s_load_b64 s[10:11], s[12:13], 0x6c
	s_waitcnt_depctr 0xfff
	v_mul_f32_e32 v3, 0x4f7ffffe, v3
	s_delay_alu instid0(VALU_DEP_1)
	v_cvt_u32_f32_e32 v3, v3
	s_waitcnt lgkmcnt(0)
	s_ashr_i32 s35, s8, 31
	s_add_u32 s36, s0, 0x6c
	s_addc_u32 s37, s1, 0
	s_add_u32 s12, s36, s14
	s_addc_u32 s13, s37, s15
	s_and_b32 s39, s16, 3
	s_add_i32 s38, s16, -3
	s_lshl_b32 s40, s18, 1
	s_cmp_lg_u32 s39, 2
	s_load_b64 s[12:13], s[12:13], 0x0
	s_cselect_b32 s41, -1, 0
	s_cmp_gt_u32 s38, 2
	s_mov_b32 s18, s11
	s_cselect_b32 s42, -1, 0
	s_sub_i32 s14, 0, s30
	s_ashr_i32 s19, s11, 31
	v_mul_lo_u32 v4, s14, v3
	s_load_b64 s[14:15], s[0:1], 0x0
	v_cmp_gt_i64_e64 s1, s[16:17], 2
	s_mov_b32 s17, 0
	s_mov_b32 s11, 0
	s_delay_alu instid0(VALU_DEP_2) | instskip(SKIP_3) | instid1(VALU_DEP_1)
	v_mul_hi_u32 v4, v3, v4
	s_waitcnt lgkmcnt(0)
	s_ashr_i32 s21, s13, 31
	s_mov_b32 s20, s13
	v_add_nc_u32_e32 v18, v3, v4
	s_branch .LBB13_3
.LBB13_2:                               ;   in Loop: Header=BB13_3 Depth=1
	s_or_b32 exec_lo, exec_lo, s0
	v_add_co_u32 v0, vcc_lo, v0, s40
	v_add_co_ci_u32_e32 v1, vcc_lo, 0, v1, vcc_lo
	s_delay_alu instid0(VALU_DEP_1) | instskip(SKIP_1) | instid1(SALU_CYCLE_1)
	v_cmp_le_i64_e32 vcc_lo, s[6:7], v[0:1]
	s_or_b32 s11, vcc_lo, s11
	s_and_not1_b32 exec_lo, exec_lo, s11
	s_cbranch_execz .LBB13_49
.LBB13_3:                               ; =>This Loop Header: Depth=1
                                        ;     Child Loop BB13_14 Depth 2
                                        ;     Child Loop BB13_22 Depth 2
	v_or_b32_e32 v3, s34, v1
                                        ; implicit-def: $vgpr4_vgpr5
	s_mov_b32 s0, exec_lo
	s_delay_alu instid0(VALU_DEP_1)
	v_cmpx_ne_u64_e32 0, v[2:3]
	s_xor_b32 s13, exec_lo, s0
	s_cbranch_execz .LBB13_5
; %bb.4:                                ;   in Loop: Header=BB13_3 Depth=1
	s_add_u32 s24, s30, s34
	s_mov_b32 s22, s34
	s_mov_b32 s23, s34
	s_addc_u32 s25, s34, s34
	s_delay_alu instid0(SALU_CYCLE_1) | instskip(NEXT) | instid1(SALU_CYCLE_1)
	s_xor_b64 s[24:25], s[24:25], s[22:23]
	v_cvt_f32_u32_e32 v3, s24
	v_cvt_f32_u32_e32 v4, s25
	s_sub_u32 s0, 0, s24
	s_subb_u32 s16, 0, s25
	s_delay_alu instid0(VALU_DEP_1) | instskip(NEXT) | instid1(VALU_DEP_1)
	v_fmac_f32_e32 v3, 0x4f800000, v4
	v_rcp_f32_e32 v3, v3
	s_waitcnt_depctr 0xfff
	v_mul_f32_e32 v3, 0x5f7ffffc, v3
	s_delay_alu instid0(VALU_DEP_1) | instskip(NEXT) | instid1(VALU_DEP_1)
	v_mul_f32_e32 v4, 0x2f800000, v3
	v_trunc_f32_e32 v4, v4
	s_delay_alu instid0(VALU_DEP_1) | instskip(SKIP_1) | instid1(VALU_DEP_2)
	v_fmac_f32_e32 v3, 0xcf800000, v4
	v_cvt_u32_f32_e32 v4, v4
	v_cvt_u32_f32_e32 v3, v3
	s_delay_alu instid0(VALU_DEP_2) | instskip(NEXT) | instid1(VALU_DEP_2)
	v_mul_lo_u32 v5, s0, v4
	v_mul_hi_u32 v6, s0, v3
	v_mul_lo_u32 v7, s16, v3
	s_delay_alu instid0(VALU_DEP_2) | instskip(SKIP_1) | instid1(VALU_DEP_2)
	v_add_nc_u32_e32 v5, v6, v5
	v_mul_lo_u32 v6, s0, v3
	v_add_nc_u32_e32 v5, v5, v7
	s_delay_alu instid0(VALU_DEP_2) | instskip(NEXT) | instid1(VALU_DEP_2)
	v_mul_hi_u32 v7, v3, v6
	v_mul_lo_u32 v8, v3, v5
	v_mul_hi_u32 v9, v3, v5
	v_mul_hi_u32 v10, v4, v6
	v_mul_lo_u32 v6, v4, v6
	v_mul_hi_u32 v11, v4, v5
	v_mul_lo_u32 v5, v4, v5
	v_add_co_u32 v7, vcc_lo, v7, v8
	v_add_co_ci_u32_e32 v8, vcc_lo, 0, v9, vcc_lo
	s_delay_alu instid0(VALU_DEP_2) | instskip(NEXT) | instid1(VALU_DEP_2)
	v_add_co_u32 v6, vcc_lo, v7, v6
	v_add_co_ci_u32_e32 v6, vcc_lo, v8, v10, vcc_lo
	v_add_co_ci_u32_e32 v7, vcc_lo, 0, v11, vcc_lo
	v_ashrrev_i32_e32 v10, 31, v1
	s_delay_alu instid0(VALU_DEP_3) | instskip(NEXT) | instid1(VALU_DEP_3)
	v_add_co_u32 v5, vcc_lo, v6, v5
	v_add_co_ci_u32_e32 v6, vcc_lo, 0, v7, vcc_lo
	s_delay_alu instid0(VALU_DEP_2) | instskip(NEXT) | instid1(VALU_DEP_2)
	v_add_co_u32 v3, vcc_lo, v3, v5
	v_add_co_ci_u32_e32 v4, vcc_lo, v4, v6, vcc_lo
	s_delay_alu instid0(VALU_DEP_2) | instskip(SKIP_1) | instid1(VALU_DEP_3)
	v_mul_hi_u32 v5, s0, v3
	v_mul_lo_u32 v7, s16, v3
	v_mul_lo_u32 v6, s0, v4
	s_delay_alu instid0(VALU_DEP_1) | instskip(SKIP_1) | instid1(VALU_DEP_2)
	v_add_nc_u32_e32 v5, v5, v6
	v_mul_lo_u32 v6, s0, v3
	v_add_nc_u32_e32 v5, v5, v7
	s_delay_alu instid0(VALU_DEP_2) | instskip(NEXT) | instid1(VALU_DEP_2)
	v_mul_hi_u32 v7, v3, v6
	v_mul_lo_u32 v8, v3, v5
	v_mul_hi_u32 v9, v3, v5
	v_mul_hi_u32 v11, v4, v6
	v_mul_lo_u32 v6, v4, v6
	v_mul_hi_u32 v12, v4, v5
	v_mul_lo_u32 v5, v4, v5
	v_add_co_u32 v7, vcc_lo, v7, v8
	v_add_co_ci_u32_e32 v8, vcc_lo, 0, v9, vcc_lo
	s_delay_alu instid0(VALU_DEP_2) | instskip(NEXT) | instid1(VALU_DEP_2)
	v_add_co_u32 v6, vcc_lo, v7, v6
	v_add_co_ci_u32_e32 v6, vcc_lo, v8, v11, vcc_lo
	v_add_co_ci_u32_e32 v7, vcc_lo, 0, v12, vcc_lo
	v_add_co_u32 v8, vcc_lo, v0, v10
	v_add_co_ci_u32_e32 v9, vcc_lo, v1, v10, vcc_lo
	s_delay_alu instid0(VALU_DEP_4) | instskip(NEXT) | instid1(VALU_DEP_4)
	v_add_co_u32 v5, vcc_lo, v6, v5
	v_add_co_ci_u32_e32 v6, vcc_lo, 0, v7, vcc_lo
	s_delay_alu instid0(VALU_DEP_4) | instskip(NEXT) | instid1(VALU_DEP_3)
	v_xor_b32_e32 v11, v8, v10
	v_add_co_u32 v7, vcc_lo, v3, v5
	s_delay_alu instid0(VALU_DEP_3) | instskip(SKIP_1) | instid1(VALU_DEP_3)
	v_add_co_ci_u32_e32 v12, vcc_lo, v4, v6, vcc_lo
	v_xor_b32_e32 v9, v9, v10
	v_mul_hi_u32 v13, v11, v7
	s_delay_alu instid0(VALU_DEP_3) | instskip(NEXT) | instid1(VALU_DEP_3)
	v_mad_u64_u32 v[3:4], null, v11, v12, 0
	v_mad_u64_u32 v[5:6], null, v9, v7, 0
	;; [unrolled: 1-line block ×3, first 2 shown]
	s_delay_alu instid0(VALU_DEP_3) | instskip(NEXT) | instid1(VALU_DEP_4)
	v_add_co_u32 v3, vcc_lo, v13, v3
	v_add_co_ci_u32_e32 v4, vcc_lo, 0, v4, vcc_lo
	s_delay_alu instid0(VALU_DEP_2) | instskip(NEXT) | instid1(VALU_DEP_2)
	v_add_co_u32 v3, vcc_lo, v3, v5
	v_add_co_ci_u32_e32 v3, vcc_lo, v4, v6, vcc_lo
	v_add_co_ci_u32_e32 v4, vcc_lo, 0, v8, vcc_lo
	s_delay_alu instid0(VALU_DEP_2) | instskip(NEXT) | instid1(VALU_DEP_2)
	v_add_co_u32 v5, vcc_lo, v3, v7
	v_add_co_ci_u32_e32 v6, vcc_lo, 0, v4, vcc_lo
	s_delay_alu instid0(VALU_DEP_2) | instskip(SKIP_1) | instid1(VALU_DEP_3)
	v_mul_lo_u32 v7, s25, v5
	v_mad_u64_u32 v[3:4], null, s24, v5, 0
	v_mul_lo_u32 v8, s24, v6
	s_delay_alu instid0(VALU_DEP_2) | instskip(NEXT) | instid1(VALU_DEP_2)
	v_sub_co_u32 v3, vcc_lo, v11, v3
	v_add3_u32 v4, v4, v8, v7
	s_delay_alu instid0(VALU_DEP_1) | instskip(NEXT) | instid1(VALU_DEP_1)
	v_sub_nc_u32_e32 v7, v9, v4
	v_subrev_co_ci_u32_e64 v7, s0, s25, v7, vcc_lo
	v_add_co_u32 v8, s0, v5, 2
	s_delay_alu instid0(VALU_DEP_1) | instskip(SKIP_3) | instid1(VALU_DEP_3)
	v_add_co_ci_u32_e64 v11, s0, 0, v6, s0
	v_sub_co_u32 v12, s0, v3, s24
	v_sub_co_ci_u32_e32 v4, vcc_lo, v9, v4, vcc_lo
	v_subrev_co_ci_u32_e64 v7, s0, 0, v7, s0
	v_cmp_le_u32_e32 vcc_lo, s24, v12
	s_delay_alu instid0(VALU_DEP_3) | instskip(SKIP_1) | instid1(VALU_DEP_4)
	v_cmp_eq_u32_e64 s0, s25, v4
	v_cndmask_b32_e64 v9, 0, -1, vcc_lo
	v_cmp_le_u32_e32 vcc_lo, s25, v7
	v_cndmask_b32_e64 v12, 0, -1, vcc_lo
	v_cmp_le_u32_e32 vcc_lo, s24, v3
	;; [unrolled: 2-line block ×3, first 2 shown]
	v_cndmask_b32_e64 v13, 0, -1, vcc_lo
	v_cmp_eq_u32_e32 vcc_lo, s25, v7
	s_delay_alu instid0(VALU_DEP_2) | instskip(SKIP_3) | instid1(VALU_DEP_3)
	v_cndmask_b32_e64 v3, v13, v3, s0
	v_cndmask_b32_e32 v7, v12, v9, vcc_lo
	v_add_co_u32 v9, vcc_lo, v5, 1
	v_add_co_ci_u32_e32 v12, vcc_lo, 0, v6, vcc_lo
	v_cmp_ne_u32_e32 vcc_lo, 0, v7
	s_delay_alu instid0(VALU_DEP_2) | instskip(SKIP_2) | instid1(VALU_DEP_3)
	v_dual_cndmask_b32 v4, v12, v11 :: v_dual_cndmask_b32 v7, v9, v8
	v_cmp_ne_u32_e32 vcc_lo, 0, v3
	v_xor_b32_e32 v3, s22, v10
	v_dual_cndmask_b32 v5, v5, v7 :: v_dual_cndmask_b32 v4, v6, v4
	v_xor_b32_e32 v6, s23, v10
	s_delay_alu instid0(VALU_DEP_2) | instskip(NEXT) | instid1(VALU_DEP_2)
	v_xor_b32_e32 v5, v5, v3
	v_xor_b32_e32 v7, v4, v6
	s_delay_alu instid0(VALU_DEP_2) | instskip(NEXT) | instid1(VALU_DEP_2)
	v_sub_co_u32 v4, vcc_lo, v5, v3
	v_sub_co_ci_u32_e32 v5, vcc_lo, v7, v6, vcc_lo
.LBB13_5:                               ;   in Loop: Header=BB13_3 Depth=1
	s_and_not1_saveexec_b32 s0, s13
; %bb.6:                                ;   in Loop: Header=BB13_3 Depth=1
	v_mul_hi_u32 v3, v0, v18
	s_delay_alu instid0(VALU_DEP_1) | instskip(NEXT) | instid1(VALU_DEP_1)
	v_mul_lo_u32 v4, v3, s30
	v_sub_nc_u32_e32 v4, v0, v4
	s_delay_alu instid0(VALU_DEP_1) | instskip(SKIP_1) | instid1(VALU_DEP_2)
	v_subrev_nc_u32_e32 v6, s30, v4
	v_cmp_le_u32_e32 vcc_lo, s30, v4
	v_dual_cndmask_b32 v4, v4, v6 :: v_dual_add_nc_u32 v5, 1, v3
	s_delay_alu instid0(VALU_DEP_1) | instskip(NEXT) | instid1(VALU_DEP_2)
	v_cndmask_b32_e32 v3, v3, v5, vcc_lo
	v_cmp_le_u32_e32 vcc_lo, s30, v4
	s_delay_alu instid0(VALU_DEP_2) | instskip(NEXT) | instid1(VALU_DEP_1)
	v_add_nc_u32_e32 v5, 1, v3
	v_dual_cndmask_b32 v4, v3, v5 :: v_dual_mov_b32 v5, v2
; %bb.7:                                ;   in Loop: Header=BB13_3 Depth=1
	s_or_b32 exec_lo, exec_lo, s0
	s_delay_alu instid0(VALU_DEP_1) | instskip(SKIP_1) | instid1(VALU_DEP_1)
	v_or_b32_e32 v3, s35, v5
                                        ; implicit-def: $vgpr8_vgpr9
	s_mov_b32 s0, exec_lo
	v_cmpx_ne_u64_e32 0, v[2:3]
	s_xor_b32 s13, exec_lo, s0
	s_cbranch_execz .LBB13_9
; %bb.8:                                ;   in Loop: Header=BB13_3 Depth=1
	s_add_u32 s24, s8, s35
	s_mov_b32 s22, s35
	s_mov_b32 s23, s35
	s_addc_u32 s25, s35, s35
	s_delay_alu instid0(SALU_CYCLE_1) | instskip(NEXT) | instid1(SALU_CYCLE_1)
	s_xor_b64 s[24:25], s[24:25], s[22:23]
	v_cvt_f32_u32_e32 v3, s24
	v_cvt_f32_u32_e32 v6, s25
	s_sub_u32 s0, 0, s24
	s_subb_u32 s16, 0, s25
	s_delay_alu instid0(VALU_DEP_1) | instskip(NEXT) | instid1(VALU_DEP_1)
	v_fmac_f32_e32 v3, 0x4f800000, v6
	v_rcp_f32_e32 v3, v3
	s_waitcnt_depctr 0xfff
	v_mul_f32_e32 v3, 0x5f7ffffc, v3
	s_delay_alu instid0(VALU_DEP_1) | instskip(NEXT) | instid1(VALU_DEP_1)
	v_mul_f32_e32 v6, 0x2f800000, v3
	v_trunc_f32_e32 v6, v6
	s_delay_alu instid0(VALU_DEP_1) | instskip(SKIP_1) | instid1(VALU_DEP_2)
	v_fmac_f32_e32 v3, 0xcf800000, v6
	v_cvt_u32_f32_e32 v6, v6
	v_cvt_u32_f32_e32 v3, v3
	s_delay_alu instid0(VALU_DEP_2) | instskip(NEXT) | instid1(VALU_DEP_2)
	v_mul_lo_u32 v7, s0, v6
	v_mul_hi_u32 v8, s0, v3
	v_mul_lo_u32 v9, s16, v3
	s_delay_alu instid0(VALU_DEP_2) | instskip(SKIP_1) | instid1(VALU_DEP_2)
	v_add_nc_u32_e32 v7, v8, v7
	v_mul_lo_u32 v8, s0, v3
	v_add_nc_u32_e32 v7, v7, v9
	s_delay_alu instid0(VALU_DEP_2) | instskip(NEXT) | instid1(VALU_DEP_2)
	v_mul_hi_u32 v9, v3, v8
	v_mul_lo_u32 v10, v3, v7
	v_mul_hi_u32 v11, v3, v7
	v_mul_hi_u32 v12, v6, v8
	v_mul_lo_u32 v8, v6, v8
	v_mul_hi_u32 v13, v6, v7
	v_mul_lo_u32 v7, v6, v7
	v_add_co_u32 v9, vcc_lo, v9, v10
	v_add_co_ci_u32_e32 v10, vcc_lo, 0, v11, vcc_lo
	s_delay_alu instid0(VALU_DEP_2) | instskip(NEXT) | instid1(VALU_DEP_2)
	v_add_co_u32 v8, vcc_lo, v9, v8
	v_add_co_ci_u32_e32 v8, vcc_lo, v10, v12, vcc_lo
	v_add_co_ci_u32_e32 v9, vcc_lo, 0, v13, vcc_lo
	v_ashrrev_i32_e32 v12, 31, v5
	s_delay_alu instid0(VALU_DEP_3) | instskip(NEXT) | instid1(VALU_DEP_3)
	v_add_co_u32 v7, vcc_lo, v8, v7
	v_add_co_ci_u32_e32 v8, vcc_lo, 0, v9, vcc_lo
	s_delay_alu instid0(VALU_DEP_2) | instskip(NEXT) | instid1(VALU_DEP_2)
	v_add_co_u32 v3, vcc_lo, v3, v7
	v_add_co_ci_u32_e32 v6, vcc_lo, v6, v8, vcc_lo
	s_delay_alu instid0(VALU_DEP_2) | instskip(SKIP_1) | instid1(VALU_DEP_3)
	v_mul_hi_u32 v7, s0, v3
	v_mul_lo_u32 v9, s16, v3
	v_mul_lo_u32 v8, s0, v6
	s_delay_alu instid0(VALU_DEP_1) | instskip(SKIP_1) | instid1(VALU_DEP_2)
	v_add_nc_u32_e32 v7, v7, v8
	v_mul_lo_u32 v8, s0, v3
	v_add_nc_u32_e32 v7, v7, v9
	s_delay_alu instid0(VALU_DEP_2) | instskip(NEXT) | instid1(VALU_DEP_2)
	v_mul_hi_u32 v9, v3, v8
	v_mul_lo_u32 v10, v3, v7
	v_mul_hi_u32 v11, v3, v7
	v_mul_hi_u32 v13, v6, v8
	v_mul_lo_u32 v8, v6, v8
	v_mul_hi_u32 v14, v6, v7
	v_mul_lo_u32 v7, v6, v7
	v_add_co_u32 v9, vcc_lo, v9, v10
	v_add_co_ci_u32_e32 v10, vcc_lo, 0, v11, vcc_lo
	s_delay_alu instid0(VALU_DEP_2) | instskip(NEXT) | instid1(VALU_DEP_2)
	v_add_co_u32 v8, vcc_lo, v9, v8
	v_add_co_ci_u32_e32 v8, vcc_lo, v10, v13, vcc_lo
	v_add_co_ci_u32_e32 v9, vcc_lo, 0, v14, vcc_lo
	v_add_co_u32 v10, vcc_lo, v4, v12
	v_add_co_ci_u32_e32 v5, vcc_lo, v5, v12, vcc_lo
	s_delay_alu instid0(VALU_DEP_4) | instskip(NEXT) | instid1(VALU_DEP_4)
	v_add_co_u32 v7, vcc_lo, v8, v7
	v_add_co_ci_u32_e32 v8, vcc_lo, 0, v9, vcc_lo
	s_delay_alu instid0(VALU_DEP_4) | instskip(NEXT) | instid1(VALU_DEP_3)
	v_xor_b32_e32 v11, v10, v12
	v_add_co_u32 v3, vcc_lo, v3, v7
	s_delay_alu instid0(VALU_DEP_3) | instskip(SKIP_1) | instid1(VALU_DEP_3)
	v_add_co_ci_u32_e32 v13, vcc_lo, v6, v8, vcc_lo
	v_xor_b32_e32 v14, v5, v12
	v_mul_hi_u32 v15, v11, v3
	s_delay_alu instid0(VALU_DEP_3) | instskip(NEXT) | instid1(VALU_DEP_3)
	v_mad_u64_u32 v[5:6], null, v11, v13, 0
	v_mad_u64_u32 v[7:8], null, v14, v3, 0
	;; [unrolled: 1-line block ×3, first 2 shown]
	s_delay_alu instid0(VALU_DEP_3) | instskip(NEXT) | instid1(VALU_DEP_4)
	v_add_co_u32 v3, vcc_lo, v15, v5
	v_add_co_ci_u32_e32 v5, vcc_lo, 0, v6, vcc_lo
	s_delay_alu instid0(VALU_DEP_2) | instskip(NEXT) | instid1(VALU_DEP_2)
	v_add_co_u32 v3, vcc_lo, v3, v7
	v_add_co_ci_u32_e32 v3, vcc_lo, v5, v8, vcc_lo
	v_add_co_ci_u32_e32 v5, vcc_lo, 0, v10, vcc_lo
	s_delay_alu instid0(VALU_DEP_2) | instskip(NEXT) | instid1(VALU_DEP_2)
	v_add_co_u32 v3, vcc_lo, v3, v9
	v_add_co_ci_u32_e32 v7, vcc_lo, 0, v5, vcc_lo
	s_delay_alu instid0(VALU_DEP_2) | instskip(SKIP_1) | instid1(VALU_DEP_3)
	v_mul_lo_u32 v8, s25, v3
	v_mad_u64_u32 v[5:6], null, s24, v3, 0
	v_mul_lo_u32 v9, s24, v7
	s_delay_alu instid0(VALU_DEP_2) | instskip(NEXT) | instid1(VALU_DEP_2)
	v_sub_co_u32 v5, vcc_lo, v11, v5
	v_add3_u32 v6, v6, v9, v8
	s_delay_alu instid0(VALU_DEP_1) | instskip(NEXT) | instid1(VALU_DEP_1)
	v_sub_nc_u32_e32 v8, v14, v6
	v_subrev_co_ci_u32_e64 v8, s0, s25, v8, vcc_lo
	v_add_co_u32 v9, s0, v3, 2
	s_delay_alu instid0(VALU_DEP_1) | instskip(SKIP_3) | instid1(VALU_DEP_3)
	v_add_co_ci_u32_e64 v10, s0, 0, v7, s0
	v_sub_co_u32 v11, s0, v5, s24
	v_sub_co_ci_u32_e32 v6, vcc_lo, v14, v6, vcc_lo
	v_subrev_co_ci_u32_e64 v8, s0, 0, v8, s0
	v_cmp_le_u32_e32 vcc_lo, s24, v11
	s_delay_alu instid0(VALU_DEP_3) | instskip(SKIP_1) | instid1(VALU_DEP_4)
	v_cmp_eq_u32_e64 s0, s25, v6
	v_cndmask_b32_e64 v11, 0, -1, vcc_lo
	v_cmp_le_u32_e32 vcc_lo, s25, v8
	v_cndmask_b32_e64 v13, 0, -1, vcc_lo
	v_cmp_le_u32_e32 vcc_lo, s24, v5
	;; [unrolled: 2-line block ×3, first 2 shown]
	v_cndmask_b32_e64 v14, 0, -1, vcc_lo
	v_cmp_eq_u32_e32 vcc_lo, s25, v8
	s_delay_alu instid0(VALU_DEP_2) | instskip(SKIP_3) | instid1(VALU_DEP_3)
	v_cndmask_b32_e64 v5, v14, v5, s0
	v_cndmask_b32_e32 v8, v13, v11, vcc_lo
	v_add_co_u32 v11, vcc_lo, v3, 1
	v_add_co_ci_u32_e32 v13, vcc_lo, 0, v7, vcc_lo
	v_cmp_ne_u32_e32 vcc_lo, 0, v8
	s_delay_alu instid0(VALU_DEP_3) | instskip(NEXT) | instid1(VALU_DEP_3)
	v_cndmask_b32_e32 v8, v11, v9, vcc_lo
	v_cndmask_b32_e32 v6, v13, v10, vcc_lo
	v_cmp_ne_u32_e32 vcc_lo, 0, v5
	v_xor_b32_e32 v5, s22, v12
	s_delay_alu instid0(VALU_DEP_4) | instskip(NEXT) | instid1(VALU_DEP_4)
	v_cndmask_b32_e32 v3, v3, v8, vcc_lo
	v_cndmask_b32_e32 v6, v7, v6, vcc_lo
	v_xor_b32_e32 v7, s23, v12
	s_delay_alu instid0(VALU_DEP_3) | instskip(NEXT) | instid1(VALU_DEP_2)
	v_xor_b32_e32 v3, v3, v5
	v_xor_b32_e32 v6, v6, v7
	s_delay_alu instid0(VALU_DEP_2) | instskip(NEXT) | instid1(VALU_DEP_2)
	v_sub_co_u32 v8, vcc_lo, v3, v5
	v_sub_co_ci_u32_e32 v9, vcc_lo, v6, v7, vcc_lo
.LBB13_9:                               ;   in Loop: Header=BB13_3 Depth=1
	s_and_not1_saveexec_b32 s0, s13
	s_cbranch_execz .LBB13_11
; %bb.10:                               ;   in Loop: Header=BB13_3 Depth=1
	v_cvt_f32_u32_e32 v3, s8
	s_sub_i32 s13, 0, s8
	v_mov_b32_e32 v9, v2
	s_delay_alu instid0(VALU_DEP_2) | instskip(SKIP_2) | instid1(VALU_DEP_1)
	v_rcp_iflag_f32_e32 v3, v3
	s_waitcnt_depctr 0xfff
	v_mul_f32_e32 v3, 0x4f7ffffe, v3
	v_cvt_u32_f32_e32 v3, v3
	s_delay_alu instid0(VALU_DEP_1) | instskip(NEXT) | instid1(VALU_DEP_1)
	v_mul_lo_u32 v5, s13, v3
	v_mul_hi_u32 v5, v3, v5
	s_delay_alu instid0(VALU_DEP_1) | instskip(NEXT) | instid1(VALU_DEP_1)
	v_add_nc_u32_e32 v3, v3, v5
	v_mul_hi_u32 v3, v4, v3
	s_delay_alu instid0(VALU_DEP_1) | instskip(SKIP_1) | instid1(VALU_DEP_2)
	v_mul_lo_u32 v5, v3, s8
	v_add_nc_u32_e32 v6, 1, v3
	v_sub_nc_u32_e32 v5, v4, v5
	s_delay_alu instid0(VALU_DEP_1) | instskip(SKIP_1) | instid1(VALU_DEP_4)
	v_cmp_le_u32_e32 vcc_lo, s8, v5
	v_subrev_nc_u32_e32 v7, s8, v5
	v_cndmask_b32_e32 v3, v3, v6, vcc_lo
	s_delay_alu instid0(VALU_DEP_1) | instskip(NEXT) | instid1(VALU_DEP_3)
	v_add_nc_u32_e32 v6, 1, v3
	v_cndmask_b32_e32 v5, v5, v7, vcc_lo
	s_delay_alu instid0(VALU_DEP_1) | instskip(NEXT) | instid1(VALU_DEP_3)
	v_cmp_le_u32_e32 vcc_lo, s8, v5
	v_cndmask_b32_e32 v8, v3, v6, vcc_lo
.LBB13_11:                              ;   in Loop: Header=BB13_3 Depth=1
	s_or_b32 exec_lo, exec_lo, s0
	v_mad_u64_u32 v[5:6], null, v4, s30, 0
	s_delay_alu instid0(VALU_DEP_2) | instskip(SKIP_1) | instid1(VALU_DEP_2)
	v_mad_u64_u32 v[6:7], null, v8, s8, 0
	s_and_not1_b32 vcc_lo, exec_lo, s1
	v_sub_co_u32 v19, null, v0, v5
	s_delay_alu instid0(VALU_DEP_2) | instskip(NEXT) | instid1(VALU_DEP_2)
	v_sub_co_u32 v20, null, v4, v6
	v_mul_lo_u32 v3, s18, v19
	v_mul_lo_u32 v10, s20, v19
	s_delay_alu instid0(VALU_DEP_2) | instskip(NEXT) | instid1(VALU_DEP_2)
	v_mad_u64_u32 v[6:7], null, s10, v20, v[3:4]
	v_mad_u64_u32 v[4:5], null, s12, v20, v[10:11]
	s_cbranch_vccnz .LBB13_40
; %bb.12:                               ;   in Loop: Header=BB13_3 Depth=1
	s_and_not1_b32 vcc_lo, exec_lo, s41
	s_mov_b32 s13, 1
	s_cbranch_vccnz .LBB13_20
; %bb.13:                               ;   in Loop: Header=BB13_3 Depth=1
	v_dual_mov_b32 v11, v9 :: v_dual_mov_b32 v10, v8
	s_mov_b32 s16, s38
.LBB13_14:                              ;   Parent Loop BB13_3 Depth=1
                                        ; =>  This Inner Loop Header: Depth=2
	s_delay_alu instid0(SALU_CYCLE_1)
	s_lshl_b64 s[24:25], s[16:17], 2
                                        ; implicit-def: $vgpr8_vgpr9
	s_mov_b32 s26, exec_lo
	s_add_u32 s22, s31, s24
	s_addc_u32 s23, s33, s25
	s_load_b32 s43, s[22:23], 0x8
	s_waitcnt lgkmcnt(0)
	s_ashr_i32 s0, s43, 31
	s_delay_alu instid0(SALU_CYCLE_1) | instskip(NEXT) | instid1(VALU_DEP_1)
	v_or_b32_e32 v3, s0, v11
	v_cmpx_ne_u64_e32 0, v[2:3]
	s_xor_b32 s44, exec_lo, s26
	s_cbranch_execz .LBB13_16
; %bb.15:                               ;   in Loop: Header=BB13_14 Depth=2
	s_add_u32 s28, s43, s0
	s_mov_b32 s26, s0
	s_mov_b32 s27, s0
	s_addc_u32 s29, s0, s0
	s_delay_alu instid0(SALU_CYCLE_1) | instskip(NEXT) | instid1(SALU_CYCLE_1)
	s_xor_b64 s[28:29], s[28:29], s[26:27]
	v_cvt_f32_u32_e32 v3, s28
	v_cvt_f32_u32_e32 v5, s29
	s_sub_u32 s0, 0, s28
	s_subb_u32 s45, 0, s29
	s_delay_alu instid0(VALU_DEP_1) | instskip(NEXT) | instid1(VALU_DEP_1)
	v_fmac_f32_e32 v3, 0x4f800000, v5
	v_rcp_f32_e32 v3, v3
	s_waitcnt_depctr 0xfff
	v_mul_f32_e32 v3, 0x5f7ffffc, v3
	s_delay_alu instid0(VALU_DEP_1) | instskip(NEXT) | instid1(VALU_DEP_1)
	v_mul_f32_e32 v5, 0x2f800000, v3
	v_trunc_f32_e32 v5, v5
	s_delay_alu instid0(VALU_DEP_1) | instskip(SKIP_1) | instid1(VALU_DEP_2)
	v_fmac_f32_e32 v3, 0xcf800000, v5
	v_cvt_u32_f32_e32 v5, v5
	v_cvt_u32_f32_e32 v3, v3
	s_delay_alu instid0(VALU_DEP_2) | instskip(NEXT) | instid1(VALU_DEP_2)
	v_mul_lo_u32 v7, s0, v5
	v_mul_hi_u32 v8, s0, v3
	v_mul_lo_u32 v9, s45, v3
	s_delay_alu instid0(VALU_DEP_2) | instskip(SKIP_1) | instid1(VALU_DEP_2)
	v_add_nc_u32_e32 v7, v8, v7
	v_mul_lo_u32 v8, s0, v3
	v_add_nc_u32_e32 v7, v7, v9
	s_delay_alu instid0(VALU_DEP_2) | instskip(NEXT) | instid1(VALU_DEP_2)
	v_mul_hi_u32 v9, v3, v8
	v_mul_lo_u32 v12, v3, v7
	v_mul_hi_u32 v13, v3, v7
	v_mul_hi_u32 v14, v5, v8
	v_mul_lo_u32 v8, v5, v8
	v_mul_hi_u32 v15, v5, v7
	v_mul_lo_u32 v7, v5, v7
	v_add_co_u32 v9, vcc_lo, v9, v12
	v_add_co_ci_u32_e32 v12, vcc_lo, 0, v13, vcc_lo
	s_delay_alu instid0(VALU_DEP_2) | instskip(NEXT) | instid1(VALU_DEP_2)
	v_add_co_u32 v8, vcc_lo, v9, v8
	v_add_co_ci_u32_e32 v8, vcc_lo, v12, v14, vcc_lo
	v_add_co_ci_u32_e32 v9, vcc_lo, 0, v15, vcc_lo
	v_ashrrev_i32_e32 v15, 31, v11
	s_delay_alu instid0(VALU_DEP_3) | instskip(NEXT) | instid1(VALU_DEP_3)
	v_add_co_u32 v7, vcc_lo, v8, v7
	v_add_co_ci_u32_e32 v8, vcc_lo, 0, v9, vcc_lo
	s_delay_alu instid0(VALU_DEP_2) | instskip(NEXT) | instid1(VALU_DEP_2)
	v_add_co_u32 v3, vcc_lo, v3, v7
	v_add_co_ci_u32_e32 v5, vcc_lo, v5, v8, vcc_lo
	s_delay_alu instid0(VALU_DEP_2) | instskip(SKIP_1) | instid1(VALU_DEP_3)
	v_mul_hi_u32 v7, s0, v3
	v_mul_lo_u32 v9, s45, v3
	v_mul_lo_u32 v8, s0, v5
	s_delay_alu instid0(VALU_DEP_1) | instskip(SKIP_1) | instid1(VALU_DEP_2)
	v_add_nc_u32_e32 v7, v7, v8
	v_mul_lo_u32 v8, s0, v3
	v_add_nc_u32_e32 v7, v7, v9
	s_delay_alu instid0(VALU_DEP_2) | instskip(NEXT) | instid1(VALU_DEP_2)
	v_mul_hi_u32 v9, v3, v8
	v_mul_lo_u32 v12, v3, v7
	v_mul_hi_u32 v13, v3, v7
	v_mul_hi_u32 v14, v5, v8
	v_mul_lo_u32 v8, v5, v8
	v_mul_hi_u32 v16, v5, v7
	v_mul_lo_u32 v7, v5, v7
	v_add_co_u32 v9, vcc_lo, v9, v12
	v_add_co_ci_u32_e32 v12, vcc_lo, 0, v13, vcc_lo
	s_delay_alu instid0(VALU_DEP_2) | instskip(NEXT) | instid1(VALU_DEP_2)
	v_add_co_u32 v8, vcc_lo, v9, v8
	v_add_co_ci_u32_e32 v8, vcc_lo, v12, v14, vcc_lo
	v_add_co_ci_u32_e32 v9, vcc_lo, 0, v16, vcc_lo
	v_add_co_u32 v12, vcc_lo, v10, v15
	v_add_co_ci_u32_e32 v11, vcc_lo, v11, v15, vcc_lo
	s_delay_alu instid0(VALU_DEP_4) | instskip(NEXT) | instid1(VALU_DEP_4)
	v_add_co_u32 v7, vcc_lo, v8, v7
	v_add_co_ci_u32_e32 v8, vcc_lo, 0, v9, vcc_lo
	s_delay_alu instid0(VALU_DEP_4) | instskip(NEXT) | instid1(VALU_DEP_3)
	v_xor_b32_e32 v9, v12, v15
	v_add_co_u32 v3, vcc_lo, v3, v7
	s_delay_alu instid0(VALU_DEP_3) | instskip(SKIP_1) | instid1(VALU_DEP_3)
	v_add_co_ci_u32_e32 v5, vcc_lo, v5, v8, vcc_lo
	v_xor_b32_e32 v16, v11, v15
	v_mul_hi_u32 v17, v9, v3
	s_delay_alu instid0(VALU_DEP_3) | instskip(NEXT) | instid1(VALU_DEP_3)
	v_mad_u64_u32 v[7:8], null, v9, v5, 0
	v_mad_u64_u32 v[11:12], null, v16, v3, 0
	;; [unrolled: 1-line block ×3, first 2 shown]
	s_delay_alu instid0(VALU_DEP_3) | instskip(NEXT) | instid1(VALU_DEP_4)
	v_add_co_u32 v3, vcc_lo, v17, v7
	v_add_co_ci_u32_e32 v5, vcc_lo, 0, v8, vcc_lo
	s_delay_alu instid0(VALU_DEP_2) | instskip(NEXT) | instid1(VALU_DEP_2)
	v_add_co_u32 v3, vcc_lo, v3, v11
	v_add_co_ci_u32_e32 v3, vcc_lo, v5, v12, vcc_lo
	v_add_co_ci_u32_e32 v5, vcc_lo, 0, v14, vcc_lo
	s_delay_alu instid0(VALU_DEP_2) | instskip(NEXT) | instid1(VALU_DEP_2)
	v_add_co_u32 v3, vcc_lo, v3, v13
	v_add_co_ci_u32_e32 v5, vcc_lo, 0, v5, vcc_lo
	s_delay_alu instid0(VALU_DEP_2) | instskip(SKIP_1) | instid1(VALU_DEP_3)
	v_mul_lo_u32 v11, s29, v3
	v_mad_u64_u32 v[7:8], null, s28, v3, 0
	v_mul_lo_u32 v12, s28, v5
	s_delay_alu instid0(VALU_DEP_2) | instskip(NEXT) | instid1(VALU_DEP_2)
	v_sub_co_u32 v7, vcc_lo, v9, v7
	v_add3_u32 v8, v8, v12, v11
	s_delay_alu instid0(VALU_DEP_1) | instskip(NEXT) | instid1(VALU_DEP_1)
	v_sub_nc_u32_e32 v11, v16, v8
	v_subrev_co_ci_u32_e64 v9, s0, s29, v11, vcc_lo
	v_add_co_u32 v11, s0, v3, 2
	s_delay_alu instid0(VALU_DEP_1) | instskip(SKIP_3) | instid1(VALU_DEP_3)
	v_add_co_ci_u32_e64 v12, s0, 0, v5, s0
	v_sub_co_u32 v13, s0, v7, s28
	v_sub_co_ci_u32_e32 v8, vcc_lo, v16, v8, vcc_lo
	v_subrev_co_ci_u32_e64 v9, s0, 0, v9, s0
	v_cmp_le_u32_e32 vcc_lo, s28, v13
	s_delay_alu instid0(VALU_DEP_3) | instskip(SKIP_1) | instid1(VALU_DEP_4)
	v_cmp_eq_u32_e64 s0, s29, v8
	v_cndmask_b32_e64 v13, 0, -1, vcc_lo
	v_cmp_le_u32_e32 vcc_lo, s29, v9
	v_cndmask_b32_e64 v14, 0, -1, vcc_lo
	v_cmp_le_u32_e32 vcc_lo, s28, v7
	;; [unrolled: 2-line block ×3, first 2 shown]
	v_cndmask_b32_e64 v16, 0, -1, vcc_lo
	v_cmp_eq_u32_e32 vcc_lo, s29, v9
	s_delay_alu instid0(VALU_DEP_2) | instskip(SKIP_3) | instid1(VALU_DEP_3)
	v_cndmask_b32_e64 v7, v16, v7, s0
	v_cndmask_b32_e32 v9, v14, v13, vcc_lo
	v_add_co_u32 v13, vcc_lo, v3, 1
	v_add_co_ci_u32_e32 v14, vcc_lo, 0, v5, vcc_lo
	v_cmp_ne_u32_e32 vcc_lo, 0, v9
	s_delay_alu instid0(VALU_DEP_2) | instskip(SKIP_2) | instid1(VALU_DEP_3)
	v_dual_cndmask_b32 v8, v14, v12 :: v_dual_cndmask_b32 v9, v13, v11
	v_cmp_ne_u32_e32 vcc_lo, 0, v7
	v_xor_b32_e32 v7, s26, v15
	v_cndmask_b32_e32 v3, v3, v9, vcc_lo
	s_delay_alu instid0(VALU_DEP_4) | instskip(SKIP_1) | instid1(VALU_DEP_3)
	v_cndmask_b32_e32 v5, v5, v8, vcc_lo
	v_xor_b32_e32 v9, s27, v15
	v_xor_b32_e32 v3, v3, v7
	s_delay_alu instid0(VALU_DEP_2) | instskip(NEXT) | instid1(VALU_DEP_2)
	v_xor_b32_e32 v5, v5, v9
	v_sub_co_u32 v8, vcc_lo, v3, v7
	s_delay_alu instid0(VALU_DEP_2)
	v_sub_co_ci_u32_e32 v9, vcc_lo, v5, v9, vcc_lo
.LBB13_16:                              ;   in Loop: Header=BB13_14 Depth=2
	s_and_not1_saveexec_b32 s0, s44
	s_cbranch_execz .LBB13_18
; %bb.17:                               ;   in Loop: Header=BB13_14 Depth=2
	v_cvt_f32_u32_e32 v3, s43
	s_sub_i32 s26, 0, s43
	v_mov_b32_e32 v9, v2
	s_delay_alu instid0(VALU_DEP_2) | instskip(SKIP_2) | instid1(VALU_DEP_1)
	v_rcp_iflag_f32_e32 v3, v3
	s_waitcnt_depctr 0xfff
	v_mul_f32_e32 v3, 0x4f7ffffe, v3
	v_cvt_u32_f32_e32 v3, v3
	s_delay_alu instid0(VALU_DEP_1) | instskip(NEXT) | instid1(VALU_DEP_1)
	v_mul_lo_u32 v5, s26, v3
	v_mul_hi_u32 v5, v3, v5
	s_delay_alu instid0(VALU_DEP_1) | instskip(NEXT) | instid1(VALU_DEP_1)
	v_add_nc_u32_e32 v3, v3, v5
	v_mul_hi_u32 v3, v10, v3
	s_delay_alu instid0(VALU_DEP_1) | instskip(SKIP_1) | instid1(VALU_DEP_2)
	v_mul_lo_u32 v5, v3, s43
	v_add_nc_u32_e32 v7, 1, v3
	v_sub_nc_u32_e32 v5, v10, v5
	s_delay_alu instid0(VALU_DEP_1) | instskip(SKIP_1) | instid1(VALU_DEP_4)
	v_cmp_le_u32_e32 vcc_lo, s43, v5
	v_subrev_nc_u32_e32 v8, s43, v5
	v_cndmask_b32_e32 v3, v3, v7, vcc_lo
	s_delay_alu instid0(VALU_DEP_1) | instskip(NEXT) | instid1(VALU_DEP_3)
	v_add_nc_u32_e32 v7, 1, v3
	v_cndmask_b32_e32 v5, v5, v8, vcc_lo
	s_delay_alu instid0(VALU_DEP_1) | instskip(NEXT) | instid1(VALU_DEP_3)
	v_cmp_le_u32_e32 vcc_lo, s43, v5
	v_cndmask_b32_e32 v8, v3, v7, vcc_lo
.LBB13_18:                              ;   in Loop: Header=BB13_14 Depth=2
	s_or_b32 exec_lo, exec_lo, s0
	s_add_u32 s24, s36, s24
	s_addc_u32 s25, s37, s25
	s_clause 0x1
	s_load_b32 s0, s[22:23], 0x6c
	s_load_b32 s22, s[24:25], 0x0
	v_mul_lo_u32 v3, v8, s43
	s_add_i32 s16, s16, -1
	s_delay_alu instid0(VALU_DEP_1) | instskip(SKIP_1) | instid1(VALU_DEP_1)
	v_sub_nc_u32_e32 v3, v10, v3
	s_waitcnt lgkmcnt(0)
	v_mad_u64_u32 v[10:11], null, s0, v3, v[6:7]
	v_mad_u64_u32 v[5:6], null, s22, v3, v[4:5]
	s_xor_b32 s0, s39, s13
	s_add_i32 s13, s13, 1
	s_cmp_lg_u32 s0, 2
	s_delay_alu instid0(VALU_DEP_2) | instskip(NEXT) | instid1(VALU_DEP_2)
	v_mov_b32_e32 v6, v10
	v_mov_b32_e32 v4, v5
	s_cbranch_scc0 .LBB13_21
; %bb.19:                               ;   in Loop: Header=BB13_14 Depth=2
	v_dual_mov_b32 v11, v9 :: v_dual_mov_b32 v10, v8
	s_branch .LBB13_14
.LBB13_20:                              ;   in Loop: Header=BB13_3 Depth=1
	s_mov_b32 s16, s38
.LBB13_21:                              ;   in Loop: Header=BB13_3 Depth=1
	s_and_b32 vcc_lo, exec_lo, s42
	s_cbranch_vccz .LBB13_40
.LBB13_22:                              ;   Parent Loop BB13_3 Depth=1
                                        ; =>  This Inner Loop Header: Depth=2
	s_lshl_b64 s[22:23], s[16:17], 2
                                        ; implicit-def: $vgpr10_vgpr11
	s_mov_b32 s26, exec_lo
	s_add_u32 s24, s31, s22
	s_addc_u32 s25, s33, s23
	s_load_b32 s13, s[24:25], 0x8
	s_waitcnt lgkmcnt(0)
	s_ashr_i32 s0, s13, 31
	s_delay_alu instid0(SALU_CYCLE_1) | instskip(NEXT) | instid1(VALU_DEP_1)
	v_or_b32_e32 v3, s0, v9
	v_cmpx_ne_u64_e32 0, v[2:3]
	s_xor_b32 s43, exec_lo, s26
	s_cbranch_execz .LBB13_24
; %bb.23:                               ;   in Loop: Header=BB13_22 Depth=2
	s_add_u32 s28, s13, s0
	s_mov_b32 s26, s0
	s_mov_b32 s27, s0
	s_addc_u32 s29, s0, s0
	s_delay_alu instid0(SALU_CYCLE_1) | instskip(NEXT) | instid1(SALU_CYCLE_1)
	s_xor_b64 s[28:29], s[28:29], s[26:27]
	v_cvt_f32_u32_e32 v3, s28
	v_cvt_f32_u32_e32 v5, s29
	s_sub_u32 s0, 0, s28
	s_subb_u32 s44, 0, s29
	s_delay_alu instid0(VALU_DEP_1) | instskip(NEXT) | instid1(VALU_DEP_1)
	v_fmac_f32_e32 v3, 0x4f800000, v5
	v_rcp_f32_e32 v3, v3
	s_waitcnt_depctr 0xfff
	v_mul_f32_e32 v3, 0x5f7ffffc, v3
	s_delay_alu instid0(VALU_DEP_1) | instskip(NEXT) | instid1(VALU_DEP_1)
	v_mul_f32_e32 v5, 0x2f800000, v3
	v_trunc_f32_e32 v5, v5
	s_delay_alu instid0(VALU_DEP_1) | instskip(SKIP_1) | instid1(VALU_DEP_2)
	v_fmac_f32_e32 v3, 0xcf800000, v5
	v_cvt_u32_f32_e32 v5, v5
	v_cvt_u32_f32_e32 v3, v3
	s_delay_alu instid0(VALU_DEP_2) | instskip(NEXT) | instid1(VALU_DEP_2)
	v_mul_lo_u32 v7, s0, v5
	v_mul_hi_u32 v10, s0, v3
	v_mul_lo_u32 v11, s44, v3
	s_delay_alu instid0(VALU_DEP_2) | instskip(SKIP_1) | instid1(VALU_DEP_2)
	v_add_nc_u32_e32 v7, v10, v7
	v_mul_lo_u32 v10, s0, v3
	v_add_nc_u32_e32 v7, v7, v11
	s_delay_alu instid0(VALU_DEP_2) | instskip(NEXT) | instid1(VALU_DEP_2)
	v_mul_hi_u32 v11, v3, v10
	v_mul_lo_u32 v12, v3, v7
	v_mul_hi_u32 v13, v3, v7
	v_mul_hi_u32 v14, v5, v10
	v_mul_lo_u32 v10, v5, v10
	v_mul_hi_u32 v15, v5, v7
	v_mul_lo_u32 v7, v5, v7
	v_add_co_u32 v11, vcc_lo, v11, v12
	v_add_co_ci_u32_e32 v12, vcc_lo, 0, v13, vcc_lo
	s_delay_alu instid0(VALU_DEP_2) | instskip(NEXT) | instid1(VALU_DEP_2)
	v_add_co_u32 v10, vcc_lo, v11, v10
	v_add_co_ci_u32_e32 v10, vcc_lo, v12, v14, vcc_lo
	v_add_co_ci_u32_e32 v11, vcc_lo, 0, v15, vcc_lo
	v_ashrrev_i32_e32 v15, 31, v9
	s_delay_alu instid0(VALU_DEP_3) | instskip(NEXT) | instid1(VALU_DEP_3)
	v_add_co_u32 v7, vcc_lo, v10, v7
	v_add_co_ci_u32_e32 v10, vcc_lo, 0, v11, vcc_lo
	s_delay_alu instid0(VALU_DEP_2) | instskip(NEXT) | instid1(VALU_DEP_2)
	v_add_co_u32 v3, vcc_lo, v3, v7
	v_add_co_ci_u32_e32 v5, vcc_lo, v5, v10, vcc_lo
	s_delay_alu instid0(VALU_DEP_2) | instskip(SKIP_1) | instid1(VALU_DEP_3)
	v_mul_hi_u32 v7, s0, v3
	v_mul_lo_u32 v11, s44, v3
	v_mul_lo_u32 v10, s0, v5
	s_delay_alu instid0(VALU_DEP_1) | instskip(SKIP_1) | instid1(VALU_DEP_2)
	v_add_nc_u32_e32 v7, v7, v10
	v_mul_lo_u32 v10, s0, v3
	v_add_nc_u32_e32 v7, v7, v11
	s_delay_alu instid0(VALU_DEP_2) | instskip(NEXT) | instid1(VALU_DEP_2)
	v_mul_hi_u32 v11, v3, v10
	v_mul_lo_u32 v12, v3, v7
	v_mul_hi_u32 v13, v3, v7
	v_mul_hi_u32 v14, v5, v10
	v_mul_lo_u32 v10, v5, v10
	v_mul_hi_u32 v16, v5, v7
	v_mul_lo_u32 v7, v5, v7
	v_add_co_u32 v11, vcc_lo, v11, v12
	v_add_co_ci_u32_e32 v12, vcc_lo, 0, v13, vcc_lo
	s_delay_alu instid0(VALU_DEP_2) | instskip(NEXT) | instid1(VALU_DEP_2)
	v_add_co_u32 v10, vcc_lo, v11, v10
	v_add_co_ci_u32_e32 v10, vcc_lo, v12, v14, vcc_lo
	v_add_co_ci_u32_e32 v11, vcc_lo, 0, v16, vcc_lo
	v_add_co_u32 v12, vcc_lo, v8, v15
	v_add_co_ci_u32_e32 v9, vcc_lo, v9, v15, vcc_lo
	s_delay_alu instid0(VALU_DEP_4) | instskip(NEXT) | instid1(VALU_DEP_4)
	v_add_co_u32 v7, vcc_lo, v10, v7
	v_add_co_ci_u32_e32 v10, vcc_lo, 0, v11, vcc_lo
	s_delay_alu instid0(VALU_DEP_4) | instskip(NEXT) | instid1(VALU_DEP_3)
	v_xor_b32_e32 v16, v12, v15
	v_add_co_u32 v3, vcc_lo, v3, v7
	s_delay_alu instid0(VALU_DEP_3) | instskip(SKIP_1) | instid1(VALU_DEP_3)
	v_add_co_ci_u32_e32 v5, vcc_lo, v5, v10, vcc_lo
	v_xor_b32_e32 v7, v9, v15
	v_mul_hi_u32 v17, v16, v3
	s_delay_alu instid0(VALU_DEP_3) | instskip(NEXT) | instid1(VALU_DEP_3)
	v_mad_u64_u32 v[9:10], null, v16, v5, 0
	v_mad_u64_u32 v[11:12], null, v7, v3, 0
	;; [unrolled: 1-line block ×3, first 2 shown]
	s_delay_alu instid0(VALU_DEP_3) | instskip(NEXT) | instid1(VALU_DEP_4)
	v_add_co_u32 v3, vcc_lo, v17, v9
	v_add_co_ci_u32_e32 v5, vcc_lo, 0, v10, vcc_lo
	s_delay_alu instid0(VALU_DEP_2) | instskip(NEXT) | instid1(VALU_DEP_2)
	v_add_co_u32 v3, vcc_lo, v3, v11
	v_add_co_ci_u32_e32 v3, vcc_lo, v5, v12, vcc_lo
	v_add_co_ci_u32_e32 v5, vcc_lo, 0, v14, vcc_lo
	s_delay_alu instid0(VALU_DEP_2) | instskip(NEXT) | instid1(VALU_DEP_2)
	v_add_co_u32 v3, vcc_lo, v3, v13
	v_add_co_ci_u32_e32 v5, vcc_lo, 0, v5, vcc_lo
	s_delay_alu instid0(VALU_DEP_2) | instskip(SKIP_1) | instid1(VALU_DEP_3)
	v_mul_lo_u32 v11, s29, v3
	v_mad_u64_u32 v[9:10], null, s28, v3, 0
	v_mul_lo_u32 v12, s28, v5
	s_delay_alu instid0(VALU_DEP_2) | instskip(NEXT) | instid1(VALU_DEP_2)
	v_sub_co_u32 v9, vcc_lo, v16, v9
	v_add3_u32 v10, v10, v12, v11
	s_delay_alu instid0(VALU_DEP_1) | instskip(NEXT) | instid1(VALU_DEP_1)
	v_sub_nc_u32_e32 v11, v7, v10
	v_subrev_co_ci_u32_e64 v11, s0, s29, v11, vcc_lo
	v_add_co_u32 v12, s0, v3, 2
	s_delay_alu instid0(VALU_DEP_1) | instskip(SKIP_3) | instid1(VALU_DEP_3)
	v_add_co_ci_u32_e64 v13, s0, 0, v5, s0
	v_sub_co_u32 v14, s0, v9, s28
	v_sub_co_ci_u32_e32 v7, vcc_lo, v7, v10, vcc_lo
	v_subrev_co_ci_u32_e64 v11, s0, 0, v11, s0
	v_cmp_le_u32_e32 vcc_lo, s28, v14
	s_delay_alu instid0(VALU_DEP_3) | instskip(SKIP_1) | instid1(VALU_DEP_4)
	v_cmp_eq_u32_e64 s0, s29, v7
	v_cndmask_b32_e64 v10, 0, -1, vcc_lo
	v_cmp_le_u32_e32 vcc_lo, s29, v11
	v_cndmask_b32_e64 v14, 0, -1, vcc_lo
	v_cmp_le_u32_e32 vcc_lo, s28, v9
	;; [unrolled: 2-line block ×3, first 2 shown]
	v_cndmask_b32_e64 v16, 0, -1, vcc_lo
	v_cmp_eq_u32_e32 vcc_lo, s29, v11
	s_delay_alu instid0(VALU_DEP_2) | instskip(SKIP_3) | instid1(VALU_DEP_3)
	v_cndmask_b32_e64 v7, v16, v9, s0
	v_cndmask_b32_e32 v10, v14, v10, vcc_lo
	v_add_co_u32 v11, vcc_lo, v3, 1
	v_add_co_ci_u32_e32 v14, vcc_lo, 0, v5, vcc_lo
	v_cmp_ne_u32_e32 vcc_lo, 0, v10
	s_delay_alu instid0(VALU_DEP_2) | instskip(SKIP_2) | instid1(VALU_DEP_3)
	v_dual_cndmask_b32 v10, v11, v12 :: v_dual_cndmask_b32 v9, v14, v13
	v_cmp_ne_u32_e32 vcc_lo, 0, v7
	v_xor_b32_e32 v7, s26, v15
	v_cndmask_b32_e32 v3, v3, v10, vcc_lo
	s_delay_alu instid0(VALU_DEP_4) | instskip(SKIP_1) | instid1(VALU_DEP_3)
	v_cndmask_b32_e32 v5, v5, v9, vcc_lo
	v_xor_b32_e32 v9, s27, v15
	v_xor_b32_e32 v3, v3, v7
	s_delay_alu instid0(VALU_DEP_2) | instskip(NEXT) | instid1(VALU_DEP_2)
	v_xor_b32_e32 v5, v5, v9
	v_sub_co_u32 v10, vcc_lo, v3, v7
	s_delay_alu instid0(VALU_DEP_2)
	v_sub_co_ci_u32_e32 v11, vcc_lo, v5, v9, vcc_lo
.LBB13_24:                              ;   in Loop: Header=BB13_22 Depth=2
	s_and_not1_saveexec_b32 s0, s43
	s_cbranch_execz .LBB13_26
; %bb.25:                               ;   in Loop: Header=BB13_22 Depth=2
	v_cvt_f32_u32_e32 v3, s13
	s_sub_i32 s26, 0, s13
	v_mov_b32_e32 v11, v2
	s_delay_alu instid0(VALU_DEP_2) | instskip(SKIP_2) | instid1(VALU_DEP_1)
	v_rcp_iflag_f32_e32 v3, v3
	s_waitcnt_depctr 0xfff
	v_mul_f32_e32 v3, 0x4f7ffffe, v3
	v_cvt_u32_f32_e32 v3, v3
	s_delay_alu instid0(VALU_DEP_1) | instskip(NEXT) | instid1(VALU_DEP_1)
	v_mul_lo_u32 v5, s26, v3
	v_mul_hi_u32 v5, v3, v5
	s_delay_alu instid0(VALU_DEP_1) | instskip(NEXT) | instid1(VALU_DEP_1)
	v_add_nc_u32_e32 v3, v3, v5
	v_mul_hi_u32 v3, v8, v3
	s_delay_alu instid0(VALU_DEP_1) | instskip(SKIP_1) | instid1(VALU_DEP_2)
	v_mul_lo_u32 v5, v3, s13
	v_add_nc_u32_e32 v7, 1, v3
	v_sub_nc_u32_e32 v5, v8, v5
	s_delay_alu instid0(VALU_DEP_1) | instskip(SKIP_1) | instid1(VALU_DEP_4)
	v_cmp_le_u32_e32 vcc_lo, s13, v5
	v_subrev_nc_u32_e32 v9, s13, v5
	v_cndmask_b32_e32 v3, v3, v7, vcc_lo
	s_delay_alu instid0(VALU_DEP_1) | instskip(NEXT) | instid1(VALU_DEP_3)
	v_add_nc_u32_e32 v7, 1, v3
	v_cndmask_b32_e32 v5, v5, v9, vcc_lo
	s_delay_alu instid0(VALU_DEP_1) | instskip(NEXT) | instid1(VALU_DEP_3)
	v_cmp_le_u32_e32 vcc_lo, s13, v5
	v_cndmask_b32_e32 v10, v3, v7, vcc_lo
.LBB13_26:                              ;   in Loop: Header=BB13_22 Depth=2
	s_or_b32 exec_lo, exec_lo, s0
	s_add_u32 s28, s36, s22
	s_addc_u32 s29, s37, s23
	s_add_i32 s22, s16, -1
	s_mov_b32 s23, s17
                                        ; implicit-def: $vgpr12_vgpr13
	s_delay_alu instid0(SALU_CYCLE_1) | instskip(NEXT) | instid1(SALU_CYCLE_1)
	s_lshl_b64 s[26:27], s[22:23], 2
	s_add_u32 s22, s31, s26
	s_addc_u32 s23, s33, s27
	s_clause 0x2
	s_load_b32 s45, s[22:23], 0x8
	s_load_b32 s43, s[24:25], 0x6c
	;; [unrolled: 1-line block ×3, first 2 shown]
	s_mov_b32 s24, exec_lo
	s_waitcnt lgkmcnt(0)
	s_ashr_i32 s0, s45, 31
	s_delay_alu instid0(SALU_CYCLE_1) | instskip(NEXT) | instid1(VALU_DEP_1)
	v_or_b32_e32 v3, s0, v11
	v_cmpx_ne_u64_e32 0, v[2:3]
	s_xor_b32 s46, exec_lo, s24
	s_cbranch_execz .LBB13_28
; %bb.27:                               ;   in Loop: Header=BB13_22 Depth=2
	s_add_u32 s28, s45, s0
	s_mov_b32 s24, s0
	s_mov_b32 s25, s0
	s_addc_u32 s29, s0, s0
	v_ashrrev_i32_e32 v17, 31, v11
	s_xor_b64 s[28:29], s[28:29], s[24:25]
	s_delay_alu instid0(SALU_CYCLE_1) | instskip(SKIP_3) | instid1(VALU_DEP_1)
	v_cvt_f32_u32_e32 v3, s28
	v_cvt_f32_u32_e32 v5, s29
	s_sub_u32 s0, 0, s28
	s_subb_u32 s47, 0, s29
	v_fmac_f32_e32 v3, 0x4f800000, v5
	s_delay_alu instid0(VALU_DEP_1) | instskip(SKIP_2) | instid1(VALU_DEP_1)
	v_rcp_f32_e32 v3, v3
	s_waitcnt_depctr 0xfff
	v_mul_f32_e32 v3, 0x5f7ffffc, v3
	v_mul_f32_e32 v5, 0x2f800000, v3
	s_delay_alu instid0(VALU_DEP_1) | instskip(NEXT) | instid1(VALU_DEP_1)
	v_trunc_f32_e32 v5, v5
	v_fmac_f32_e32 v3, 0xcf800000, v5
	v_cvt_u32_f32_e32 v5, v5
	s_delay_alu instid0(VALU_DEP_2) | instskip(NEXT) | instid1(VALU_DEP_2)
	v_cvt_u32_f32_e32 v3, v3
	v_mul_lo_u32 v7, s0, v5
	s_delay_alu instid0(VALU_DEP_2) | instskip(SKIP_1) | instid1(VALU_DEP_2)
	v_mul_hi_u32 v9, s0, v3
	v_mul_lo_u32 v12, s47, v3
	v_add_nc_u32_e32 v7, v9, v7
	v_mul_lo_u32 v9, s0, v3
	s_delay_alu instid0(VALU_DEP_2) | instskip(NEXT) | instid1(VALU_DEP_2)
	v_add_nc_u32_e32 v7, v7, v12
	v_mul_hi_u32 v12, v3, v9
	s_delay_alu instid0(VALU_DEP_2)
	v_mul_lo_u32 v13, v3, v7
	v_mul_hi_u32 v14, v3, v7
	v_mul_hi_u32 v15, v5, v9
	v_mul_lo_u32 v9, v5, v9
	v_mul_hi_u32 v16, v5, v7
	v_mul_lo_u32 v7, v5, v7
	v_add_co_u32 v12, vcc_lo, v12, v13
	v_add_co_ci_u32_e32 v13, vcc_lo, 0, v14, vcc_lo
	s_delay_alu instid0(VALU_DEP_2) | instskip(NEXT) | instid1(VALU_DEP_2)
	v_add_co_u32 v9, vcc_lo, v12, v9
	v_add_co_ci_u32_e32 v9, vcc_lo, v13, v15, vcc_lo
	v_add_co_ci_u32_e32 v12, vcc_lo, 0, v16, vcc_lo
	s_delay_alu instid0(VALU_DEP_2) | instskip(NEXT) | instid1(VALU_DEP_2)
	v_add_co_u32 v7, vcc_lo, v9, v7
	v_add_co_ci_u32_e32 v9, vcc_lo, 0, v12, vcc_lo
	s_delay_alu instid0(VALU_DEP_2) | instskip(NEXT) | instid1(VALU_DEP_2)
	v_add_co_u32 v3, vcc_lo, v3, v7
	v_add_co_ci_u32_e32 v5, vcc_lo, v5, v9, vcc_lo
	s_delay_alu instid0(VALU_DEP_2) | instskip(SKIP_1) | instid1(VALU_DEP_3)
	v_mul_hi_u32 v7, s0, v3
	v_mul_lo_u32 v12, s47, v3
	v_mul_lo_u32 v9, s0, v5
	s_delay_alu instid0(VALU_DEP_1) | instskip(SKIP_1) | instid1(VALU_DEP_2)
	v_add_nc_u32_e32 v7, v7, v9
	v_mul_lo_u32 v9, s0, v3
	v_add_nc_u32_e32 v7, v7, v12
	s_delay_alu instid0(VALU_DEP_2) | instskip(NEXT) | instid1(VALU_DEP_2)
	v_mul_hi_u32 v12, v3, v9
	v_mul_lo_u32 v13, v3, v7
	v_mul_hi_u32 v14, v3, v7
	v_mul_hi_u32 v15, v5, v9
	v_mul_lo_u32 v9, v5, v9
	v_mul_hi_u32 v16, v5, v7
	v_mul_lo_u32 v7, v5, v7
	v_add_co_u32 v12, vcc_lo, v12, v13
	v_add_co_ci_u32_e32 v13, vcc_lo, 0, v14, vcc_lo
	s_delay_alu instid0(VALU_DEP_2) | instskip(NEXT) | instid1(VALU_DEP_2)
	v_add_co_u32 v9, vcc_lo, v12, v9
	v_add_co_ci_u32_e32 v9, vcc_lo, v13, v15, vcc_lo
	v_add_co_ci_u32_e32 v12, vcc_lo, 0, v16, vcc_lo
	v_add_co_u32 v13, vcc_lo, v10, v17
	v_add_co_ci_u32_e32 v11, vcc_lo, v11, v17, vcc_lo
	s_delay_alu instid0(VALU_DEP_4) | instskip(NEXT) | instid1(VALU_DEP_4)
	v_add_co_u32 v7, vcc_lo, v9, v7
	v_add_co_ci_u32_e32 v9, vcc_lo, 0, v12, vcc_lo
	s_delay_alu instid0(VALU_DEP_4) | instskip(NEXT) | instid1(VALU_DEP_3)
	v_xor_b32_e32 v21, v13, v17
	v_add_co_u32 v3, vcc_lo, v3, v7
	s_delay_alu instid0(VALU_DEP_3) | instskip(SKIP_1) | instid1(VALU_DEP_3)
	v_add_co_ci_u32_e32 v5, vcc_lo, v5, v9, vcc_lo
	v_xor_b32_e32 v7, v11, v17
	v_mul_hi_u32 v9, v21, v3
	s_delay_alu instid0(VALU_DEP_3) | instskip(NEXT) | instid1(VALU_DEP_3)
	v_mad_u64_u32 v[11:12], null, v21, v5, 0
	v_mad_u64_u32 v[13:14], null, v7, v3, 0
	;; [unrolled: 1-line block ×3, first 2 shown]
	s_delay_alu instid0(VALU_DEP_3) | instskip(NEXT) | instid1(VALU_DEP_4)
	v_add_co_u32 v3, vcc_lo, v9, v11
	v_add_co_ci_u32_e32 v5, vcc_lo, 0, v12, vcc_lo
	s_delay_alu instid0(VALU_DEP_2) | instskip(NEXT) | instid1(VALU_DEP_2)
	v_add_co_u32 v3, vcc_lo, v3, v13
	v_add_co_ci_u32_e32 v3, vcc_lo, v5, v14, vcc_lo
	v_add_co_ci_u32_e32 v5, vcc_lo, 0, v16, vcc_lo
	s_delay_alu instid0(VALU_DEP_2) | instskip(NEXT) | instid1(VALU_DEP_2)
	v_add_co_u32 v3, vcc_lo, v3, v15
	v_add_co_ci_u32_e32 v5, vcc_lo, 0, v5, vcc_lo
	s_delay_alu instid0(VALU_DEP_2) | instskip(SKIP_1) | instid1(VALU_DEP_3)
	v_mul_lo_u32 v9, s29, v3
	v_mad_u64_u32 v[11:12], null, s28, v3, 0
	v_mul_lo_u32 v13, s28, v5
	s_delay_alu instid0(VALU_DEP_2) | instskip(NEXT) | instid1(VALU_DEP_2)
	v_sub_co_u32 v11, vcc_lo, v21, v11
	v_add3_u32 v9, v12, v13, v9
	s_delay_alu instid0(VALU_DEP_1) | instskip(NEXT) | instid1(VALU_DEP_1)
	v_sub_nc_u32_e32 v12, v7, v9
	v_subrev_co_ci_u32_e64 v12, s0, s29, v12, vcc_lo
	v_add_co_u32 v13, s0, v3, 2
	s_delay_alu instid0(VALU_DEP_1) | instskip(SKIP_3) | instid1(VALU_DEP_3)
	v_add_co_ci_u32_e64 v14, s0, 0, v5, s0
	v_sub_co_u32 v15, s0, v11, s28
	v_sub_co_ci_u32_e32 v7, vcc_lo, v7, v9, vcc_lo
	v_subrev_co_ci_u32_e64 v12, s0, 0, v12, s0
	v_cmp_le_u32_e32 vcc_lo, s28, v15
	s_delay_alu instid0(VALU_DEP_3) | instskip(SKIP_1) | instid1(VALU_DEP_4)
	v_cmp_eq_u32_e64 s0, s29, v7
	v_cndmask_b32_e64 v9, 0, -1, vcc_lo
	v_cmp_le_u32_e32 vcc_lo, s29, v12
	v_cndmask_b32_e64 v15, 0, -1, vcc_lo
	v_cmp_le_u32_e32 vcc_lo, s28, v11
	v_cndmask_b32_e64 v11, 0, -1, vcc_lo
	v_cmp_le_u32_e32 vcc_lo, s29, v7
	v_cndmask_b32_e64 v16, 0, -1, vcc_lo
	v_cmp_eq_u32_e32 vcc_lo, s29, v12
	s_delay_alu instid0(VALU_DEP_2) | instskip(SKIP_3) | instid1(VALU_DEP_3)
	v_cndmask_b32_e64 v7, v16, v11, s0
	v_cndmask_b32_e32 v9, v15, v9, vcc_lo
	v_add_co_u32 v12, vcc_lo, v3, 1
	v_add_co_ci_u32_e32 v15, vcc_lo, 0, v5, vcc_lo
	v_cmp_ne_u32_e32 vcc_lo, 0, v9
	s_delay_alu instid0(VALU_DEP_2) | instskip(NEXT) | instid1(VALU_DEP_4)
	v_cndmask_b32_e32 v9, v15, v14, vcc_lo
	v_cndmask_b32_e32 v11, v12, v13, vcc_lo
	v_cmp_ne_u32_e32 vcc_lo, 0, v7
	v_xor_b32_e32 v7, s24, v17
	s_delay_alu instid0(VALU_DEP_3) | instskip(SKIP_2) | instid1(VALU_DEP_3)
	v_cndmask_b32_e32 v3, v3, v11, vcc_lo
	v_cndmask_b32_e32 v5, v5, v9, vcc_lo
	v_xor_b32_e32 v9, s25, v17
	v_xor_b32_e32 v3, v3, v7
	s_delay_alu instid0(VALU_DEP_2) | instskip(NEXT) | instid1(VALU_DEP_2)
	v_xor_b32_e32 v5, v5, v9
	v_sub_co_u32 v12, vcc_lo, v3, v7
	s_delay_alu instid0(VALU_DEP_2)
	v_sub_co_ci_u32_e32 v13, vcc_lo, v5, v9, vcc_lo
.LBB13_28:                              ;   in Loop: Header=BB13_22 Depth=2
	s_and_not1_saveexec_b32 s0, s46
	s_cbranch_execz .LBB13_30
; %bb.29:                               ;   in Loop: Header=BB13_22 Depth=2
	v_cvt_f32_u32_e32 v3, s45
	s_sub_i32 s24, 0, s45
	v_mov_b32_e32 v13, v2
	s_delay_alu instid0(VALU_DEP_2) | instskip(SKIP_2) | instid1(VALU_DEP_1)
	v_rcp_iflag_f32_e32 v3, v3
	s_waitcnt_depctr 0xfff
	v_mul_f32_e32 v3, 0x4f7ffffe, v3
	v_cvt_u32_f32_e32 v3, v3
	s_delay_alu instid0(VALU_DEP_1) | instskip(NEXT) | instid1(VALU_DEP_1)
	v_mul_lo_u32 v5, s24, v3
	v_mul_hi_u32 v5, v3, v5
	s_delay_alu instid0(VALU_DEP_1) | instskip(NEXT) | instid1(VALU_DEP_1)
	v_add_nc_u32_e32 v3, v3, v5
	v_mul_hi_u32 v3, v10, v3
	s_delay_alu instid0(VALU_DEP_1) | instskip(SKIP_1) | instid1(VALU_DEP_2)
	v_mul_lo_u32 v5, v3, s45
	v_add_nc_u32_e32 v7, 1, v3
	v_sub_nc_u32_e32 v5, v10, v5
	s_delay_alu instid0(VALU_DEP_1) | instskip(SKIP_1) | instid1(VALU_DEP_4)
	v_cmp_le_u32_e32 vcc_lo, s45, v5
	v_subrev_nc_u32_e32 v9, s45, v5
	v_cndmask_b32_e32 v3, v3, v7, vcc_lo
	s_delay_alu instid0(VALU_DEP_1) | instskip(NEXT) | instid1(VALU_DEP_3)
	v_add_nc_u32_e32 v7, 1, v3
	v_cndmask_b32_e32 v5, v5, v9, vcc_lo
	s_delay_alu instid0(VALU_DEP_1) | instskip(NEXT) | instid1(VALU_DEP_3)
	v_cmp_le_u32_e32 vcc_lo, s45, v5
	v_cndmask_b32_e32 v12, v3, v7, vcc_lo
.LBB13_30:                              ;   in Loop: Header=BB13_22 Depth=2
	s_or_b32 exec_lo, exec_lo, s0
	s_add_u32 s28, s36, s26
	s_addc_u32 s29, s37, s27
	s_add_i32 s24, s16, -2
	s_mov_b32 s25, s17
                                        ; implicit-def: $vgpr14_vgpr15
	s_delay_alu instid0(SALU_CYCLE_1) | instskip(NEXT) | instid1(SALU_CYCLE_1)
	s_lshl_b64 s[24:25], s[24:25], 2
	s_add_u32 s26, s31, s24
	s_addc_u32 s27, s33, s25
	s_clause 0x2
	s_load_b32 s48, s[26:27], 0x8
	s_load_b32 s46, s[22:23], 0x6c
	;; [unrolled: 1-line block ×3, first 2 shown]
	s_mov_b32 s22, exec_lo
	s_waitcnt lgkmcnt(0)
	s_ashr_i32 s0, s48, 31
	s_delay_alu instid0(SALU_CYCLE_1) | instskip(NEXT) | instid1(VALU_DEP_1)
	v_or_b32_e32 v3, s0, v13
	v_cmpx_ne_u64_e32 0, v[2:3]
	s_xor_b32 s49, exec_lo, s22
	s_cbranch_execz .LBB13_32
; %bb.31:                               ;   in Loop: Header=BB13_22 Depth=2
	s_add_u32 s28, s48, s0
	s_mov_b32 s22, s0
	s_mov_b32 s23, s0
	s_addc_u32 s29, s0, s0
	s_delay_alu instid0(SALU_CYCLE_1) | instskip(NEXT) | instid1(SALU_CYCLE_1)
	s_xor_b64 s[28:29], s[28:29], s[22:23]
	v_cvt_f32_u32_e32 v3, s28
	v_cvt_f32_u32_e32 v5, s29
	s_sub_u32 s0, 0, s28
	s_subb_u32 s50, 0, s29
	s_delay_alu instid0(VALU_DEP_1) | instskip(NEXT) | instid1(VALU_DEP_1)
	v_fmac_f32_e32 v3, 0x4f800000, v5
	v_rcp_f32_e32 v3, v3
	s_waitcnt_depctr 0xfff
	v_mul_f32_e32 v3, 0x5f7ffffc, v3
	s_delay_alu instid0(VALU_DEP_1) | instskip(NEXT) | instid1(VALU_DEP_1)
	v_mul_f32_e32 v5, 0x2f800000, v3
	v_trunc_f32_e32 v5, v5
	s_delay_alu instid0(VALU_DEP_1) | instskip(SKIP_1) | instid1(VALU_DEP_2)
	v_fmac_f32_e32 v3, 0xcf800000, v5
	v_cvt_u32_f32_e32 v5, v5
	v_cvt_u32_f32_e32 v3, v3
	s_delay_alu instid0(VALU_DEP_2) | instskip(NEXT) | instid1(VALU_DEP_2)
	v_mul_lo_u32 v7, s0, v5
	v_mul_hi_u32 v9, s0, v3
	v_mul_lo_u32 v11, s50, v3
	s_delay_alu instid0(VALU_DEP_2) | instskip(SKIP_1) | instid1(VALU_DEP_2)
	v_add_nc_u32_e32 v7, v9, v7
	v_mul_lo_u32 v9, s0, v3
	v_add_nc_u32_e32 v7, v7, v11
	s_delay_alu instid0(VALU_DEP_2) | instskip(NEXT) | instid1(VALU_DEP_2)
	v_mul_hi_u32 v11, v3, v9
	v_mul_lo_u32 v14, v3, v7
	v_mul_hi_u32 v15, v3, v7
	v_mul_hi_u32 v16, v5, v9
	v_mul_lo_u32 v9, v5, v9
	v_mul_hi_u32 v17, v5, v7
	v_mul_lo_u32 v7, v5, v7
	v_add_co_u32 v11, vcc_lo, v11, v14
	v_add_co_ci_u32_e32 v14, vcc_lo, 0, v15, vcc_lo
	s_delay_alu instid0(VALU_DEP_2) | instskip(NEXT) | instid1(VALU_DEP_2)
	v_add_co_u32 v9, vcc_lo, v11, v9
	v_add_co_ci_u32_e32 v9, vcc_lo, v14, v16, vcc_lo
	v_add_co_ci_u32_e32 v11, vcc_lo, 0, v17, vcc_lo
	v_ashrrev_i32_e32 v17, 31, v13
	s_delay_alu instid0(VALU_DEP_3) | instskip(NEXT) | instid1(VALU_DEP_3)
	v_add_co_u32 v7, vcc_lo, v9, v7
	v_add_co_ci_u32_e32 v9, vcc_lo, 0, v11, vcc_lo
	s_delay_alu instid0(VALU_DEP_2) | instskip(NEXT) | instid1(VALU_DEP_2)
	v_add_co_u32 v3, vcc_lo, v3, v7
	v_add_co_ci_u32_e32 v5, vcc_lo, v5, v9, vcc_lo
	s_delay_alu instid0(VALU_DEP_2) | instskip(SKIP_1) | instid1(VALU_DEP_3)
	v_mul_hi_u32 v7, s0, v3
	v_mul_lo_u32 v11, s50, v3
	v_mul_lo_u32 v9, s0, v5
	s_delay_alu instid0(VALU_DEP_1) | instskip(SKIP_1) | instid1(VALU_DEP_2)
	v_add_nc_u32_e32 v7, v7, v9
	v_mul_lo_u32 v9, s0, v3
	v_add_nc_u32_e32 v7, v7, v11
	s_delay_alu instid0(VALU_DEP_2) | instskip(NEXT) | instid1(VALU_DEP_2)
	v_mul_hi_u32 v11, v3, v9
	v_mul_lo_u32 v14, v3, v7
	v_mul_hi_u32 v15, v3, v7
	v_mul_hi_u32 v16, v5, v9
	v_mul_lo_u32 v9, v5, v9
	v_mul_hi_u32 v21, v5, v7
	v_mul_lo_u32 v7, v5, v7
	v_add_co_u32 v11, vcc_lo, v11, v14
	v_add_co_ci_u32_e32 v14, vcc_lo, 0, v15, vcc_lo
	s_delay_alu instid0(VALU_DEP_2) | instskip(NEXT) | instid1(VALU_DEP_2)
	v_add_co_u32 v9, vcc_lo, v11, v9
	v_add_co_ci_u32_e32 v9, vcc_lo, v14, v16, vcc_lo
	v_add_co_ci_u32_e32 v11, vcc_lo, 0, v21, vcc_lo
	v_add_co_u32 v14, vcc_lo, v12, v17
	v_add_co_ci_u32_e32 v13, vcc_lo, v13, v17, vcc_lo
	s_delay_alu instid0(VALU_DEP_4) | instskip(NEXT) | instid1(VALU_DEP_4)
	v_add_co_u32 v7, vcc_lo, v9, v7
	v_add_co_ci_u32_e32 v9, vcc_lo, 0, v11, vcc_lo
	s_delay_alu instid0(VALU_DEP_4) | instskip(NEXT) | instid1(VALU_DEP_3)
	v_xor_b32_e32 v11, v14, v17
	v_add_co_u32 v3, vcc_lo, v3, v7
	s_delay_alu instid0(VALU_DEP_3) | instskip(SKIP_1) | instid1(VALU_DEP_3)
	v_add_co_ci_u32_e32 v5, vcc_lo, v5, v9, vcc_lo
	v_xor_b32_e32 v7, v13, v17
	v_mul_hi_u32 v9, v11, v3
	s_delay_alu instid0(VALU_DEP_3) | instskip(NEXT) | instid1(VALU_DEP_3)
	v_mad_u64_u32 v[13:14], null, v11, v5, 0
	v_mad_u64_u32 v[15:16], null, v7, v3, 0
	;; [unrolled: 1-line block ×3, first 2 shown]
	s_delay_alu instid0(VALU_DEP_3) | instskip(NEXT) | instid1(VALU_DEP_4)
	v_add_co_u32 v3, vcc_lo, v9, v13
	v_add_co_ci_u32_e32 v5, vcc_lo, 0, v14, vcc_lo
	s_delay_alu instid0(VALU_DEP_2) | instskip(NEXT) | instid1(VALU_DEP_2)
	v_add_co_u32 v3, vcc_lo, v3, v15
	v_add_co_ci_u32_e32 v3, vcc_lo, v5, v16, vcc_lo
	v_add_co_ci_u32_e32 v5, vcc_lo, 0, v22, vcc_lo
	s_delay_alu instid0(VALU_DEP_2) | instskip(NEXT) | instid1(VALU_DEP_2)
	v_add_co_u32 v3, vcc_lo, v3, v21
	v_add_co_ci_u32_e32 v5, vcc_lo, 0, v5, vcc_lo
	s_delay_alu instid0(VALU_DEP_2) | instskip(SKIP_1) | instid1(VALU_DEP_3)
	v_mul_lo_u32 v9, s29, v3
	v_mad_u64_u32 v[13:14], null, s28, v3, 0
	v_mul_lo_u32 v15, s28, v5
	s_delay_alu instid0(VALU_DEP_2) | instskip(NEXT) | instid1(VALU_DEP_2)
	v_sub_co_u32 v11, vcc_lo, v11, v13
	v_add3_u32 v9, v14, v15, v9
	s_delay_alu instid0(VALU_DEP_1) | instskip(NEXT) | instid1(VALU_DEP_1)
	v_sub_nc_u32_e32 v14, v7, v9
	v_subrev_co_ci_u32_e64 v13, s0, s29, v14, vcc_lo
	v_add_co_u32 v14, s0, v3, 2
	s_delay_alu instid0(VALU_DEP_1) | instskip(SKIP_3) | instid1(VALU_DEP_3)
	v_add_co_ci_u32_e64 v15, s0, 0, v5, s0
	v_sub_co_u32 v16, s0, v11, s28
	v_sub_co_ci_u32_e32 v7, vcc_lo, v7, v9, vcc_lo
	v_subrev_co_ci_u32_e64 v13, s0, 0, v13, s0
	v_cmp_le_u32_e32 vcc_lo, s28, v16
	s_delay_alu instid0(VALU_DEP_3) | instskip(SKIP_1) | instid1(VALU_DEP_4)
	v_cmp_eq_u32_e64 s0, s29, v7
	v_cndmask_b32_e64 v9, 0, -1, vcc_lo
	v_cmp_le_u32_e32 vcc_lo, s29, v13
	v_cndmask_b32_e64 v16, 0, -1, vcc_lo
	v_cmp_le_u32_e32 vcc_lo, s28, v11
	;; [unrolled: 2-line block ×3, first 2 shown]
	v_cndmask_b32_e64 v21, 0, -1, vcc_lo
	v_cmp_eq_u32_e32 vcc_lo, s29, v13
	s_delay_alu instid0(VALU_DEP_2) | instskip(SKIP_3) | instid1(VALU_DEP_3)
	v_cndmask_b32_e64 v7, v21, v11, s0
	v_cndmask_b32_e32 v9, v16, v9, vcc_lo
	v_add_co_u32 v13, vcc_lo, v3, 1
	v_add_co_ci_u32_e32 v16, vcc_lo, 0, v5, vcc_lo
	v_cmp_ne_u32_e32 vcc_lo, 0, v9
	s_delay_alu instid0(VALU_DEP_2) | instskip(NEXT) | instid1(VALU_DEP_4)
	v_cndmask_b32_e32 v9, v16, v15, vcc_lo
	v_cndmask_b32_e32 v11, v13, v14, vcc_lo
	v_cmp_ne_u32_e32 vcc_lo, 0, v7
	v_xor_b32_e32 v7, s22, v17
	s_delay_alu instid0(VALU_DEP_3) | instskip(SKIP_2) | instid1(VALU_DEP_3)
	v_cndmask_b32_e32 v3, v3, v11, vcc_lo
	v_cndmask_b32_e32 v5, v5, v9, vcc_lo
	v_xor_b32_e32 v9, s23, v17
	v_xor_b32_e32 v3, v3, v7
	s_delay_alu instid0(VALU_DEP_2) | instskip(NEXT) | instid1(VALU_DEP_2)
	v_xor_b32_e32 v5, v5, v9
	v_sub_co_u32 v14, vcc_lo, v3, v7
	s_delay_alu instid0(VALU_DEP_2)
	v_sub_co_ci_u32_e32 v15, vcc_lo, v5, v9, vcc_lo
.LBB13_32:                              ;   in Loop: Header=BB13_22 Depth=2
	s_and_not1_saveexec_b32 s0, s49
	s_cbranch_execz .LBB13_34
; %bb.33:                               ;   in Loop: Header=BB13_22 Depth=2
	v_cvt_f32_u32_e32 v3, s48
	s_sub_i32 s22, 0, s48
	v_mov_b32_e32 v15, v2
	s_delay_alu instid0(VALU_DEP_2) | instskip(SKIP_2) | instid1(VALU_DEP_1)
	v_rcp_iflag_f32_e32 v3, v3
	s_waitcnt_depctr 0xfff
	v_mul_f32_e32 v3, 0x4f7ffffe, v3
	v_cvt_u32_f32_e32 v3, v3
	s_delay_alu instid0(VALU_DEP_1) | instskip(NEXT) | instid1(VALU_DEP_1)
	v_mul_lo_u32 v5, s22, v3
	v_mul_hi_u32 v5, v3, v5
	s_delay_alu instid0(VALU_DEP_1) | instskip(NEXT) | instid1(VALU_DEP_1)
	v_add_nc_u32_e32 v3, v3, v5
	v_mul_hi_u32 v3, v12, v3
	s_delay_alu instid0(VALU_DEP_1) | instskip(SKIP_1) | instid1(VALU_DEP_2)
	v_mul_lo_u32 v5, v3, s48
	v_add_nc_u32_e32 v7, 1, v3
	v_sub_nc_u32_e32 v5, v12, v5
	s_delay_alu instid0(VALU_DEP_1) | instskip(SKIP_1) | instid1(VALU_DEP_4)
	v_cmp_le_u32_e32 vcc_lo, s48, v5
	v_subrev_nc_u32_e32 v9, s48, v5
	v_cndmask_b32_e32 v3, v3, v7, vcc_lo
	s_delay_alu instid0(VALU_DEP_1) | instskip(NEXT) | instid1(VALU_DEP_3)
	v_add_nc_u32_e32 v7, 1, v3
	v_cndmask_b32_e32 v5, v5, v9, vcc_lo
	s_delay_alu instid0(VALU_DEP_1) | instskip(NEXT) | instid1(VALU_DEP_3)
	v_cmp_le_u32_e32 vcc_lo, s48, v5
	v_cndmask_b32_e32 v14, v3, v7, vcc_lo
.LBB13_34:                              ;   in Loop: Header=BB13_22 Depth=2
	s_or_b32 exec_lo, exec_lo, s0
	s_add_u32 s28, s36, s24
	s_addc_u32 s29, s37, s25
	s_add_i32 s22, s16, -3
	s_mov_b32 s23, s17
                                        ; implicit-def: $vgpr16_vgpr17
	s_delay_alu instid0(SALU_CYCLE_1) | instskip(NEXT) | instid1(SALU_CYCLE_1)
	s_lshl_b64 s[24:25], s[22:23], 2
	s_add_u32 s22, s31, s24
	s_addc_u32 s23, s33, s25
	s_clause 0x2
	s_load_b32 s51, s[22:23], 0x8
	s_load_b32 s49, s[26:27], 0x6c
	;; [unrolled: 1-line block ×3, first 2 shown]
	s_mov_b32 s26, exec_lo
	s_waitcnt lgkmcnt(0)
	s_ashr_i32 s0, s51, 31
	s_delay_alu instid0(SALU_CYCLE_1) | instskip(NEXT) | instid1(VALU_DEP_1)
	v_or_b32_e32 v3, s0, v15
	v_cmpx_ne_u64_e32 0, v[2:3]
	s_xor_b32 s52, exec_lo, s26
	s_cbranch_execz .LBB13_36
; %bb.35:                               ;   in Loop: Header=BB13_22 Depth=2
	s_add_u32 s28, s51, s0
	s_mov_b32 s26, s0
	s_mov_b32 s27, s0
	s_addc_u32 s29, s0, s0
	s_delay_alu instid0(SALU_CYCLE_1) | instskip(NEXT) | instid1(SALU_CYCLE_1)
	s_xor_b64 s[28:29], s[28:29], s[26:27]
	v_cvt_f32_u32_e32 v3, s28
	v_cvt_f32_u32_e32 v5, s29
	s_sub_u32 s0, 0, s28
	s_subb_u32 s53, 0, s29
	s_delay_alu instid0(VALU_DEP_1) | instskip(NEXT) | instid1(VALU_DEP_1)
	v_fmac_f32_e32 v3, 0x4f800000, v5
	v_rcp_f32_e32 v3, v3
	s_waitcnt_depctr 0xfff
	v_mul_f32_e32 v3, 0x5f7ffffc, v3
	s_delay_alu instid0(VALU_DEP_1) | instskip(NEXT) | instid1(VALU_DEP_1)
	v_mul_f32_e32 v5, 0x2f800000, v3
	v_trunc_f32_e32 v5, v5
	s_delay_alu instid0(VALU_DEP_1) | instskip(SKIP_1) | instid1(VALU_DEP_2)
	v_fmac_f32_e32 v3, 0xcf800000, v5
	v_cvt_u32_f32_e32 v5, v5
	v_cvt_u32_f32_e32 v3, v3
	s_delay_alu instid0(VALU_DEP_2) | instskip(NEXT) | instid1(VALU_DEP_2)
	v_mul_lo_u32 v7, s0, v5
	v_mul_hi_u32 v9, s0, v3
	v_mul_lo_u32 v11, s53, v3
	s_delay_alu instid0(VALU_DEP_2) | instskip(SKIP_1) | instid1(VALU_DEP_2)
	v_add_nc_u32_e32 v7, v9, v7
	v_mul_lo_u32 v9, s0, v3
	v_add_nc_u32_e32 v7, v7, v11
	s_delay_alu instid0(VALU_DEP_2) | instskip(NEXT) | instid1(VALU_DEP_2)
	v_mul_hi_u32 v11, v3, v9
	v_mul_lo_u32 v13, v3, v7
	v_mul_hi_u32 v16, v3, v7
	v_mul_hi_u32 v17, v5, v9
	v_mul_lo_u32 v9, v5, v9
	v_mul_hi_u32 v21, v5, v7
	v_mul_lo_u32 v7, v5, v7
	v_add_co_u32 v11, vcc_lo, v11, v13
	v_add_co_ci_u32_e32 v13, vcc_lo, 0, v16, vcc_lo
	s_delay_alu instid0(VALU_DEP_2) | instskip(NEXT) | instid1(VALU_DEP_2)
	v_add_co_u32 v9, vcc_lo, v11, v9
	v_add_co_ci_u32_e32 v9, vcc_lo, v13, v17, vcc_lo
	v_add_co_ci_u32_e32 v11, vcc_lo, 0, v21, vcc_lo
	v_ashrrev_i32_e32 v17, 31, v15
	s_delay_alu instid0(VALU_DEP_3) | instskip(NEXT) | instid1(VALU_DEP_3)
	v_add_co_u32 v7, vcc_lo, v9, v7
	v_add_co_ci_u32_e32 v9, vcc_lo, 0, v11, vcc_lo
	s_delay_alu instid0(VALU_DEP_2) | instskip(NEXT) | instid1(VALU_DEP_2)
	v_add_co_u32 v3, vcc_lo, v3, v7
	v_add_co_ci_u32_e32 v5, vcc_lo, v5, v9, vcc_lo
	s_delay_alu instid0(VALU_DEP_2) | instskip(SKIP_1) | instid1(VALU_DEP_3)
	v_mul_hi_u32 v7, s0, v3
	v_mul_lo_u32 v11, s53, v3
	v_mul_lo_u32 v9, s0, v5
	s_delay_alu instid0(VALU_DEP_1) | instskip(SKIP_1) | instid1(VALU_DEP_2)
	v_add_nc_u32_e32 v7, v7, v9
	v_mul_lo_u32 v9, s0, v3
	v_add_nc_u32_e32 v7, v7, v11
	s_delay_alu instid0(VALU_DEP_2) | instskip(NEXT) | instid1(VALU_DEP_2)
	v_mul_hi_u32 v11, v3, v9
	v_mul_lo_u32 v13, v3, v7
	v_mul_hi_u32 v16, v3, v7
	v_mul_hi_u32 v21, v5, v9
	v_mul_lo_u32 v9, v5, v9
	v_mul_hi_u32 v22, v5, v7
	v_mul_lo_u32 v7, v5, v7
	v_add_co_u32 v11, vcc_lo, v11, v13
	v_add_co_ci_u32_e32 v13, vcc_lo, 0, v16, vcc_lo
	s_delay_alu instid0(VALU_DEP_2) | instskip(NEXT) | instid1(VALU_DEP_2)
	v_add_co_u32 v9, vcc_lo, v11, v9
	v_add_co_ci_u32_e32 v9, vcc_lo, v13, v21, vcc_lo
	v_add_co_ci_u32_e32 v11, vcc_lo, 0, v22, vcc_lo
	v_add_co_u32 v13, vcc_lo, v14, v17
	v_add_co_ci_u32_e32 v15, vcc_lo, v15, v17, vcc_lo
	s_delay_alu instid0(VALU_DEP_4) | instskip(NEXT) | instid1(VALU_DEP_4)
	v_add_co_u32 v7, vcc_lo, v9, v7
	v_add_co_ci_u32_e32 v9, vcc_lo, 0, v11, vcc_lo
	s_delay_alu instid0(VALU_DEP_4) | instskip(NEXT) | instid1(VALU_DEP_3)
	v_xor_b32_e32 v11, v13, v17
	v_add_co_u32 v3, vcc_lo, v3, v7
	s_delay_alu instid0(VALU_DEP_3) | instskip(SKIP_1) | instid1(VALU_DEP_3)
	v_add_co_ci_u32_e32 v5, vcc_lo, v5, v9, vcc_lo
	v_xor_b32_e32 v7, v15, v17
	v_mul_hi_u32 v9, v11, v3
	s_delay_alu instid0(VALU_DEP_3) | instskip(NEXT) | instid1(VALU_DEP_3)
	v_mad_u64_u32 v[15:16], null, v11, v5, 0
	v_mad_u64_u32 v[21:22], null, v7, v3, 0
	;; [unrolled: 1-line block ×3, first 2 shown]
	s_delay_alu instid0(VALU_DEP_3) | instskip(NEXT) | instid1(VALU_DEP_4)
	v_add_co_u32 v3, vcc_lo, v9, v15
	v_add_co_ci_u32_e32 v5, vcc_lo, 0, v16, vcc_lo
	s_delay_alu instid0(VALU_DEP_2) | instskip(NEXT) | instid1(VALU_DEP_2)
	v_add_co_u32 v3, vcc_lo, v3, v21
	v_add_co_ci_u32_e32 v3, vcc_lo, v5, v22, vcc_lo
	v_add_co_ci_u32_e32 v5, vcc_lo, 0, v24, vcc_lo
	s_delay_alu instid0(VALU_DEP_2) | instskip(NEXT) | instid1(VALU_DEP_2)
	v_add_co_u32 v3, vcc_lo, v3, v23
	v_add_co_ci_u32_e32 v5, vcc_lo, 0, v5, vcc_lo
	s_delay_alu instid0(VALU_DEP_2) | instskip(SKIP_1) | instid1(VALU_DEP_3)
	v_mul_lo_u32 v9, s29, v3
	v_mad_u64_u32 v[15:16], null, s28, v3, 0
	v_mul_lo_u32 v13, s28, v5
	s_delay_alu instid0(VALU_DEP_2) | instskip(NEXT) | instid1(VALU_DEP_2)
	v_sub_co_u32 v11, vcc_lo, v11, v15
	v_add3_u32 v9, v16, v13, v9
	s_delay_alu instid0(VALU_DEP_1) | instskip(NEXT) | instid1(VALU_DEP_1)
	v_sub_nc_u32_e32 v13, v7, v9
	v_subrev_co_ci_u32_e64 v13, s0, s29, v13, vcc_lo
	v_add_co_u32 v15, s0, v3, 2
	s_delay_alu instid0(VALU_DEP_1) | instskip(SKIP_3) | instid1(VALU_DEP_3)
	v_add_co_ci_u32_e64 v16, s0, 0, v5, s0
	v_sub_co_u32 v21, s0, v11, s28
	v_sub_co_ci_u32_e32 v7, vcc_lo, v7, v9, vcc_lo
	v_subrev_co_ci_u32_e64 v13, s0, 0, v13, s0
	v_cmp_le_u32_e32 vcc_lo, s28, v21
	s_delay_alu instid0(VALU_DEP_3) | instskip(SKIP_1) | instid1(VALU_DEP_4)
	v_cmp_eq_u32_e64 s0, s29, v7
	v_cndmask_b32_e64 v9, 0, -1, vcc_lo
	v_cmp_le_u32_e32 vcc_lo, s29, v13
	v_cndmask_b32_e64 v21, 0, -1, vcc_lo
	v_cmp_le_u32_e32 vcc_lo, s28, v11
	;; [unrolled: 2-line block ×3, first 2 shown]
	v_cndmask_b32_e64 v22, 0, -1, vcc_lo
	v_cmp_eq_u32_e32 vcc_lo, s29, v13
	s_delay_alu instid0(VALU_DEP_2) | instskip(SKIP_3) | instid1(VALU_DEP_3)
	v_cndmask_b32_e64 v7, v22, v11, s0
	v_cndmask_b32_e32 v9, v21, v9, vcc_lo
	v_add_co_u32 v13, vcc_lo, v3, 1
	v_add_co_ci_u32_e32 v21, vcc_lo, 0, v5, vcc_lo
	v_cmp_ne_u32_e32 vcc_lo, 0, v9
	s_delay_alu instid0(VALU_DEP_2) | instskip(NEXT) | instid1(VALU_DEP_4)
	v_cndmask_b32_e32 v9, v21, v16, vcc_lo
	v_cndmask_b32_e32 v11, v13, v15, vcc_lo
	v_cmp_ne_u32_e32 vcc_lo, 0, v7
	v_xor_b32_e32 v7, s26, v17
	s_delay_alu instid0(VALU_DEP_3) | instskip(SKIP_2) | instid1(VALU_DEP_3)
	v_cndmask_b32_e32 v3, v3, v11, vcc_lo
	v_cndmask_b32_e32 v5, v5, v9, vcc_lo
	v_xor_b32_e32 v9, s27, v17
	v_xor_b32_e32 v3, v3, v7
	s_delay_alu instid0(VALU_DEP_2) | instskip(NEXT) | instid1(VALU_DEP_2)
	v_xor_b32_e32 v5, v5, v9
	v_sub_co_u32 v16, vcc_lo, v3, v7
	s_delay_alu instid0(VALU_DEP_2)
	v_sub_co_ci_u32_e32 v17, vcc_lo, v5, v9, vcc_lo
.LBB13_36:                              ;   in Loop: Header=BB13_22 Depth=2
	s_and_not1_saveexec_b32 s0, s52
	s_cbranch_execz .LBB13_38
; %bb.37:                               ;   in Loop: Header=BB13_22 Depth=2
	v_cvt_f32_u32_e32 v3, s51
	s_sub_i32 s26, 0, s51
	v_mov_b32_e32 v17, v2
	s_delay_alu instid0(VALU_DEP_2) | instskip(SKIP_2) | instid1(VALU_DEP_1)
	v_rcp_iflag_f32_e32 v3, v3
	s_waitcnt_depctr 0xfff
	v_mul_f32_e32 v3, 0x4f7ffffe, v3
	v_cvt_u32_f32_e32 v3, v3
	s_delay_alu instid0(VALU_DEP_1) | instskip(NEXT) | instid1(VALU_DEP_1)
	v_mul_lo_u32 v5, s26, v3
	v_mul_hi_u32 v5, v3, v5
	s_delay_alu instid0(VALU_DEP_1) | instskip(NEXT) | instid1(VALU_DEP_1)
	v_add_nc_u32_e32 v3, v3, v5
	v_mul_hi_u32 v3, v14, v3
	s_delay_alu instid0(VALU_DEP_1) | instskip(SKIP_1) | instid1(VALU_DEP_2)
	v_mul_lo_u32 v5, v3, s51
	v_add_nc_u32_e32 v7, 1, v3
	v_sub_nc_u32_e32 v5, v14, v5
	s_delay_alu instid0(VALU_DEP_1) | instskip(SKIP_1) | instid1(VALU_DEP_4)
	v_cmp_le_u32_e32 vcc_lo, s51, v5
	v_subrev_nc_u32_e32 v9, s51, v5
	v_cndmask_b32_e32 v3, v3, v7, vcc_lo
	s_delay_alu instid0(VALU_DEP_1) | instskip(NEXT) | instid1(VALU_DEP_3)
	v_add_nc_u32_e32 v7, 1, v3
	v_cndmask_b32_e32 v5, v5, v9, vcc_lo
	s_delay_alu instid0(VALU_DEP_1) | instskip(NEXT) | instid1(VALU_DEP_3)
	v_cmp_le_u32_e32 vcc_lo, s51, v5
	v_cndmask_b32_e32 v16, v3, v7, vcc_lo
.LBB13_38:                              ;   in Loop: Header=BB13_22 Depth=2
	s_or_b32 exec_lo, exec_lo, s0
	s_add_u32 s24, s36, s24
	s_addc_u32 s25, s37, s25
	v_mul_lo_u32 v3, v10, s13
	s_clause 0x1
	s_load_b32 s0, s[22:23], 0x6c
	s_load_b32 s13, s[24:25], 0x0
	v_mul_lo_u32 v5, v12, s45
	v_mul_lo_u32 v7, v14, s48
	;; [unrolled: 1-line block ×3, first 2 shown]
	s_add_i32 s16, s16, -4
	s_delay_alu instid0(SALU_CYCLE_1) | instskip(SKIP_1) | instid1(VALU_DEP_4)
	s_cmp_eq_u32 s16, -1
	v_sub_nc_u32_e32 v3, v8, v3
	v_sub_nc_u32_e32 v5, v10, v5
	s_delay_alu instid0(VALU_DEP_4) | instskip(NEXT) | instid1(VALU_DEP_4)
	v_sub_nc_u32_e32 v7, v12, v7
	v_sub_nc_u32_e32 v8, v14, v9
	s_delay_alu instid0(VALU_DEP_4)
	v_mul_lo_u32 v9, s43, v3
	v_mul_lo_u32 v3, s44, v3
	;; [unrolled: 1-line block ×6, first 2 shown]
	s_waitcnt lgkmcnt(0)
	v_mul_lo_u32 v12, s0, v8
	v_mul_lo_u32 v8, s13, v8
	v_add3_u32 v6, v9, v6, v10
	v_add3_u32 v3, v3, v4, v5
	s_delay_alu instid0(VALU_DEP_2) | instskip(NEXT) | instid1(VALU_DEP_2)
	v_add3_u32 v6, v11, v6, v12
	v_add3_u32 v4, v7, v3, v8
	s_cbranch_scc1 .LBB13_40
; %bb.39:                               ;   in Loop: Header=BB13_22 Depth=2
	v_dual_mov_b32 v8, v16 :: v_dual_mov_b32 v9, v17
	s_branch .LBB13_22
.LBB13_40:                              ;   in Loop: Header=BB13_3 Depth=1
	v_mov_b32_e32 v10, 0
	v_sub_nc_u32_e32 v8, v19, v20
	v_mov_b32_e32 v11, 0
	s_mov_b32 s13, exec_lo
	s_delay_alu instid0(VALU_DEP_2) | instskip(NEXT) | instid1(VALU_DEP_2)
	v_ashrrev_i32_e32 v9, 31, v8
	v_dual_mov_b32 v15, v11 :: v_dual_mov_b32 v14, v10
	s_delay_alu instid0(VALU_DEP_2)
	v_cmpx_ge_i64_e64 s[4:5], v[8:9]
	s_cbranch_execz .LBB13_46
; %bb.41:                               ;   in Loop: Header=BB13_3 Depth=1
	v_mov_b32_e32 v10, 0
	v_mov_b32_e32 v11, 0
	s_mov_b32 s0, exec_lo
	s_delay_alu instid0(VALU_DEP_1)
	v_dual_mov_b32 v13, v11 :: v_dual_mov_b32 v12, v10
	v_cmpx_gt_i32_e64 s9, v19
	s_cbranch_execz .LBB13_45
; %bb.42:                               ;   in Loop: Header=BB13_3 Depth=1
	v_ashrrev_i32_e32 v7, 31, v6
	v_dual_mov_b32 v12, 0 :: v_dual_add_nc_u32 v3, 1, v19
	v_mov_b32_e32 v13, 0
	s_mov_b32 s16, exec_lo
	s_delay_alu instid0(VALU_DEP_3) | instskip(NEXT) | instid1(VALU_DEP_1)
	v_lshlrev_b64 v[5:6], 3, v[6:7]
	v_add_co_u32 v5, vcc_lo, s2, v5
	s_delay_alu instid0(VALU_DEP_2)
	v_add_co_ci_u32_e32 v6, vcc_lo, s3, v6, vcc_lo
	global_load_b64 v[10:11], v[5:6], off
	v_cmpx_gt_i32_e64 s9, v3
	s_xor_b32 s16, exec_lo, s16
	s_cbranch_execz .LBB13_44
; %bb.43:                               ;   in Loop: Header=BB13_3 Depth=1
	s_lshl_b64 s[22:23], s[18:19], 3
	s_delay_alu instid0(SALU_CYCLE_1)
	v_add_co_u32 v5, vcc_lo, v5, s22
	v_add_co_ci_u32_e32 v6, vcc_lo, s23, v6, vcc_lo
	global_load_b64 v[12:13], v[5:6], off
.LBB13_44:                              ;   in Loop: Header=BB13_3 Depth=1
	s_or_b32 exec_lo, exec_lo, s16
.LBB13_45:                              ;   in Loop: Header=BB13_3 Depth=1
	s_delay_alu instid0(SALU_CYCLE_1) | instskip(SKIP_3) | instid1(VALU_DEP_1)
	s_or_b32 exec_lo, exec_lo, s0
	v_cmp_ge_i64_e32 vcc_lo, s[4:5], v[8:9]
	s_waitcnt vmcnt(0)
	v_dual_cndmask_b32 v14, 0, v10 :: v_dual_add_nc_u32 v5, 1, v8
	v_ashrrev_i32_e32 v6, 31, v5
	v_cndmask_b32_e32 v15, 0, v11, vcc_lo
	s_delay_alu instid0(VALU_DEP_2) | instskip(NEXT) | instid1(VALU_DEP_1)
	v_cmp_ge_i64_e64 s0, s[4:5], v[5:6]
	v_cndmask_b32_e64 v11, 0, v13, s0
	v_cndmask_b32_e64 v10, 0, v12, s0
.LBB13_46:                              ;   in Loop: Header=BB13_3 Depth=1
	s_or_b32 exec_lo, exec_lo, s13
	s_delay_alu instid0(SALU_CYCLE_1)
	s_mov_b32 s0, exec_lo
	v_cmpx_gt_i32_e64 s9, v19
	s_cbranch_execz .LBB13_2
; %bb.47:                               ;   in Loop: Header=BB13_3 Depth=1
	v_ashrrev_i32_e32 v5, 31, v4
	s_mov_b32 s13, exec_lo
	s_delay_alu instid0(VALU_DEP_1) | instskip(SKIP_1) | instid1(VALU_DEP_2)
	v_lshlrev_b64 v[3:4], 3, v[4:5]
	v_add_nc_u32_e32 v5, 1, v19
	v_add_co_u32 v3, vcc_lo, s14, v3
	s_delay_alu instid0(VALU_DEP_3)
	v_add_co_ci_u32_e32 v4, vcc_lo, s15, v4, vcc_lo
	global_store_b64 v[3:4], v[14:15], off
	v_cmpx_gt_i32_e64 s9, v5
	s_xor_b32 s13, exec_lo, s13
	s_cbranch_execz .LBB13_2
; %bb.48:                               ;   in Loop: Header=BB13_3 Depth=1
	s_lshl_b64 s[22:23], s[20:21], 3
	s_delay_alu instid0(SALU_CYCLE_1)
	v_add_co_u32 v3, vcc_lo, v3, s22
	v_add_co_ci_u32_e32 v4, vcc_lo, s23, v4, vcc_lo
	global_store_b64 v[3:4], v[10:11], off
	s_branch .LBB13_2
.LBB13_49:
	s_nop 0
	s_sendmsg sendmsg(MSG_DEALLOC_VGPRS)
	s_endpgm
	.section	.rodata,"a",@progbits
	.p2align	6, 0x0
	.amdhsa_kernel _ZN2at6native16triu_tril_kernelIliLb0ELi2ELb0EEEvNS_4cuda6detail10TensorInfoIT_T0_EENS4_IKS5_S6_EEllS6_
		.amdhsa_group_segment_fixed_size 0
		.amdhsa_private_segment_fixed_size 0
		.amdhsa_kernarg_size 712
		.amdhsa_user_sgpr_count 15
		.amdhsa_user_sgpr_dispatch_ptr 0
		.amdhsa_user_sgpr_queue_ptr 0
		.amdhsa_user_sgpr_kernarg_segment_ptr 1
		.amdhsa_user_sgpr_dispatch_id 0
		.amdhsa_user_sgpr_private_segment_size 0
		.amdhsa_wavefront_size32 1
		.amdhsa_uses_dynamic_stack 0
		.amdhsa_enable_private_segment 0
		.amdhsa_system_sgpr_workgroup_id_x 1
		.amdhsa_system_sgpr_workgroup_id_y 0
		.amdhsa_system_sgpr_workgroup_id_z 0
		.amdhsa_system_sgpr_workgroup_info 0
		.amdhsa_system_vgpr_workitem_id 0
		.amdhsa_next_free_vgpr 25
		.amdhsa_next_free_sgpr 54
		.amdhsa_reserve_vcc 1
		.amdhsa_float_round_mode_32 0
		.amdhsa_float_round_mode_16_64 0
		.amdhsa_float_denorm_mode_32 3
		.amdhsa_float_denorm_mode_16_64 3
		.amdhsa_dx10_clamp 1
		.amdhsa_ieee_mode 1
		.amdhsa_fp16_overflow 0
		.amdhsa_workgroup_processor_mode 1
		.amdhsa_memory_ordered 1
		.amdhsa_forward_progress 0
		.amdhsa_shared_vgpr_count 0
		.amdhsa_exception_fp_ieee_invalid_op 0
		.amdhsa_exception_fp_denorm_src 0
		.amdhsa_exception_fp_ieee_div_zero 0
		.amdhsa_exception_fp_ieee_overflow 0
		.amdhsa_exception_fp_ieee_underflow 0
		.amdhsa_exception_fp_ieee_inexact 0
		.amdhsa_exception_int_div_zero 0
	.end_amdhsa_kernel
	.section	.text._ZN2at6native16triu_tril_kernelIliLb0ELi2ELb0EEEvNS_4cuda6detail10TensorInfoIT_T0_EENS4_IKS5_S6_EEllS6_,"axG",@progbits,_ZN2at6native16triu_tril_kernelIliLb0ELi2ELb0EEEvNS_4cuda6detail10TensorInfoIT_T0_EENS4_IKS5_S6_EEllS6_,comdat
.Lfunc_end13:
	.size	_ZN2at6native16triu_tril_kernelIliLb0ELi2ELb0EEEvNS_4cuda6detail10TensorInfoIT_T0_EENS4_IKS5_S6_EEllS6_, .Lfunc_end13-_ZN2at6native16triu_tril_kernelIliLb0ELi2ELb0EEEvNS_4cuda6detail10TensorInfoIT_T0_EENS4_IKS5_S6_EEllS6_
                                        ; -- End function
	.section	.AMDGPU.csdata,"",@progbits
; Kernel info:
; codeLenInByte = 8388
; NumSgprs: 56
; NumVgprs: 25
; ScratchSize: 0
; MemoryBound: 0
; FloatMode: 240
; IeeeMode: 1
; LDSByteSize: 0 bytes/workgroup (compile time only)
; SGPRBlocks: 6
; VGPRBlocks: 3
; NumSGPRsForWavesPerEU: 56
; NumVGPRsForWavesPerEU: 25
; Occupancy: 16
; WaveLimiterHint : 0
; COMPUTE_PGM_RSRC2:SCRATCH_EN: 0
; COMPUTE_PGM_RSRC2:USER_SGPR: 15
; COMPUTE_PGM_RSRC2:TRAP_HANDLER: 0
; COMPUTE_PGM_RSRC2:TGID_X_EN: 1
; COMPUTE_PGM_RSRC2:TGID_Y_EN: 0
; COMPUTE_PGM_RSRC2:TGID_Z_EN: 0
; COMPUTE_PGM_RSRC2:TIDIG_COMP_CNT: 0
	.section	.text._ZN2at6native16triu_tril_kernelIllLb0ELi2ELb1EEEvNS_4cuda6detail10TensorInfoIT_T0_EENS4_IKS5_S6_EEllS6_,"axG",@progbits,_ZN2at6native16triu_tril_kernelIllLb0ELi2ELb1EEEvNS_4cuda6detail10TensorInfoIT_T0_EENS4_IKS5_S6_EEllS6_,comdat
	.protected	_ZN2at6native16triu_tril_kernelIllLb0ELi2ELb1EEEvNS_4cuda6detail10TensorInfoIT_T0_EENS4_IKS5_S6_EEllS6_ ; -- Begin function _ZN2at6native16triu_tril_kernelIllLb0ELi2ELb1EEEvNS_4cuda6detail10TensorInfoIT_T0_EENS4_IKS5_S6_EEllS6_
	.globl	_ZN2at6native16triu_tril_kernelIllLb0ELi2ELb1EEEvNS_4cuda6detail10TensorInfoIT_T0_EENS4_IKS5_S6_EEllS6_
	.p2align	8
	.type	_ZN2at6native16triu_tril_kernelIllLb0ELi2ELb1EEEvNS_4cuda6detail10TensorInfoIT_T0_EENS4_IKS5_S6_EEllS6_,@function
_ZN2at6native16triu_tril_kernelIllLb0ELi2ELb1EEEvNS_4cuda6detail10TensorInfoIT_T0_EENS4_IKS5_S6_EEllS6_: ; @_ZN2at6native16triu_tril_kernelIllLb0ELi2ELb1EEEvNS_4cuda6detail10TensorInfoIT_T0_EENS4_IKS5_S6_EEllS6_
; %bb.0:
	s_clause 0x1
	s_load_b32 s2, s[0:1], 0x364
	s_load_b128 s[4:7], s[0:1], 0x340
	v_mov_b32_e32 v2, 0
	s_add_u32 s8, s0, 0x358
	s_addc_u32 s9, s1, 0
	s_delay_alu instid0(VALU_DEP_1) | instskip(SKIP_3) | instid1(VALU_DEP_1)
	v_mov_b32_e32 v1, v2
	s_waitcnt lgkmcnt(0)
	s_and_b32 s10, s2, 0xffff
	s_mov_b32 s2, exec_lo
	v_mad_u64_u32 v[3:4], null, s10, s15, v[0:1]
	s_delay_alu instid0(VALU_DEP_1) | instskip(NEXT) | instid1(VALU_DEP_1)
	v_lshlrev_b64 v[0:1], 1, v[3:4]
	v_cmpx_gt_i64_e64 s[6:7], v[0:1]
	s_cbranch_execz .LBB14_23
; %bb.1:
	s_clause 0x1
	s_load_b32 s24, s[0:1], 0x338
	s_load_b64 s[2:3], s[0:1], 0x350
	s_load_b32 s11, s[8:9], 0x0
	s_load_b64 s[8:9], s[0:1], 0x0
	s_mov_b32 s44, 0
	s_waitcnt lgkmcnt(0)
	s_ashr_i32 s25, s24, 31
	s_add_u32 s26, s0, 0x1a8
	s_addc_u32 s27, s1, 0
	s_lshl_b64 s[12:13], s[24:25], 3
	v_cvt_f32_u32_e32 v3, s2
	s_add_u32 s14, s12, -16
	s_addc_u32 s15, s13, -1
	s_add_u32 s22, s26, s14
	s_addc_u32 s23, s27, s15
	v_rcp_iflag_f32_e32 v3, v3
	s_add_u32 s17, s12, -8
	s_addc_u32 s18, s13, -1
	s_add_u32 s0, s0, 0xd0
	s_addc_u32 s28, s1, 0
	s_mul_i32 s16, s11, s10
	s_add_u32 s10, s0, s17
	s_addc_u32 s11, s28, s18
	s_add_u32 s12, s0, s14
	s_addc_u32 s13, s28, s15
	s_add_i32 s20, s24, -3
	s_waitcnt_depctr 0xfff
	v_mul_f32_e32 v3, 0x4f7ffffe, v3
	s_ashr_i32 s21, s20, 31
	s_add_u32 s14, s26, s17
	s_addc_u32 s15, s27, s18
	s_lshl_b64 s[18:19], s[20:21], 3
	s_lshl_b32 s1, s16, 1
	s_add_u32 s16, s0, s18
	s_addc_u32 s17, s28, s19
	v_cvt_u32_f32_e32 v3, v3
	s_add_u32 s18, s26, s18
	s_addc_u32 s19, s27, s19
	s_add_u32 s20, s20, 1
	s_addc_u32 s21, s21, 0
	s_sub_i32 s0, 0, s2
	s_load_b64 s[22:23], s[22:23], 0x0
	v_mul_lo_u32 v4, s0, v3
	v_cmp_gt_i64_e64 s33, s[24:25], 2
	s_ashr_i32 s24, s3, 31
	s_delay_alu instid0(VALU_DEP_2) | instskip(NEXT) | instid1(VALU_DEP_1)
	v_mul_hi_u32 v4, v3, v4
	v_add_nc_u32_e32 v16, v3, v4
	s_waitcnt lgkmcnt(0)
	s_ashr_i32 s26, s23, 31
	s_branch .LBB14_3
.LBB14_2:                               ;   in Loop: Header=BB14_3 Depth=1
	s_or_b32 exec_lo, exec_lo, s25
	v_add_co_u32 v0, vcc_lo, v0, s1
	v_add_co_ci_u32_e32 v1, vcc_lo, 0, v1, vcc_lo
	s_delay_alu instid0(VALU_DEP_1) | instskip(SKIP_1) | instid1(SALU_CYCLE_1)
	v_cmp_le_i64_e32 vcc_lo, s[6:7], v[0:1]
	s_or_b32 s44, vcc_lo, s44
	s_and_not1_b32 exec_lo, exec_lo, s44
	s_cbranch_execz .LBB14_23
.LBB14_3:                               ; =>This Loop Header: Depth=1
                                        ;     Child Loop BB14_19 Depth 2
	v_or_b32_e32 v3, s3, v1
                                        ; implicit-def: $vgpr6_vgpr7
	s_mov_b32 s0, exec_lo
	s_delay_alu instid0(VALU_DEP_1)
	v_cmpx_ne_u64_e32 0, v[2:3]
	s_xor_b32 s27, exec_lo, s0
	s_cbranch_execz .LBB14_5
; %bb.4:                                ;   in Loop: Header=BB14_3 Depth=1
	s_add_u32 s28, s2, s24
	s_mov_b32 s25, s24
	s_addc_u32 s29, s3, s24
	s_delay_alu instid0(SALU_CYCLE_1) | instskip(NEXT) | instid1(SALU_CYCLE_1)
	s_xor_b64 s[28:29], s[28:29], s[24:25]
	v_cvt_f32_u32_e32 v3, s28
	v_cvt_f32_u32_e32 v4, s29
	s_sub_u32 s0, 0, s28
	s_subb_u32 s25, 0, s29
	s_delay_alu instid0(VALU_DEP_1) | instskip(NEXT) | instid1(VALU_DEP_1)
	v_fmac_f32_e32 v3, 0x4f800000, v4
	v_rcp_f32_e32 v3, v3
	s_waitcnt_depctr 0xfff
	v_mul_f32_e32 v3, 0x5f7ffffc, v3
	s_delay_alu instid0(VALU_DEP_1) | instskip(NEXT) | instid1(VALU_DEP_1)
	v_mul_f32_e32 v4, 0x2f800000, v3
	v_trunc_f32_e32 v4, v4
	s_delay_alu instid0(VALU_DEP_1) | instskip(SKIP_1) | instid1(VALU_DEP_2)
	v_fmac_f32_e32 v3, 0xcf800000, v4
	v_cvt_u32_f32_e32 v4, v4
	v_cvt_u32_f32_e32 v3, v3
	s_delay_alu instid0(VALU_DEP_2) | instskip(NEXT) | instid1(VALU_DEP_2)
	v_mul_lo_u32 v5, s0, v4
	v_mul_hi_u32 v6, s0, v3
	v_mul_lo_u32 v7, s25, v3
	s_delay_alu instid0(VALU_DEP_2) | instskip(SKIP_1) | instid1(VALU_DEP_2)
	v_add_nc_u32_e32 v5, v6, v5
	v_mul_lo_u32 v6, s0, v3
	v_add_nc_u32_e32 v5, v5, v7
	s_delay_alu instid0(VALU_DEP_2) | instskip(NEXT) | instid1(VALU_DEP_2)
	v_mul_hi_u32 v7, v3, v6
	v_mul_lo_u32 v8, v3, v5
	v_mul_hi_u32 v9, v3, v5
	v_mul_hi_u32 v10, v4, v6
	v_mul_lo_u32 v6, v4, v6
	v_mul_hi_u32 v11, v4, v5
	v_mul_lo_u32 v5, v4, v5
	v_add_co_u32 v7, vcc_lo, v7, v8
	v_add_co_ci_u32_e32 v8, vcc_lo, 0, v9, vcc_lo
	s_delay_alu instid0(VALU_DEP_2) | instskip(NEXT) | instid1(VALU_DEP_2)
	v_add_co_u32 v6, vcc_lo, v7, v6
	v_add_co_ci_u32_e32 v6, vcc_lo, v8, v10, vcc_lo
	v_add_co_ci_u32_e32 v7, vcc_lo, 0, v11, vcc_lo
	v_ashrrev_i32_e32 v10, 31, v1
	s_delay_alu instid0(VALU_DEP_3) | instskip(NEXT) | instid1(VALU_DEP_3)
	v_add_co_u32 v5, vcc_lo, v6, v5
	v_add_co_ci_u32_e32 v6, vcc_lo, 0, v7, vcc_lo
	s_delay_alu instid0(VALU_DEP_2) | instskip(NEXT) | instid1(VALU_DEP_2)
	v_add_co_u32 v3, vcc_lo, v3, v5
	v_add_co_ci_u32_e32 v4, vcc_lo, v4, v6, vcc_lo
	s_delay_alu instid0(VALU_DEP_2) | instskip(SKIP_1) | instid1(VALU_DEP_3)
	v_mul_hi_u32 v5, s0, v3
	v_mul_lo_u32 v7, s25, v3
	v_mul_lo_u32 v6, s0, v4
	s_delay_alu instid0(VALU_DEP_1) | instskip(SKIP_1) | instid1(VALU_DEP_2)
	v_add_nc_u32_e32 v5, v5, v6
	v_mul_lo_u32 v6, s0, v3
	v_add_nc_u32_e32 v5, v5, v7
	s_delay_alu instid0(VALU_DEP_2) | instskip(NEXT) | instid1(VALU_DEP_2)
	v_mul_hi_u32 v7, v3, v6
	v_mul_lo_u32 v8, v3, v5
	v_mul_hi_u32 v9, v3, v5
	v_mul_hi_u32 v11, v4, v6
	v_mul_lo_u32 v6, v4, v6
	v_mul_hi_u32 v12, v4, v5
	v_mul_lo_u32 v5, v4, v5
	v_add_co_u32 v7, vcc_lo, v7, v8
	v_add_co_ci_u32_e32 v8, vcc_lo, 0, v9, vcc_lo
	s_delay_alu instid0(VALU_DEP_2) | instskip(NEXT) | instid1(VALU_DEP_2)
	v_add_co_u32 v6, vcc_lo, v7, v6
	v_add_co_ci_u32_e32 v6, vcc_lo, v8, v11, vcc_lo
	v_add_co_ci_u32_e32 v7, vcc_lo, 0, v12, vcc_lo
	v_add_co_u32 v8, vcc_lo, v0, v10
	v_add_co_ci_u32_e32 v9, vcc_lo, v1, v10, vcc_lo
	s_delay_alu instid0(VALU_DEP_4) | instskip(NEXT) | instid1(VALU_DEP_4)
	v_add_co_u32 v5, vcc_lo, v6, v5
	v_add_co_ci_u32_e32 v6, vcc_lo, 0, v7, vcc_lo
	s_delay_alu instid0(VALU_DEP_4) | instskip(NEXT) | instid1(VALU_DEP_3)
	v_xor_b32_e32 v11, v8, v10
	v_add_co_u32 v7, vcc_lo, v3, v5
	s_delay_alu instid0(VALU_DEP_3) | instskip(SKIP_1) | instid1(VALU_DEP_3)
	v_add_co_ci_u32_e32 v12, vcc_lo, v4, v6, vcc_lo
	v_xor_b32_e32 v9, v9, v10
	v_mul_hi_u32 v13, v11, v7
	s_delay_alu instid0(VALU_DEP_3) | instskip(NEXT) | instid1(VALU_DEP_3)
	v_mad_u64_u32 v[3:4], null, v11, v12, 0
	v_mad_u64_u32 v[5:6], null, v9, v7, 0
	v_mad_u64_u32 v[7:8], null, v9, v12, 0
	s_delay_alu instid0(VALU_DEP_3) | instskip(NEXT) | instid1(VALU_DEP_4)
	v_add_co_u32 v3, vcc_lo, v13, v3
	v_add_co_ci_u32_e32 v4, vcc_lo, 0, v4, vcc_lo
	s_delay_alu instid0(VALU_DEP_2) | instskip(NEXT) | instid1(VALU_DEP_2)
	v_add_co_u32 v3, vcc_lo, v3, v5
	v_add_co_ci_u32_e32 v3, vcc_lo, v4, v6, vcc_lo
	v_add_co_ci_u32_e32 v4, vcc_lo, 0, v8, vcc_lo
	s_delay_alu instid0(VALU_DEP_2) | instskip(NEXT) | instid1(VALU_DEP_2)
	v_add_co_u32 v5, vcc_lo, v3, v7
	v_add_co_ci_u32_e32 v6, vcc_lo, 0, v4, vcc_lo
	s_delay_alu instid0(VALU_DEP_2) | instskip(SKIP_1) | instid1(VALU_DEP_3)
	v_mul_lo_u32 v7, s29, v5
	v_mad_u64_u32 v[3:4], null, s28, v5, 0
	v_mul_lo_u32 v8, s28, v6
	s_delay_alu instid0(VALU_DEP_2) | instskip(NEXT) | instid1(VALU_DEP_2)
	v_sub_co_u32 v3, vcc_lo, v11, v3
	v_add3_u32 v4, v4, v8, v7
	s_delay_alu instid0(VALU_DEP_1) | instskip(NEXT) | instid1(VALU_DEP_1)
	v_sub_nc_u32_e32 v7, v9, v4
	v_subrev_co_ci_u32_e64 v7, s0, s29, v7, vcc_lo
	v_add_co_u32 v8, s0, v5, 2
	s_delay_alu instid0(VALU_DEP_1) | instskip(SKIP_3) | instid1(VALU_DEP_3)
	v_add_co_ci_u32_e64 v11, s0, 0, v6, s0
	v_sub_co_u32 v12, s0, v3, s28
	v_sub_co_ci_u32_e32 v4, vcc_lo, v9, v4, vcc_lo
	v_subrev_co_ci_u32_e64 v7, s0, 0, v7, s0
	v_cmp_le_u32_e32 vcc_lo, s28, v12
	s_delay_alu instid0(VALU_DEP_3) | instskip(SKIP_1) | instid1(VALU_DEP_4)
	v_cmp_eq_u32_e64 s0, s29, v4
	v_cndmask_b32_e64 v9, 0, -1, vcc_lo
	v_cmp_le_u32_e32 vcc_lo, s29, v7
	v_cndmask_b32_e64 v12, 0, -1, vcc_lo
	v_cmp_le_u32_e32 vcc_lo, s28, v3
	;; [unrolled: 2-line block ×3, first 2 shown]
	v_cndmask_b32_e64 v13, 0, -1, vcc_lo
	v_cmp_eq_u32_e32 vcc_lo, s29, v7
	s_delay_alu instid0(VALU_DEP_2) | instskip(SKIP_3) | instid1(VALU_DEP_3)
	v_cndmask_b32_e64 v3, v13, v3, s0
	v_cndmask_b32_e32 v7, v12, v9, vcc_lo
	v_add_co_u32 v9, vcc_lo, v5, 1
	v_add_co_ci_u32_e32 v12, vcc_lo, 0, v6, vcc_lo
	v_cmp_ne_u32_e32 vcc_lo, 0, v7
	s_delay_alu instid0(VALU_DEP_2) | instskip(SKIP_2) | instid1(VALU_DEP_3)
	v_dual_cndmask_b32 v4, v12, v11 :: v_dual_cndmask_b32 v7, v9, v8
	v_cmp_ne_u32_e32 vcc_lo, 0, v3
	v_xor_b32_e32 v3, s24, v10
	v_dual_cndmask_b32 v5, v5, v7 :: v_dual_cndmask_b32 v4, v6, v4
	s_delay_alu instid0(VALU_DEP_1) | instskip(NEXT) | instid1(VALU_DEP_2)
	v_xor_b32_e32 v5, v5, v3
	v_xor_b32_e32 v4, v4, v3
	s_delay_alu instid0(VALU_DEP_2) | instskip(NEXT) | instid1(VALU_DEP_2)
	v_sub_co_u32 v6, vcc_lo, v5, v3
	v_sub_co_ci_u32_e32 v7, vcc_lo, v4, v3, vcc_lo
.LBB14_5:                               ;   in Loop: Header=BB14_3 Depth=1
	s_and_not1_saveexec_b32 s0, s27
; %bb.6:                                ;   in Loop: Header=BB14_3 Depth=1
	v_mul_hi_u32 v3, v0, v16
	v_mov_b32_e32 v7, v2
	s_delay_alu instid0(VALU_DEP_2) | instskip(NEXT) | instid1(VALU_DEP_1)
	v_mul_lo_u32 v4, v3, s2
	v_sub_nc_u32_e32 v4, v0, v4
	s_delay_alu instid0(VALU_DEP_1) | instskip(SKIP_1) | instid1(VALU_DEP_2)
	v_subrev_nc_u32_e32 v6, s2, v4
	v_cmp_le_u32_e32 vcc_lo, s2, v4
	v_dual_cndmask_b32 v4, v4, v6 :: v_dual_add_nc_u32 v5, 1, v3
	s_delay_alu instid0(VALU_DEP_1) | instskip(NEXT) | instid1(VALU_DEP_2)
	v_cndmask_b32_e32 v3, v3, v5, vcc_lo
	v_cmp_le_u32_e32 vcc_lo, s2, v4
	s_delay_alu instid0(VALU_DEP_2) | instskip(NEXT) | instid1(VALU_DEP_1)
	v_add_nc_u32_e32 v5, 1, v3
	v_cndmask_b32_e32 v6, v3, v5, vcc_lo
; %bb.7:                                ;   in Loop: Header=BB14_3 Depth=1
	s_or_b32 exec_lo, exec_lo, s0
	v_or_b32_e32 v3, s23, v7
                                        ; implicit-def: $vgpr8_vgpr9
	s_mov_b32 s0, exec_lo
	s_delay_alu instid0(VALU_DEP_1)
	v_cmpx_ne_u64_e32 0, v[2:3]
	s_xor_b32 s25, exec_lo, s0
	s_cbranch_execz .LBB14_9
; %bb.8:                                ;   in Loop: Header=BB14_3 Depth=1
	s_add_u32 s28, s22, s26
	s_mov_b32 s27, s26
	s_addc_u32 s29, s23, s26
	s_delay_alu instid0(SALU_CYCLE_1) | instskip(NEXT) | instid1(SALU_CYCLE_1)
	s_xor_b64 s[28:29], s[28:29], s[26:27]
	v_cvt_f32_u32_e32 v3, s28
	v_cvt_f32_u32_e32 v4, s29
	s_sub_u32 s0, 0, s28
	s_subb_u32 s27, 0, s29
	s_delay_alu instid0(VALU_DEP_1) | instskip(NEXT) | instid1(VALU_DEP_1)
	v_fmac_f32_e32 v3, 0x4f800000, v4
	v_rcp_f32_e32 v3, v3
	s_waitcnt_depctr 0xfff
	v_mul_f32_e32 v3, 0x5f7ffffc, v3
	s_delay_alu instid0(VALU_DEP_1) | instskip(NEXT) | instid1(VALU_DEP_1)
	v_mul_f32_e32 v4, 0x2f800000, v3
	v_trunc_f32_e32 v4, v4
	s_delay_alu instid0(VALU_DEP_1) | instskip(SKIP_1) | instid1(VALU_DEP_2)
	v_fmac_f32_e32 v3, 0xcf800000, v4
	v_cvt_u32_f32_e32 v4, v4
	v_cvt_u32_f32_e32 v3, v3
	s_delay_alu instid0(VALU_DEP_2) | instskip(NEXT) | instid1(VALU_DEP_2)
	v_mul_lo_u32 v5, s0, v4
	v_mul_hi_u32 v8, s0, v3
	v_mul_lo_u32 v9, s27, v3
	s_delay_alu instid0(VALU_DEP_2) | instskip(SKIP_1) | instid1(VALU_DEP_2)
	v_add_nc_u32_e32 v5, v8, v5
	v_mul_lo_u32 v8, s0, v3
	v_add_nc_u32_e32 v5, v5, v9
	s_delay_alu instid0(VALU_DEP_2) | instskip(NEXT) | instid1(VALU_DEP_2)
	v_mul_hi_u32 v9, v3, v8
	v_mul_lo_u32 v10, v3, v5
	v_mul_hi_u32 v11, v3, v5
	v_mul_hi_u32 v12, v4, v8
	v_mul_lo_u32 v8, v4, v8
	v_mul_hi_u32 v13, v4, v5
	v_mul_lo_u32 v5, v4, v5
	v_add_co_u32 v9, vcc_lo, v9, v10
	v_add_co_ci_u32_e32 v10, vcc_lo, 0, v11, vcc_lo
	s_delay_alu instid0(VALU_DEP_2) | instskip(NEXT) | instid1(VALU_DEP_2)
	v_add_co_u32 v8, vcc_lo, v9, v8
	v_add_co_ci_u32_e32 v8, vcc_lo, v10, v12, vcc_lo
	v_add_co_ci_u32_e32 v9, vcc_lo, 0, v13, vcc_lo
	v_ashrrev_i32_e32 v12, 31, v7
	s_delay_alu instid0(VALU_DEP_3) | instskip(NEXT) | instid1(VALU_DEP_3)
	v_add_co_u32 v5, vcc_lo, v8, v5
	v_add_co_ci_u32_e32 v8, vcc_lo, 0, v9, vcc_lo
	s_delay_alu instid0(VALU_DEP_2) | instskip(NEXT) | instid1(VALU_DEP_2)
	v_add_co_u32 v3, vcc_lo, v3, v5
	v_add_co_ci_u32_e32 v4, vcc_lo, v4, v8, vcc_lo
	s_delay_alu instid0(VALU_DEP_2) | instskip(SKIP_1) | instid1(VALU_DEP_3)
	v_mul_hi_u32 v5, s0, v3
	v_mul_lo_u32 v9, s27, v3
	v_mul_lo_u32 v8, s0, v4
	s_delay_alu instid0(VALU_DEP_1) | instskip(SKIP_1) | instid1(VALU_DEP_2)
	v_add_nc_u32_e32 v5, v5, v8
	v_mul_lo_u32 v8, s0, v3
	v_add_nc_u32_e32 v5, v5, v9
	s_delay_alu instid0(VALU_DEP_2) | instskip(NEXT) | instid1(VALU_DEP_2)
	v_mul_hi_u32 v9, v3, v8
	v_mul_lo_u32 v10, v3, v5
	v_mul_hi_u32 v11, v3, v5
	v_mul_hi_u32 v13, v4, v8
	v_mul_lo_u32 v8, v4, v8
	v_mul_hi_u32 v14, v4, v5
	v_mul_lo_u32 v5, v4, v5
	v_add_co_u32 v9, vcc_lo, v9, v10
	v_add_co_ci_u32_e32 v10, vcc_lo, 0, v11, vcc_lo
	s_delay_alu instid0(VALU_DEP_2) | instskip(NEXT) | instid1(VALU_DEP_2)
	v_add_co_u32 v8, vcc_lo, v9, v8
	v_add_co_ci_u32_e32 v8, vcc_lo, v10, v13, vcc_lo
	v_add_co_ci_u32_e32 v9, vcc_lo, 0, v14, vcc_lo
	v_add_co_u32 v10, vcc_lo, v6, v12
	v_add_co_ci_u32_e32 v11, vcc_lo, v7, v12, vcc_lo
	s_delay_alu instid0(VALU_DEP_4) | instskip(NEXT) | instid1(VALU_DEP_4)
	v_add_co_u32 v5, vcc_lo, v8, v5
	v_add_co_ci_u32_e32 v8, vcc_lo, 0, v9, vcc_lo
	s_delay_alu instid0(VALU_DEP_4) | instskip(NEXT) | instid1(VALU_DEP_3)
	v_xor_b32_e32 v13, v10, v12
	v_add_co_u32 v5, vcc_lo, v3, v5
	s_delay_alu instid0(VALU_DEP_3) | instskip(SKIP_1) | instid1(VALU_DEP_3)
	v_add_co_ci_u32_e32 v14, vcc_lo, v4, v8, vcc_lo
	v_xor_b32_e32 v15, v11, v12
	v_mul_hi_u32 v17, v13, v5
	s_delay_alu instid0(VALU_DEP_3) | instskip(NEXT) | instid1(VALU_DEP_3)
	v_mad_u64_u32 v[3:4], null, v13, v14, 0
	v_mad_u64_u32 v[8:9], null, v15, v5, 0
	;; [unrolled: 1-line block ×3, first 2 shown]
	s_delay_alu instid0(VALU_DEP_3) | instskip(NEXT) | instid1(VALU_DEP_4)
	v_add_co_u32 v3, vcc_lo, v17, v3
	v_add_co_ci_u32_e32 v4, vcc_lo, 0, v4, vcc_lo
	s_delay_alu instid0(VALU_DEP_2) | instskip(NEXT) | instid1(VALU_DEP_2)
	v_add_co_u32 v3, vcc_lo, v3, v8
	v_add_co_ci_u32_e32 v3, vcc_lo, v4, v9, vcc_lo
	v_add_co_ci_u32_e32 v4, vcc_lo, 0, v11, vcc_lo
	s_delay_alu instid0(VALU_DEP_2) | instskip(NEXT) | instid1(VALU_DEP_2)
	v_add_co_u32 v5, vcc_lo, v3, v10
	v_add_co_ci_u32_e32 v8, vcc_lo, 0, v4, vcc_lo
	s_delay_alu instid0(VALU_DEP_2) | instskip(SKIP_1) | instid1(VALU_DEP_3)
	v_mul_lo_u32 v9, s29, v5
	v_mad_u64_u32 v[3:4], null, s28, v5, 0
	v_mul_lo_u32 v10, s28, v8
	s_delay_alu instid0(VALU_DEP_2) | instskip(NEXT) | instid1(VALU_DEP_2)
	v_sub_co_u32 v3, vcc_lo, v13, v3
	v_add3_u32 v4, v4, v10, v9
	s_delay_alu instid0(VALU_DEP_1) | instskip(NEXT) | instid1(VALU_DEP_1)
	v_sub_nc_u32_e32 v9, v15, v4
	v_subrev_co_ci_u32_e64 v9, s0, s29, v9, vcc_lo
	v_add_co_u32 v10, s0, v5, 2
	s_delay_alu instid0(VALU_DEP_1) | instskip(SKIP_3) | instid1(VALU_DEP_3)
	v_add_co_ci_u32_e64 v11, s0, 0, v8, s0
	v_sub_co_u32 v13, s0, v3, s28
	v_sub_co_ci_u32_e32 v4, vcc_lo, v15, v4, vcc_lo
	v_subrev_co_ci_u32_e64 v9, s0, 0, v9, s0
	v_cmp_le_u32_e32 vcc_lo, s28, v13
	s_delay_alu instid0(VALU_DEP_3) | instskip(SKIP_1) | instid1(VALU_DEP_4)
	v_cmp_eq_u32_e64 s0, s29, v4
	v_cndmask_b32_e64 v13, 0, -1, vcc_lo
	v_cmp_le_u32_e32 vcc_lo, s29, v9
	v_cndmask_b32_e64 v14, 0, -1, vcc_lo
	v_cmp_le_u32_e32 vcc_lo, s28, v3
	;; [unrolled: 2-line block ×3, first 2 shown]
	v_cndmask_b32_e64 v15, 0, -1, vcc_lo
	v_cmp_eq_u32_e32 vcc_lo, s29, v9
	s_delay_alu instid0(VALU_DEP_2) | instskip(SKIP_3) | instid1(VALU_DEP_3)
	v_cndmask_b32_e64 v3, v15, v3, s0
	v_cndmask_b32_e32 v9, v14, v13, vcc_lo
	v_add_co_u32 v13, vcc_lo, v5, 1
	v_add_co_ci_u32_e32 v14, vcc_lo, 0, v8, vcc_lo
	v_cmp_ne_u32_e32 vcc_lo, 0, v9
	s_delay_alu instid0(VALU_DEP_2) | instskip(SKIP_2) | instid1(VALU_DEP_3)
	v_dual_cndmask_b32 v4, v14, v11 :: v_dual_cndmask_b32 v9, v13, v10
	v_cmp_ne_u32_e32 vcc_lo, 0, v3
	v_xor_b32_e32 v3, s26, v12
	v_dual_cndmask_b32 v5, v5, v9 :: v_dual_cndmask_b32 v4, v8, v4
	s_delay_alu instid0(VALU_DEP_1) | instskip(NEXT) | instid1(VALU_DEP_2)
	v_xor_b32_e32 v5, v5, v3
	v_xor_b32_e32 v4, v4, v3
	s_delay_alu instid0(VALU_DEP_2) | instskip(NEXT) | instid1(VALU_DEP_2)
	v_sub_co_u32 v8, vcc_lo, v5, v3
	v_sub_co_ci_u32_e32 v9, vcc_lo, v4, v3, vcc_lo
.LBB14_9:                               ;   in Loop: Header=BB14_3 Depth=1
	s_and_not1_saveexec_b32 s0, s25
	s_cbranch_execz .LBB14_11
; %bb.10:                               ;   in Loop: Header=BB14_3 Depth=1
	v_cvt_f32_u32_e32 v3, s22
	s_sub_i32 s25, 0, s22
	v_mov_b32_e32 v9, v2
	s_delay_alu instid0(VALU_DEP_2) | instskip(SKIP_2) | instid1(VALU_DEP_1)
	v_rcp_iflag_f32_e32 v3, v3
	s_waitcnt_depctr 0xfff
	v_mul_f32_e32 v3, 0x4f7ffffe, v3
	v_cvt_u32_f32_e32 v3, v3
	s_delay_alu instid0(VALU_DEP_1) | instskip(NEXT) | instid1(VALU_DEP_1)
	v_mul_lo_u32 v4, s25, v3
	v_mul_hi_u32 v4, v3, v4
	s_delay_alu instid0(VALU_DEP_1) | instskip(NEXT) | instid1(VALU_DEP_1)
	v_add_nc_u32_e32 v3, v3, v4
	v_mul_hi_u32 v3, v6, v3
	s_delay_alu instid0(VALU_DEP_1) | instskip(SKIP_1) | instid1(VALU_DEP_2)
	v_mul_lo_u32 v4, v3, s22
	v_add_nc_u32_e32 v5, 1, v3
	v_sub_nc_u32_e32 v4, v6, v4
	s_delay_alu instid0(VALU_DEP_1) | instskip(SKIP_1) | instid1(VALU_DEP_2)
	v_subrev_nc_u32_e32 v8, s22, v4
	v_cmp_le_u32_e32 vcc_lo, s22, v4
	v_dual_cndmask_b32 v4, v4, v8 :: v_dual_cndmask_b32 v3, v3, v5
	s_delay_alu instid0(VALU_DEP_1) | instskip(NEXT) | instid1(VALU_DEP_2)
	v_cmp_le_u32_e32 vcc_lo, s22, v4
	v_add_nc_u32_e32 v5, 1, v3
	s_delay_alu instid0(VALU_DEP_1)
	v_cndmask_b32_e32 v8, v3, v5, vcc_lo
.LBB14_11:                              ;   in Loop: Header=BB14_3 Depth=1
	s_or_b32 exec_lo, exec_lo, s0
	v_mul_lo_u32 v5, v7, s2
	v_mul_lo_u32 v12, v6, s3
	v_mad_u64_u32 v[3:4], null, v6, s2, 0
	v_mul_lo_u32 v13, v9, s22
	v_mul_lo_u32 v14, v8, s23
	v_mad_u64_u32 v[10:11], null, v8, s22, 0
	s_mov_b32 s25, exec_lo
	s_delay_alu instid0(VALU_DEP_4) | instskip(SKIP_1) | instid1(VALU_DEP_3)
	v_add3_u32 v5, v4, v12, v5
	v_sub_co_u32 v4, vcc_lo, v0, v3
	v_add3_u32 v11, v11, v14, v13
	s_delay_alu instid0(VALU_DEP_3) | instskip(SKIP_1) | instid1(VALU_DEP_3)
	v_sub_co_ci_u32_e32 v5, vcc_lo, v1, v5, vcc_lo
	v_sub_co_u32 v17, vcc_lo, v6, v10
	v_sub_co_ci_u32_e32 v18, vcc_lo, v7, v11, vcc_lo
	s_delay_alu instid0(VALU_DEP_2) | instskip(NEXT) | instid1(VALU_DEP_2)
	v_sub_co_u32 v6, vcc_lo, v4, v17
	v_sub_co_ci_u32_e32 v7, vcc_lo, v5, v18, vcc_lo
	s_delay_alu instid0(VALU_DEP_2) | instskip(NEXT) | instid1(VALU_DEP_2)
	v_add_co_u32 v10, vcc_lo, v6, 2
	v_add_co_ci_u32_e32 v11, vcc_lo, 0, v7, vcc_lo
	s_delay_alu instid0(VALU_DEP_1)
	v_cmpx_lt_i64_e64 s[4:5], v[10:11]
	s_cbranch_execz .LBB14_2
; %bb.12:                               ;   in Loop: Header=BB14_3 Depth=1
	s_clause 0x1
	s_load_b64 s[28:29], s[10:11], 0x0
	s_load_b64 s[30:31], s[12:13], 0x0
	s_and_b32 vcc_lo, exec_lo, s33
	s_mov_b64 s[34:35], s[18:19]
	s_mov_b64 s[36:37], s[16:17]
	s_waitcnt lgkmcnt(0)
	v_mul_lo_u32 v3, s29, v4
	v_mul_lo_u32 v12, s28, v5
	v_mad_u64_u32 v[10:11], null, s28, v4, 0
	s_delay_alu instid0(VALU_DEP_1) | instskip(SKIP_1) | instid1(VALU_DEP_2)
	v_add3_u32 v11, v11, v12, v3
	v_mul_lo_u32 v3, s30, v18
	v_mad_u64_u32 v[14:15], null, s30, v17, v[10:11]
	v_mul_lo_u32 v10, s31, v17
	s_mov_b64 s[30:31], s[20:21]
	s_delay_alu instid0(VALU_DEP_1) | instskip(NEXT) | instid1(VALU_DEP_1)
	v_add3_u32 v15, v10, v15, v3
	v_dual_mov_b32 v10, v14 :: v_dual_mov_b32 v11, v15
	s_cbranch_vccnz .LBB14_19
.LBB14_13:                              ;   in Loop: Header=BB14_3 Depth=1
	s_load_b64 s[30:31], s[14:15], 0x0
	s_waitcnt lgkmcnt(0)
	v_cmp_gt_i64_e32 vcc_lo, s[30:31], v[4:5]
	s_and_b32 exec_lo, exec_lo, vcc_lo
	s_cbranch_execz .LBB14_2
; %bb.14:                               ;   in Loop: Header=BB14_3 Depth=1
	v_lshlrev_b64 v[8:9], 3, v[14:15]
	v_cmp_lt_i64_e32 vcc_lo, s[4:5], v[6:7]
	s_delay_alu instid0(VALU_DEP_2) | instskip(NEXT) | instid1(VALU_DEP_1)
	v_add_co_u32 v6, s0, s8, v8
	v_add_co_ci_u32_e64 v7, s0, s9, v9, s0
	s_and_saveexec_b32 s0, vcc_lo
	s_cbranch_execz .LBB14_16
; %bb.15:                               ;   in Loop: Header=BB14_3 Depth=1
	v_mov_b32_e32 v3, v2
	global_store_b64 v[6:7], v[2:3], off
.LBB14_16:                              ;   in Loop: Header=BB14_3 Depth=1
	s_or_b32 exec_lo, exec_lo, s0
	v_add_co_u32 v3, vcc_lo, v4, 1
	v_add_co_ci_u32_e32 v4, vcc_lo, 0, v5, vcc_lo
	s_delay_alu instid0(VALU_DEP_2) | instskip(NEXT) | instid1(VALU_DEP_2)
	v_sub_co_u32 v8, vcc_lo, v3, v17
	v_sub_co_ci_u32_e32 v9, vcc_lo, v4, v18, vcc_lo
	v_cmp_gt_i64_e32 vcc_lo, s[30:31], v[3:4]
	s_delay_alu instid0(VALU_DEP_2) | instskip(NEXT) | instid1(VALU_DEP_1)
	v_cmp_lt_i64_e64 s0, s[4:5], v[8:9]
	s_and_b32 s0, vcc_lo, s0
	s_delay_alu instid0(SALU_CYCLE_1)
	s_and_b32 exec_lo, exec_lo, s0
	s_cbranch_execz .LBB14_2
; %bb.17:                               ;   in Loop: Header=BB14_3 Depth=1
	s_lshl_b64 s[28:29], s[28:29], 3
	v_mov_b32_e32 v3, v2
	v_add_co_u32 v4, vcc_lo, v6, s28
	v_add_co_ci_u32_e32 v5, vcc_lo, s29, v7, vcc_lo
	global_store_b64 v[4:5], v[2:3], off
	s_branch .LBB14_2
.LBB14_18:                              ;   in Loop: Header=BB14_19 Depth=2
	s_or_b32 exec_lo, exec_lo, s0
	s_load_b64 s[40:41], s[36:37], 0x0
	s_delay_alu instid0(VALU_DEP_1)
	v_mul_lo_u32 v3, v13, s38
	v_mul_lo_u32 v19, v12, s39
	v_mad_u64_u32 v[14:15], null, v12, s38, 0
	s_add_u32 s36, s36, -8
	s_addc_u32 s37, s37, -1
	s_add_u32 s34, s34, -8
	s_addc_u32 s35, s35, -1
	;; [unrolled: 2-line block ×3, first 2 shown]
	s_delay_alu instid0(VALU_DEP_1) | instskip(SKIP_2) | instid1(VALU_DEP_3)
	v_add3_u32 v3, v15, v19, v3
	v_sub_co_u32 v8, vcc_lo, v8, v14
	v_cmp_lt_i64_e64 s0, s[30:31], 1
	v_sub_co_ci_u32_e32 v3, vcc_lo, v9, v3, vcc_lo
	s_delay_alu instid0(VALU_DEP_2) | instskip(SKIP_1) | instid1(VALU_DEP_1)
	s_and_b32 vcc_lo, exec_lo, s0
	s_waitcnt lgkmcnt(0)
	v_mul_lo_u32 v3, s40, v3
	v_mul_lo_u32 v9, s41, v8
	v_mad_u64_u32 v[14:15], null, s40, v8, v[10:11]
	s_delay_alu instid0(VALU_DEP_1) | instskip(NEXT) | instid1(VALU_DEP_2)
	v_add3_u32 v15, v9, v15, v3
	v_mov_b32_e32 v10, v14
	v_dual_mov_b32 v8, v12 :: v_dual_mov_b32 v9, v13
	s_delay_alu instid0(VALU_DEP_3)
	v_mov_b32_e32 v11, v15
	s_cbranch_vccnz .LBB14_13
.LBB14_19:                              ;   Parent Loop BB14_3 Depth=1
                                        ; =>  This Inner Loop Header: Depth=2
	s_load_b64 s[38:39], s[34:35], 0x0
                                        ; implicit-def: $vgpr12_vgpr13
	s_mov_b32 s0, exec_lo
	s_waitcnt lgkmcnt(0)
	v_or_b32_e32 v3, s39, v9
	s_delay_alu instid0(VALU_DEP_1)
	v_cmpx_ne_u64_e32 0, v[2:3]
	s_xor_b32 s27, exec_lo, s0
	s_cbranch_execz .LBB14_21
; %bb.20:                               ;   in Loop: Header=BB14_19 Depth=2
	s_ashr_i32 s40, s39, 31
	s_delay_alu instid0(SALU_CYCLE_1) | instskip(SKIP_2) | instid1(SALU_CYCLE_1)
	s_add_u32 s42, s38, s40
	s_mov_b32 s41, s40
	s_addc_u32 s43, s39, s40
	s_xor_b64 s[42:43], s[42:43], s[40:41]
	s_delay_alu instid0(SALU_CYCLE_1) | instskip(SKIP_3) | instid1(VALU_DEP_1)
	v_cvt_f32_u32_e32 v3, s42
	v_cvt_f32_u32_e32 v12, s43
	s_sub_u32 s0, 0, s42
	s_subb_u32 s41, 0, s43
	v_fmac_f32_e32 v3, 0x4f800000, v12
	s_delay_alu instid0(VALU_DEP_1) | instskip(SKIP_2) | instid1(VALU_DEP_1)
	v_rcp_f32_e32 v3, v3
	s_waitcnt_depctr 0xfff
	v_mul_f32_e32 v3, 0x5f7ffffc, v3
	v_mul_f32_e32 v12, 0x2f800000, v3
	s_delay_alu instid0(VALU_DEP_1) | instskip(NEXT) | instid1(VALU_DEP_1)
	v_trunc_f32_e32 v12, v12
	v_fmac_f32_e32 v3, 0xcf800000, v12
	v_cvt_u32_f32_e32 v12, v12
	s_delay_alu instid0(VALU_DEP_2) | instskip(NEXT) | instid1(VALU_DEP_2)
	v_cvt_u32_f32_e32 v3, v3
	v_mul_lo_u32 v13, s0, v12
	s_delay_alu instid0(VALU_DEP_2) | instskip(SKIP_1) | instid1(VALU_DEP_2)
	v_mul_hi_u32 v14, s0, v3
	v_mul_lo_u32 v15, s41, v3
	v_add_nc_u32_e32 v13, v14, v13
	v_mul_lo_u32 v14, s0, v3
	s_delay_alu instid0(VALU_DEP_2) | instskip(NEXT) | instid1(VALU_DEP_2)
	v_add_nc_u32_e32 v13, v13, v15
	v_mul_hi_u32 v15, v3, v14
	s_delay_alu instid0(VALU_DEP_2)
	v_mul_lo_u32 v19, v3, v13
	v_mul_hi_u32 v20, v3, v13
	v_mul_hi_u32 v21, v12, v14
	v_mul_lo_u32 v14, v12, v14
	v_mul_hi_u32 v22, v12, v13
	v_mul_lo_u32 v13, v12, v13
	v_add_co_u32 v15, vcc_lo, v15, v19
	v_add_co_ci_u32_e32 v19, vcc_lo, 0, v20, vcc_lo
	s_delay_alu instid0(VALU_DEP_2) | instskip(NEXT) | instid1(VALU_DEP_2)
	v_add_co_u32 v14, vcc_lo, v15, v14
	v_add_co_ci_u32_e32 v14, vcc_lo, v19, v21, vcc_lo
	v_add_co_ci_u32_e32 v15, vcc_lo, 0, v22, vcc_lo
	v_ashrrev_i32_e32 v21, 31, v9
	s_delay_alu instid0(VALU_DEP_3) | instskip(NEXT) | instid1(VALU_DEP_3)
	v_add_co_u32 v13, vcc_lo, v14, v13
	v_add_co_ci_u32_e32 v14, vcc_lo, 0, v15, vcc_lo
	s_delay_alu instid0(VALU_DEP_2) | instskip(NEXT) | instid1(VALU_DEP_2)
	v_add_co_u32 v3, vcc_lo, v3, v13
	v_add_co_ci_u32_e32 v12, vcc_lo, v12, v14, vcc_lo
	s_delay_alu instid0(VALU_DEP_2) | instskip(SKIP_1) | instid1(VALU_DEP_3)
	v_mul_hi_u32 v13, s0, v3
	v_mul_lo_u32 v15, s41, v3
	v_mul_lo_u32 v14, s0, v12
	s_delay_alu instid0(VALU_DEP_1) | instskip(SKIP_1) | instid1(VALU_DEP_2)
	v_add_nc_u32_e32 v13, v13, v14
	v_mul_lo_u32 v14, s0, v3
	v_add_nc_u32_e32 v13, v13, v15
	s_delay_alu instid0(VALU_DEP_2) | instskip(NEXT) | instid1(VALU_DEP_2)
	v_mul_hi_u32 v15, v3, v14
	v_mul_lo_u32 v19, v3, v13
	v_mul_hi_u32 v20, v3, v13
	v_mul_hi_u32 v22, v12, v14
	v_mul_lo_u32 v14, v12, v14
	v_mul_hi_u32 v23, v12, v13
	v_mul_lo_u32 v13, v12, v13
	v_add_co_u32 v15, vcc_lo, v15, v19
	v_add_co_ci_u32_e32 v19, vcc_lo, 0, v20, vcc_lo
	s_delay_alu instid0(VALU_DEP_2) | instskip(NEXT) | instid1(VALU_DEP_2)
	v_add_co_u32 v14, vcc_lo, v15, v14
	v_add_co_ci_u32_e32 v14, vcc_lo, v19, v22, vcc_lo
	v_add_co_ci_u32_e32 v15, vcc_lo, 0, v23, vcc_lo
	v_add_co_u32 v19, vcc_lo, v8, v21
	v_add_co_ci_u32_e32 v20, vcc_lo, v9, v21, vcc_lo
	s_delay_alu instid0(VALU_DEP_4) | instskip(NEXT) | instid1(VALU_DEP_4)
	v_add_co_u32 v13, vcc_lo, v14, v13
	v_add_co_ci_u32_e32 v14, vcc_lo, 0, v15, vcc_lo
	s_delay_alu instid0(VALU_DEP_4) | instskip(NEXT) | instid1(VALU_DEP_3)
	v_xor_b32_e32 v22, v19, v21
	v_add_co_u32 v3, vcc_lo, v3, v13
	s_delay_alu instid0(VALU_DEP_3) | instskip(SKIP_1) | instid1(VALU_DEP_3)
	v_add_co_ci_u32_e32 v23, vcc_lo, v12, v14, vcc_lo
	v_xor_b32_e32 v24, v20, v21
	v_mul_hi_u32 v25, v22, v3
	s_delay_alu instid0(VALU_DEP_3) | instskip(NEXT) | instid1(VALU_DEP_3)
	v_mad_u64_u32 v[12:13], null, v22, v23, 0
	v_mad_u64_u32 v[14:15], null, v24, v3, 0
	v_mad_u64_u32 v[19:20], null, v24, v23, 0
	s_delay_alu instid0(VALU_DEP_3) | instskip(NEXT) | instid1(VALU_DEP_4)
	v_add_co_u32 v3, vcc_lo, v25, v12
	v_add_co_ci_u32_e32 v12, vcc_lo, 0, v13, vcc_lo
	s_delay_alu instid0(VALU_DEP_2) | instskip(NEXT) | instid1(VALU_DEP_2)
	v_add_co_u32 v3, vcc_lo, v3, v14
	v_add_co_ci_u32_e32 v3, vcc_lo, v12, v15, vcc_lo
	v_add_co_ci_u32_e32 v12, vcc_lo, 0, v20, vcc_lo
	s_delay_alu instid0(VALU_DEP_2) | instskip(NEXT) | instid1(VALU_DEP_2)
	v_add_co_u32 v3, vcc_lo, v3, v19
	v_add_co_ci_u32_e32 v14, vcc_lo, 0, v12, vcc_lo
	s_delay_alu instid0(VALU_DEP_2) | instskip(SKIP_1) | instid1(VALU_DEP_3)
	v_mul_lo_u32 v15, s43, v3
	v_mad_u64_u32 v[12:13], null, s42, v3, 0
	v_mul_lo_u32 v19, s42, v14
	s_delay_alu instid0(VALU_DEP_2) | instskip(NEXT) | instid1(VALU_DEP_2)
	v_sub_co_u32 v12, vcc_lo, v22, v12
	v_add3_u32 v13, v13, v19, v15
	s_delay_alu instid0(VALU_DEP_1) | instskip(NEXT) | instid1(VALU_DEP_1)
	v_sub_nc_u32_e32 v15, v24, v13
	v_subrev_co_ci_u32_e64 v15, s0, s43, v15, vcc_lo
	v_add_co_u32 v19, s0, v3, 2
	s_delay_alu instid0(VALU_DEP_1) | instskip(SKIP_3) | instid1(VALU_DEP_3)
	v_add_co_ci_u32_e64 v20, s0, 0, v14, s0
	v_sub_co_u32 v22, s0, v12, s42
	v_sub_co_ci_u32_e32 v13, vcc_lo, v24, v13, vcc_lo
	v_subrev_co_ci_u32_e64 v15, s0, 0, v15, s0
	v_cmp_le_u32_e32 vcc_lo, s42, v22
	s_delay_alu instid0(VALU_DEP_3) | instskip(SKIP_1) | instid1(VALU_DEP_4)
	v_cmp_eq_u32_e64 s0, s43, v13
	v_cndmask_b32_e64 v22, 0, -1, vcc_lo
	v_cmp_le_u32_e32 vcc_lo, s43, v15
	v_cndmask_b32_e64 v23, 0, -1, vcc_lo
	v_cmp_le_u32_e32 vcc_lo, s42, v12
	;; [unrolled: 2-line block ×3, first 2 shown]
	v_cndmask_b32_e64 v24, 0, -1, vcc_lo
	v_cmp_eq_u32_e32 vcc_lo, s43, v15
	s_delay_alu instid0(VALU_DEP_2) | instskip(SKIP_3) | instid1(VALU_DEP_3)
	v_cndmask_b32_e64 v12, v24, v12, s0
	v_cndmask_b32_e32 v15, v23, v22, vcc_lo
	v_add_co_u32 v22, vcc_lo, v3, 1
	v_add_co_ci_u32_e32 v23, vcc_lo, 0, v14, vcc_lo
	v_cmp_ne_u32_e32 vcc_lo, 0, v15
	s_delay_alu instid0(VALU_DEP_2) | instskip(NEXT) | instid1(VALU_DEP_4)
	v_cndmask_b32_e32 v13, v23, v20, vcc_lo
	v_cndmask_b32_e32 v15, v22, v19, vcc_lo
	v_cmp_ne_u32_e32 vcc_lo, 0, v12
	v_xor_b32_e32 v19, s40, v21
	s_delay_alu instid0(VALU_DEP_3) | instskip(NEXT) | instid1(VALU_DEP_1)
	v_dual_cndmask_b32 v3, v3, v15 :: v_dual_cndmask_b32 v12, v14, v13
	v_xor_b32_e32 v3, v3, v19
	s_delay_alu instid0(VALU_DEP_2) | instskip(NEXT) | instid1(VALU_DEP_2)
	v_xor_b32_e32 v13, v12, v19
	v_sub_co_u32 v12, vcc_lo, v3, v19
	s_delay_alu instid0(VALU_DEP_2)
	v_sub_co_ci_u32_e32 v13, vcc_lo, v13, v19, vcc_lo
.LBB14_21:                              ;   in Loop: Header=BB14_19 Depth=2
	s_and_not1_saveexec_b32 s0, s27
	s_cbranch_execz .LBB14_18
; %bb.22:                               ;   in Loop: Header=BB14_19 Depth=2
	v_cvt_f32_u32_e32 v3, s38
	s_sub_i32 s27, 0, s38
	s_delay_alu instid0(VALU_DEP_1) | instskip(SKIP_2) | instid1(VALU_DEP_1)
	v_rcp_iflag_f32_e32 v3, v3
	s_waitcnt_depctr 0xfff
	v_mul_f32_e32 v3, 0x4f7ffffe, v3
	v_cvt_u32_f32_e32 v3, v3
	s_delay_alu instid0(VALU_DEP_1) | instskip(NEXT) | instid1(VALU_DEP_1)
	v_mul_lo_u32 v12, s27, v3
	v_mul_hi_u32 v12, v3, v12
	s_delay_alu instid0(VALU_DEP_1) | instskip(NEXT) | instid1(VALU_DEP_1)
	v_add_nc_u32_e32 v3, v3, v12
	v_mul_hi_u32 v3, v8, v3
	s_delay_alu instid0(VALU_DEP_1) | instskip(SKIP_1) | instid1(VALU_DEP_2)
	v_mul_lo_u32 v12, v3, s38
	v_add_nc_u32_e32 v13, 1, v3
	v_sub_nc_u32_e32 v12, v8, v12
	s_delay_alu instid0(VALU_DEP_1) | instskip(SKIP_1) | instid1(VALU_DEP_2)
	v_subrev_nc_u32_e32 v14, s38, v12
	v_cmp_le_u32_e32 vcc_lo, s38, v12
	v_dual_cndmask_b32 v12, v12, v14 :: v_dual_cndmask_b32 v3, v3, v13
	s_delay_alu instid0(VALU_DEP_1) | instskip(NEXT) | instid1(VALU_DEP_2)
	v_cmp_le_u32_e32 vcc_lo, s38, v12
	v_add_nc_u32_e32 v13, 1, v3
	s_delay_alu instid0(VALU_DEP_1)
	v_dual_cndmask_b32 v12, v3, v13 :: v_dual_mov_b32 v13, v2
	s_branch .LBB14_18
.LBB14_23:
	s_nop 0
	s_sendmsg sendmsg(MSG_DEALLOC_VGPRS)
	s_endpgm
	.section	.rodata,"a",@progbits
	.p2align	6, 0x0
	.amdhsa_kernel _ZN2at6native16triu_tril_kernelIllLb0ELi2ELb1EEEvNS_4cuda6detail10TensorInfoIT_T0_EENS4_IKS5_S6_EEllS6_
		.amdhsa_group_segment_fixed_size 0
		.amdhsa_private_segment_fixed_size 0
		.amdhsa_kernarg_size 1112
		.amdhsa_user_sgpr_count 15
		.amdhsa_user_sgpr_dispatch_ptr 0
		.amdhsa_user_sgpr_queue_ptr 0
		.amdhsa_user_sgpr_kernarg_segment_ptr 1
		.amdhsa_user_sgpr_dispatch_id 0
		.amdhsa_user_sgpr_private_segment_size 0
		.amdhsa_wavefront_size32 1
		.amdhsa_uses_dynamic_stack 0
		.amdhsa_enable_private_segment 0
		.amdhsa_system_sgpr_workgroup_id_x 1
		.amdhsa_system_sgpr_workgroup_id_y 0
		.amdhsa_system_sgpr_workgroup_id_z 0
		.amdhsa_system_sgpr_workgroup_info 0
		.amdhsa_system_vgpr_workitem_id 0
		.amdhsa_next_free_vgpr 26
		.amdhsa_next_free_sgpr 45
		.amdhsa_reserve_vcc 1
		.amdhsa_float_round_mode_32 0
		.amdhsa_float_round_mode_16_64 0
		.amdhsa_float_denorm_mode_32 3
		.amdhsa_float_denorm_mode_16_64 3
		.amdhsa_dx10_clamp 1
		.amdhsa_ieee_mode 1
		.amdhsa_fp16_overflow 0
		.amdhsa_workgroup_processor_mode 1
		.amdhsa_memory_ordered 1
		.amdhsa_forward_progress 0
		.amdhsa_shared_vgpr_count 0
		.amdhsa_exception_fp_ieee_invalid_op 0
		.amdhsa_exception_fp_denorm_src 0
		.amdhsa_exception_fp_ieee_div_zero 0
		.amdhsa_exception_fp_ieee_overflow 0
		.amdhsa_exception_fp_ieee_underflow 0
		.amdhsa_exception_fp_ieee_inexact 0
		.amdhsa_exception_int_div_zero 0
	.end_amdhsa_kernel
	.section	.text._ZN2at6native16triu_tril_kernelIllLb0ELi2ELb1EEEvNS_4cuda6detail10TensorInfoIT_T0_EENS4_IKS5_S6_EEllS6_,"axG",@progbits,_ZN2at6native16triu_tril_kernelIllLb0ELi2ELb1EEEvNS_4cuda6detail10TensorInfoIT_T0_EENS4_IKS5_S6_EEllS6_,comdat
.Lfunc_end14:
	.size	_ZN2at6native16triu_tril_kernelIllLb0ELi2ELb1EEEvNS_4cuda6detail10TensorInfoIT_T0_EENS4_IKS5_S6_EEllS6_, .Lfunc_end14-_ZN2at6native16triu_tril_kernelIllLb0ELi2ELb1EEEvNS_4cuda6detail10TensorInfoIT_T0_EENS4_IKS5_S6_EEllS6_
                                        ; -- End function
	.section	.AMDGPU.csdata,"",@progbits
; Kernel info:
; codeLenInByte = 3916
; NumSgprs: 47
; NumVgprs: 26
; ScratchSize: 0
; MemoryBound: 0
; FloatMode: 240
; IeeeMode: 1
; LDSByteSize: 0 bytes/workgroup (compile time only)
; SGPRBlocks: 5
; VGPRBlocks: 3
; NumSGPRsForWavesPerEU: 47
; NumVGPRsForWavesPerEU: 26
; Occupancy: 16
; WaveLimiterHint : 0
; COMPUTE_PGM_RSRC2:SCRATCH_EN: 0
; COMPUTE_PGM_RSRC2:USER_SGPR: 15
; COMPUTE_PGM_RSRC2:TRAP_HANDLER: 0
; COMPUTE_PGM_RSRC2:TGID_X_EN: 1
; COMPUTE_PGM_RSRC2:TGID_Y_EN: 0
; COMPUTE_PGM_RSRC2:TGID_Z_EN: 0
; COMPUTE_PGM_RSRC2:TIDIG_COMP_CNT: 0
	.section	.text._ZN2at6native16triu_tril_kernelIllLb0ELi2ELb0EEEvNS_4cuda6detail10TensorInfoIT_T0_EENS4_IKS5_S6_EEllS6_,"axG",@progbits,_ZN2at6native16triu_tril_kernelIllLb0ELi2ELb0EEEvNS_4cuda6detail10TensorInfoIT_T0_EENS4_IKS5_S6_EEllS6_,comdat
	.protected	_ZN2at6native16triu_tril_kernelIllLb0ELi2ELb0EEEvNS_4cuda6detail10TensorInfoIT_T0_EENS4_IKS5_S6_EEllS6_ ; -- Begin function _ZN2at6native16triu_tril_kernelIllLb0ELi2ELb0EEEvNS_4cuda6detail10TensorInfoIT_T0_EENS4_IKS5_S6_EEllS6_
	.globl	_ZN2at6native16triu_tril_kernelIllLb0ELi2ELb0EEEvNS_4cuda6detail10TensorInfoIT_T0_EENS4_IKS5_S6_EEllS6_
	.p2align	8
	.type	_ZN2at6native16triu_tril_kernelIllLb0ELi2ELb0EEEvNS_4cuda6detail10TensorInfoIT_T0_EENS4_IKS5_S6_EEllS6_,@function
_ZN2at6native16triu_tril_kernelIllLb0ELi2ELb0EEEvNS_4cuda6detail10TensorInfoIT_T0_EENS4_IKS5_S6_EEllS6_: ; @_ZN2at6native16triu_tril_kernelIllLb0ELi2ELb0EEEvNS_4cuda6detail10TensorInfoIT_T0_EENS4_IKS5_S6_EEllS6_
; %bb.0:
	s_clause 0x1
	s_load_b32 s2, s[0:1], 0x364
	s_load_b128 s[4:7], s[0:1], 0x340
	v_mov_b32_e32 v2, 0
	s_add_u32 s8, s0, 0x358
	s_addc_u32 s9, s1, 0
	s_delay_alu instid0(VALU_DEP_1) | instskip(SKIP_3) | instid1(VALU_DEP_1)
	v_mov_b32_e32 v1, v2
	s_waitcnt lgkmcnt(0)
	s_and_b32 s24, s2, 0xffff
	s_mov_b32 s2, exec_lo
	v_mad_u64_u32 v[3:4], null, s24, s15, v[0:1]
	s_delay_alu instid0(VALU_DEP_1) | instskip(NEXT) | instid1(VALU_DEP_1)
	v_lshlrev_b64 v[0:1], 1, v[3:4]
	v_cmpx_gt_i64_e64 s[6:7], v[0:1]
	s_cbranch_execz .LBB15_26
; %bb.1:
	s_clause 0x1
	s_load_b32 s26, s[0:1], 0x338
	s_load_b64 s[2:3], s[0:1], 0x350
	s_add_u32 s10, s0, 0x1a0
	s_addc_u32 s11, s1, 0
	s_load_b32 s25, s[8:9], 0x0
	s_clause 0x1
	s_load_b64 s[20:21], s[0:1], 0x1a0
	s_load_b64 s[22:23], s[0:1], 0x0
	s_mov_b32 s46, 0
	s_waitcnt lgkmcnt(0)
	s_ashr_i32 s27, s26, 31
	s_add_u32 s30, s0, 0x1a8
	s_addc_u32 s31, s1, 0
	s_lshl_b64 s[8:9], s[26:27], 3
	v_cvt_f32_u32_e32 v3, s2
	s_add_u32 s14, s8, -16
	s_addc_u32 s15, s9, -1
	s_add_u32 s8, s30, s14
	s_addc_u32 s9, s31, s15
	s_add_u32 s12, s10, s14
	s_addc_u32 s13, s11, s15
	s_add_u32 s34, s0, 0xd0
	s_addc_u32 s35, s1, 0
	s_add_u32 s0, s34, s14
	s_addc_u32 s1, s35, s15
	s_clause 0x2
	s_load_b128 s[8:11], s[8:9], 0x0
	s_load_b128 s[12:15], s[12:13], 0xd0
	s_load_b128 s[16:19], s[0:1], 0x0
	v_rcp_iflag_f32_e32 v3, v3
	s_add_i32 s28, s26, -3
	s_mul_i32 s25, s25, s24
	s_ashr_i32 s29, s28, 31
	v_cmp_gt_i64_e64 s1, s[26:27], 2
	s_lshl_b64 s[26:27], s[28:29], 3
	s_lshl_b32 s33, s25, 1
	s_add_u32 s24, s34, s26
	s_addc_u32 s25, s35, s27
	s_add_u32 s26, s30, s26
	s_waitcnt_depctr 0xfff
	v_mul_f32_e32 v3, 0x4f7ffffe, v3
	s_addc_u32 s27, s31, s27
	s_add_u32 s28, s28, 1
	s_addc_u32 s29, s29, 0
	s_ashr_i32 s30, s3, 31
	v_cvt_u32_f32_e32 v18, v3
	s_branch .LBB15_3
.LBB15_2:                               ;   in Loop: Header=BB15_3 Depth=1
	s_or_b32 exec_lo, exec_lo, s0
	v_add_co_u32 v0, vcc_lo, v0, s33
	v_add_co_ci_u32_e32 v1, vcc_lo, 0, v1, vcc_lo
	s_delay_alu instid0(VALU_DEP_1) | instskip(SKIP_1) | instid1(SALU_CYCLE_1)
	v_cmp_le_i64_e32 vcc_lo, s[6:7], v[0:1]
	s_or_b32 s46, vcc_lo, s46
	s_and_not1_b32 exec_lo, exec_lo, s46
	s_cbranch_execz .LBB15_26
.LBB15_3:                               ; =>This Loop Header: Depth=1
                                        ;     Child Loop BB15_22 Depth 2
	v_or_b32_e32 v3, s3, v1
                                        ; implicit-def: $vgpr8_vgpr9
	s_mov_b32 s0, exec_lo
	s_delay_alu instid0(VALU_DEP_1)
	v_cmpx_ne_u64_e32 0, v[2:3]
	s_xor_b32 s36, exec_lo, s0
	s_cbranch_execz .LBB15_5
; %bb.4:                                ;   in Loop: Header=BB15_3 Depth=1
	s_add_u32 s34, s2, s30
	s_mov_b32 s31, s30
	s_addc_u32 s35, s3, s30
	s_delay_alu instid0(SALU_CYCLE_1) | instskip(NEXT) | instid1(SALU_CYCLE_1)
	s_xor_b64 s[34:35], s[34:35], s[30:31]
	v_cvt_f32_u32_e32 v3, s34
	v_cvt_f32_u32_e32 v4, s35
	s_sub_u32 s0, 0, s34
	s_subb_u32 s31, 0, s35
	s_delay_alu instid0(VALU_DEP_1) | instskip(NEXT) | instid1(VALU_DEP_1)
	v_fmac_f32_e32 v3, 0x4f800000, v4
	v_rcp_f32_e32 v3, v3
	s_waitcnt_depctr 0xfff
	v_mul_f32_e32 v3, 0x5f7ffffc, v3
	s_delay_alu instid0(VALU_DEP_1) | instskip(NEXT) | instid1(VALU_DEP_1)
	v_mul_f32_e32 v4, 0x2f800000, v3
	v_trunc_f32_e32 v4, v4
	s_delay_alu instid0(VALU_DEP_1) | instskip(SKIP_1) | instid1(VALU_DEP_2)
	v_fmac_f32_e32 v3, 0xcf800000, v4
	v_cvt_u32_f32_e32 v4, v4
	v_cvt_u32_f32_e32 v3, v3
	s_delay_alu instid0(VALU_DEP_2) | instskip(NEXT) | instid1(VALU_DEP_2)
	v_mul_lo_u32 v5, s0, v4
	v_mul_hi_u32 v6, s0, v3
	v_mul_lo_u32 v7, s31, v3
	s_delay_alu instid0(VALU_DEP_2) | instskip(SKIP_1) | instid1(VALU_DEP_2)
	v_add_nc_u32_e32 v5, v6, v5
	v_mul_lo_u32 v6, s0, v3
	v_add_nc_u32_e32 v5, v5, v7
	s_delay_alu instid0(VALU_DEP_2) | instskip(NEXT) | instid1(VALU_DEP_2)
	v_mul_hi_u32 v7, v3, v6
	v_mul_lo_u32 v8, v3, v5
	v_mul_hi_u32 v9, v3, v5
	v_mul_hi_u32 v10, v4, v6
	v_mul_lo_u32 v6, v4, v6
	v_mul_hi_u32 v11, v4, v5
	v_mul_lo_u32 v5, v4, v5
	v_add_co_u32 v7, vcc_lo, v7, v8
	v_add_co_ci_u32_e32 v8, vcc_lo, 0, v9, vcc_lo
	s_delay_alu instid0(VALU_DEP_2) | instskip(NEXT) | instid1(VALU_DEP_2)
	v_add_co_u32 v6, vcc_lo, v7, v6
	v_add_co_ci_u32_e32 v6, vcc_lo, v8, v10, vcc_lo
	v_add_co_ci_u32_e32 v7, vcc_lo, 0, v11, vcc_lo
	v_ashrrev_i32_e32 v10, 31, v1
	s_delay_alu instid0(VALU_DEP_3) | instskip(NEXT) | instid1(VALU_DEP_3)
	v_add_co_u32 v5, vcc_lo, v6, v5
	v_add_co_ci_u32_e32 v6, vcc_lo, 0, v7, vcc_lo
	s_delay_alu instid0(VALU_DEP_2) | instskip(NEXT) | instid1(VALU_DEP_2)
	v_add_co_u32 v3, vcc_lo, v3, v5
	v_add_co_ci_u32_e32 v4, vcc_lo, v4, v6, vcc_lo
	s_delay_alu instid0(VALU_DEP_2) | instskip(SKIP_1) | instid1(VALU_DEP_3)
	v_mul_hi_u32 v5, s0, v3
	v_mul_lo_u32 v7, s31, v3
	v_mul_lo_u32 v6, s0, v4
	s_delay_alu instid0(VALU_DEP_1) | instskip(SKIP_1) | instid1(VALU_DEP_2)
	v_add_nc_u32_e32 v5, v5, v6
	v_mul_lo_u32 v6, s0, v3
	v_add_nc_u32_e32 v5, v5, v7
	s_delay_alu instid0(VALU_DEP_2) | instskip(NEXT) | instid1(VALU_DEP_2)
	v_mul_hi_u32 v7, v3, v6
	v_mul_lo_u32 v8, v3, v5
	v_mul_hi_u32 v9, v3, v5
	v_mul_hi_u32 v11, v4, v6
	v_mul_lo_u32 v6, v4, v6
	v_mul_hi_u32 v12, v4, v5
	v_mul_lo_u32 v5, v4, v5
	v_add_co_u32 v7, vcc_lo, v7, v8
	v_add_co_ci_u32_e32 v8, vcc_lo, 0, v9, vcc_lo
	s_delay_alu instid0(VALU_DEP_2) | instskip(NEXT) | instid1(VALU_DEP_2)
	v_add_co_u32 v6, vcc_lo, v7, v6
	v_add_co_ci_u32_e32 v6, vcc_lo, v8, v11, vcc_lo
	v_add_co_ci_u32_e32 v7, vcc_lo, 0, v12, vcc_lo
	v_add_co_u32 v8, vcc_lo, v0, v10
	v_add_co_ci_u32_e32 v9, vcc_lo, v1, v10, vcc_lo
	s_delay_alu instid0(VALU_DEP_4) | instskip(NEXT) | instid1(VALU_DEP_4)
	v_add_co_u32 v5, vcc_lo, v6, v5
	v_add_co_ci_u32_e32 v6, vcc_lo, 0, v7, vcc_lo
	s_delay_alu instid0(VALU_DEP_4) | instskip(NEXT) | instid1(VALU_DEP_3)
	v_xor_b32_e32 v11, v8, v10
	v_add_co_u32 v7, vcc_lo, v3, v5
	s_delay_alu instid0(VALU_DEP_3) | instskip(SKIP_1) | instid1(VALU_DEP_3)
	v_add_co_ci_u32_e32 v12, vcc_lo, v4, v6, vcc_lo
	v_xor_b32_e32 v9, v9, v10
	v_mul_hi_u32 v13, v11, v7
	s_delay_alu instid0(VALU_DEP_3) | instskip(NEXT) | instid1(VALU_DEP_3)
	v_mad_u64_u32 v[3:4], null, v11, v12, 0
	v_mad_u64_u32 v[5:6], null, v9, v7, 0
	v_mad_u64_u32 v[7:8], null, v9, v12, 0
	s_delay_alu instid0(VALU_DEP_3) | instskip(NEXT) | instid1(VALU_DEP_4)
	v_add_co_u32 v3, vcc_lo, v13, v3
	v_add_co_ci_u32_e32 v4, vcc_lo, 0, v4, vcc_lo
	s_delay_alu instid0(VALU_DEP_2) | instskip(NEXT) | instid1(VALU_DEP_2)
	v_add_co_u32 v3, vcc_lo, v3, v5
	v_add_co_ci_u32_e32 v3, vcc_lo, v4, v6, vcc_lo
	v_add_co_ci_u32_e32 v4, vcc_lo, 0, v8, vcc_lo
	s_delay_alu instid0(VALU_DEP_2) | instskip(NEXT) | instid1(VALU_DEP_2)
	v_add_co_u32 v5, vcc_lo, v3, v7
	v_add_co_ci_u32_e32 v6, vcc_lo, 0, v4, vcc_lo
	s_delay_alu instid0(VALU_DEP_2) | instskip(SKIP_1) | instid1(VALU_DEP_3)
	v_mul_lo_u32 v7, s35, v5
	v_mad_u64_u32 v[3:4], null, s34, v5, 0
	v_mul_lo_u32 v8, s34, v6
	s_delay_alu instid0(VALU_DEP_2) | instskip(NEXT) | instid1(VALU_DEP_2)
	v_sub_co_u32 v3, vcc_lo, v11, v3
	v_add3_u32 v4, v4, v8, v7
	s_delay_alu instid0(VALU_DEP_1) | instskip(NEXT) | instid1(VALU_DEP_1)
	v_sub_nc_u32_e32 v7, v9, v4
	v_subrev_co_ci_u32_e64 v7, s0, s35, v7, vcc_lo
	v_add_co_u32 v8, s0, v5, 2
	s_delay_alu instid0(VALU_DEP_1) | instskip(SKIP_3) | instid1(VALU_DEP_3)
	v_add_co_ci_u32_e64 v11, s0, 0, v6, s0
	v_sub_co_u32 v12, s0, v3, s34
	v_sub_co_ci_u32_e32 v4, vcc_lo, v9, v4, vcc_lo
	v_subrev_co_ci_u32_e64 v7, s0, 0, v7, s0
	v_cmp_le_u32_e32 vcc_lo, s34, v12
	s_delay_alu instid0(VALU_DEP_3) | instskip(SKIP_1) | instid1(VALU_DEP_4)
	v_cmp_eq_u32_e64 s0, s35, v4
	v_cndmask_b32_e64 v9, 0, -1, vcc_lo
	v_cmp_le_u32_e32 vcc_lo, s35, v7
	v_cndmask_b32_e64 v12, 0, -1, vcc_lo
	v_cmp_le_u32_e32 vcc_lo, s34, v3
	;; [unrolled: 2-line block ×3, first 2 shown]
	v_cndmask_b32_e64 v13, 0, -1, vcc_lo
	v_cmp_eq_u32_e32 vcc_lo, s35, v7
	s_delay_alu instid0(VALU_DEP_2) | instskip(SKIP_3) | instid1(VALU_DEP_3)
	v_cndmask_b32_e64 v3, v13, v3, s0
	v_cndmask_b32_e32 v7, v12, v9, vcc_lo
	v_add_co_u32 v9, vcc_lo, v5, 1
	v_add_co_ci_u32_e32 v12, vcc_lo, 0, v6, vcc_lo
	v_cmp_ne_u32_e32 vcc_lo, 0, v7
	s_delay_alu instid0(VALU_DEP_2) | instskip(SKIP_2) | instid1(VALU_DEP_3)
	v_dual_cndmask_b32 v4, v12, v11 :: v_dual_cndmask_b32 v7, v9, v8
	v_cmp_ne_u32_e32 vcc_lo, 0, v3
	v_xor_b32_e32 v3, s30, v10
	v_dual_cndmask_b32 v5, v5, v7 :: v_dual_cndmask_b32 v4, v6, v4
	s_delay_alu instid0(VALU_DEP_1) | instskip(NEXT) | instid1(VALU_DEP_2)
	v_xor_b32_e32 v5, v5, v3
	v_xor_b32_e32 v4, v4, v3
	s_delay_alu instid0(VALU_DEP_2) | instskip(NEXT) | instid1(VALU_DEP_2)
	v_sub_co_u32 v8, vcc_lo, v5, v3
	v_sub_co_ci_u32_e32 v9, vcc_lo, v4, v3, vcc_lo
.LBB15_5:                               ;   in Loop: Header=BB15_3 Depth=1
	s_and_not1_saveexec_b32 s0, s36
	s_cbranch_execz .LBB15_7
; %bb.6:                                ;   in Loop: Header=BB15_3 Depth=1
	s_sub_i32 s31, 0, s2
	v_mov_b32_e32 v9, v2
	v_mul_lo_u32 v3, s31, v18
	s_delay_alu instid0(VALU_DEP_1) | instskip(NEXT) | instid1(VALU_DEP_1)
	v_mul_hi_u32 v3, v18, v3
	v_add_nc_u32_e32 v3, v18, v3
	s_delay_alu instid0(VALU_DEP_1) | instskip(NEXT) | instid1(VALU_DEP_1)
	v_mul_hi_u32 v3, v0, v3
	v_mul_lo_u32 v4, v3, s2
	v_add_nc_u32_e32 v5, 1, v3
	s_delay_alu instid0(VALU_DEP_2) | instskip(NEXT) | instid1(VALU_DEP_1)
	v_sub_nc_u32_e32 v4, v0, v4
	v_subrev_nc_u32_e32 v6, s2, v4
	v_cmp_le_u32_e32 vcc_lo, s2, v4
	s_delay_alu instid0(VALU_DEP_2) | instskip(NEXT) | instid1(VALU_DEP_1)
	v_dual_cndmask_b32 v4, v4, v6 :: v_dual_cndmask_b32 v3, v3, v5
	v_cmp_le_u32_e32 vcc_lo, s2, v4
	s_delay_alu instid0(VALU_DEP_2) | instskip(NEXT) | instid1(VALU_DEP_1)
	v_add_nc_u32_e32 v5, 1, v3
	v_cndmask_b32_e32 v8, v3, v5, vcc_lo
.LBB15_7:                               ;   in Loop: Header=BB15_3 Depth=1
	s_or_b32 exec_lo, exec_lo, s0
	s_waitcnt lgkmcnt(0)
	v_or_b32_e32 v3, s9, v9
                                        ; implicit-def: $vgpr6_vgpr7
	s_mov_b32 s0, exec_lo
	s_delay_alu instid0(VALU_DEP_1)
	v_cmpx_ne_u64_e32 0, v[2:3]
	s_xor_b32 s31, exec_lo, s0
	s_cbranch_execz .LBB15_9
; %bb.8:                                ;   in Loop: Header=BB15_3 Depth=1
	s_ashr_i32 s34, s9, 31
	s_delay_alu instid0(SALU_CYCLE_1) | instskip(SKIP_2) | instid1(SALU_CYCLE_1)
	s_add_u32 s36, s8, s34
	s_mov_b32 s35, s34
	s_addc_u32 s37, s9, s34
	s_xor_b64 s[36:37], s[36:37], s[34:35]
	s_delay_alu instid0(SALU_CYCLE_1) | instskip(SKIP_3) | instid1(VALU_DEP_1)
	v_cvt_f32_u32_e32 v3, s36
	v_cvt_f32_u32_e32 v4, s37
	s_sub_u32 s0, 0, s36
	s_subb_u32 s35, 0, s37
	v_fmac_f32_e32 v3, 0x4f800000, v4
	s_delay_alu instid0(VALU_DEP_1) | instskip(SKIP_2) | instid1(VALU_DEP_1)
	v_rcp_f32_e32 v3, v3
	s_waitcnt_depctr 0xfff
	v_mul_f32_e32 v3, 0x5f7ffffc, v3
	v_mul_f32_e32 v4, 0x2f800000, v3
	s_delay_alu instid0(VALU_DEP_1) | instskip(NEXT) | instid1(VALU_DEP_1)
	v_trunc_f32_e32 v4, v4
	v_fmac_f32_e32 v3, 0xcf800000, v4
	v_cvt_u32_f32_e32 v4, v4
	s_delay_alu instid0(VALU_DEP_2) | instskip(NEXT) | instid1(VALU_DEP_2)
	v_cvt_u32_f32_e32 v3, v3
	v_mul_lo_u32 v5, s0, v4
	s_delay_alu instid0(VALU_DEP_2) | instskip(SKIP_1) | instid1(VALU_DEP_2)
	v_mul_hi_u32 v6, s0, v3
	v_mul_lo_u32 v7, s35, v3
	v_add_nc_u32_e32 v5, v6, v5
	v_mul_lo_u32 v6, s0, v3
	s_delay_alu instid0(VALU_DEP_2) | instskip(NEXT) | instid1(VALU_DEP_2)
	v_add_nc_u32_e32 v5, v5, v7
	v_mul_hi_u32 v7, v3, v6
	s_delay_alu instid0(VALU_DEP_2)
	v_mul_lo_u32 v10, v3, v5
	v_mul_hi_u32 v11, v3, v5
	v_mul_hi_u32 v12, v4, v6
	v_mul_lo_u32 v6, v4, v6
	v_mul_hi_u32 v13, v4, v5
	v_mul_lo_u32 v5, v4, v5
	v_add_co_u32 v7, vcc_lo, v7, v10
	v_add_co_ci_u32_e32 v10, vcc_lo, 0, v11, vcc_lo
	s_delay_alu instid0(VALU_DEP_2) | instskip(NEXT) | instid1(VALU_DEP_2)
	v_add_co_u32 v6, vcc_lo, v7, v6
	v_add_co_ci_u32_e32 v6, vcc_lo, v10, v12, vcc_lo
	v_add_co_ci_u32_e32 v7, vcc_lo, 0, v13, vcc_lo
	v_ashrrev_i32_e32 v12, 31, v9
	s_delay_alu instid0(VALU_DEP_3) | instskip(NEXT) | instid1(VALU_DEP_3)
	v_add_co_u32 v5, vcc_lo, v6, v5
	v_add_co_ci_u32_e32 v6, vcc_lo, 0, v7, vcc_lo
	s_delay_alu instid0(VALU_DEP_2) | instskip(NEXT) | instid1(VALU_DEP_2)
	v_add_co_u32 v3, vcc_lo, v3, v5
	v_add_co_ci_u32_e32 v4, vcc_lo, v4, v6, vcc_lo
	s_delay_alu instid0(VALU_DEP_2) | instskip(SKIP_1) | instid1(VALU_DEP_3)
	v_mul_hi_u32 v5, s0, v3
	v_mul_lo_u32 v7, s35, v3
	v_mul_lo_u32 v6, s0, v4
	s_delay_alu instid0(VALU_DEP_1) | instskip(SKIP_1) | instid1(VALU_DEP_2)
	v_add_nc_u32_e32 v5, v5, v6
	v_mul_lo_u32 v6, s0, v3
	v_add_nc_u32_e32 v5, v5, v7
	s_delay_alu instid0(VALU_DEP_2) | instskip(NEXT) | instid1(VALU_DEP_2)
	v_mul_hi_u32 v7, v3, v6
	v_mul_lo_u32 v10, v3, v5
	v_mul_hi_u32 v11, v3, v5
	v_mul_hi_u32 v13, v4, v6
	v_mul_lo_u32 v6, v4, v6
	v_mul_hi_u32 v14, v4, v5
	v_mul_lo_u32 v5, v4, v5
	v_add_co_u32 v7, vcc_lo, v7, v10
	v_add_co_ci_u32_e32 v10, vcc_lo, 0, v11, vcc_lo
	s_delay_alu instid0(VALU_DEP_2) | instskip(NEXT) | instid1(VALU_DEP_2)
	v_add_co_u32 v6, vcc_lo, v7, v6
	v_add_co_ci_u32_e32 v6, vcc_lo, v10, v13, vcc_lo
	v_add_co_ci_u32_e32 v7, vcc_lo, 0, v14, vcc_lo
	v_add_co_u32 v10, vcc_lo, v8, v12
	v_add_co_ci_u32_e32 v11, vcc_lo, v9, v12, vcc_lo
	s_delay_alu instid0(VALU_DEP_4) | instskip(NEXT) | instid1(VALU_DEP_4)
	v_add_co_u32 v5, vcc_lo, v6, v5
	v_add_co_ci_u32_e32 v6, vcc_lo, 0, v7, vcc_lo
	s_delay_alu instid0(VALU_DEP_4) | instskip(NEXT) | instid1(VALU_DEP_3)
	v_xor_b32_e32 v7, v10, v12
	v_add_co_u32 v10, vcc_lo, v3, v5
	s_delay_alu instid0(VALU_DEP_3) | instskip(SKIP_1) | instid1(VALU_DEP_3)
	v_add_co_ci_u32_e32 v13, vcc_lo, v4, v6, vcc_lo
	v_xor_b32_e32 v14, v11, v12
	v_mul_hi_u32 v15, v7, v10
	s_delay_alu instid0(VALU_DEP_3) | instskip(NEXT) | instid1(VALU_DEP_3)
	v_mad_u64_u32 v[3:4], null, v7, v13, 0
	v_mad_u64_u32 v[5:6], null, v14, v10, 0
	;; [unrolled: 1-line block ×3, first 2 shown]
	s_delay_alu instid0(VALU_DEP_3) | instskip(NEXT) | instid1(VALU_DEP_4)
	v_add_co_u32 v3, vcc_lo, v15, v3
	v_add_co_ci_u32_e32 v4, vcc_lo, 0, v4, vcc_lo
	s_delay_alu instid0(VALU_DEP_2) | instskip(NEXT) | instid1(VALU_DEP_2)
	v_add_co_u32 v3, vcc_lo, v3, v5
	v_add_co_ci_u32_e32 v3, vcc_lo, v4, v6, vcc_lo
	v_add_co_ci_u32_e32 v4, vcc_lo, 0, v11, vcc_lo
	s_delay_alu instid0(VALU_DEP_2) | instskip(NEXT) | instid1(VALU_DEP_2)
	v_add_co_u32 v5, vcc_lo, v3, v10
	v_add_co_ci_u32_e32 v6, vcc_lo, 0, v4, vcc_lo
	s_delay_alu instid0(VALU_DEP_2) | instskip(SKIP_1) | instid1(VALU_DEP_3)
	v_mul_lo_u32 v10, s37, v5
	v_mad_u64_u32 v[3:4], null, s36, v5, 0
	v_mul_lo_u32 v11, s36, v6
	s_delay_alu instid0(VALU_DEP_2) | instskip(NEXT) | instid1(VALU_DEP_2)
	v_sub_co_u32 v3, vcc_lo, v7, v3
	v_add3_u32 v4, v4, v11, v10
	s_delay_alu instid0(VALU_DEP_1) | instskip(NEXT) | instid1(VALU_DEP_1)
	v_sub_nc_u32_e32 v10, v14, v4
	v_subrev_co_ci_u32_e64 v7, s0, s37, v10, vcc_lo
	v_add_co_u32 v10, s0, v5, 2
	s_delay_alu instid0(VALU_DEP_1) | instskip(SKIP_3) | instid1(VALU_DEP_3)
	v_add_co_ci_u32_e64 v11, s0, 0, v6, s0
	v_sub_co_u32 v13, s0, v3, s36
	v_sub_co_ci_u32_e32 v4, vcc_lo, v14, v4, vcc_lo
	v_subrev_co_ci_u32_e64 v7, s0, 0, v7, s0
	v_cmp_le_u32_e32 vcc_lo, s36, v13
	s_delay_alu instid0(VALU_DEP_3) | instskip(SKIP_1) | instid1(VALU_DEP_4)
	v_cmp_eq_u32_e64 s0, s37, v4
	v_cndmask_b32_e64 v13, 0, -1, vcc_lo
	v_cmp_le_u32_e32 vcc_lo, s37, v7
	v_cndmask_b32_e64 v14, 0, -1, vcc_lo
	v_cmp_le_u32_e32 vcc_lo, s36, v3
	;; [unrolled: 2-line block ×3, first 2 shown]
	v_cndmask_b32_e64 v15, 0, -1, vcc_lo
	v_cmp_eq_u32_e32 vcc_lo, s37, v7
	s_delay_alu instid0(VALU_DEP_2) | instskip(SKIP_3) | instid1(VALU_DEP_3)
	v_cndmask_b32_e64 v3, v15, v3, s0
	v_cndmask_b32_e32 v7, v14, v13, vcc_lo
	v_add_co_u32 v13, vcc_lo, v5, 1
	v_add_co_ci_u32_e32 v14, vcc_lo, 0, v6, vcc_lo
	v_cmp_ne_u32_e32 vcc_lo, 0, v7
	s_delay_alu instid0(VALU_DEP_2) | instskip(SKIP_2) | instid1(VALU_DEP_3)
	v_dual_cndmask_b32 v4, v14, v11 :: v_dual_cndmask_b32 v7, v13, v10
	v_cmp_ne_u32_e32 vcc_lo, 0, v3
	v_xor_b32_e32 v3, s34, v12
	v_dual_cndmask_b32 v5, v5, v7 :: v_dual_cndmask_b32 v4, v6, v4
	s_delay_alu instid0(VALU_DEP_1) | instskip(NEXT) | instid1(VALU_DEP_2)
	v_xor_b32_e32 v5, v5, v3
	v_xor_b32_e32 v4, v4, v3
	s_delay_alu instid0(VALU_DEP_2) | instskip(NEXT) | instid1(VALU_DEP_2)
	v_sub_co_u32 v6, vcc_lo, v5, v3
	v_sub_co_ci_u32_e32 v7, vcc_lo, v4, v3, vcc_lo
.LBB15_9:                               ;   in Loop: Header=BB15_3 Depth=1
	s_and_not1_saveexec_b32 s0, s31
	s_cbranch_execz .LBB15_11
; %bb.10:                               ;   in Loop: Header=BB15_3 Depth=1
	v_cvt_f32_u32_e32 v3, s8
	s_sub_i32 s31, 0, s8
	v_mov_b32_e32 v7, v2
	s_delay_alu instid0(VALU_DEP_2) | instskip(SKIP_2) | instid1(VALU_DEP_1)
	v_rcp_iflag_f32_e32 v3, v3
	s_waitcnt_depctr 0xfff
	v_mul_f32_e32 v3, 0x4f7ffffe, v3
	v_cvt_u32_f32_e32 v3, v3
	s_delay_alu instid0(VALU_DEP_1) | instskip(NEXT) | instid1(VALU_DEP_1)
	v_mul_lo_u32 v4, s31, v3
	v_mul_hi_u32 v4, v3, v4
	s_delay_alu instid0(VALU_DEP_1) | instskip(NEXT) | instid1(VALU_DEP_1)
	v_add_nc_u32_e32 v3, v3, v4
	v_mul_hi_u32 v3, v8, v3
	s_delay_alu instid0(VALU_DEP_1) | instskip(SKIP_1) | instid1(VALU_DEP_2)
	v_mul_lo_u32 v4, v3, s8
	v_add_nc_u32_e32 v5, 1, v3
	v_sub_nc_u32_e32 v4, v8, v4
	s_delay_alu instid0(VALU_DEP_1) | instskip(SKIP_1) | instid1(VALU_DEP_2)
	v_subrev_nc_u32_e32 v6, s8, v4
	v_cmp_le_u32_e32 vcc_lo, s8, v4
	v_dual_cndmask_b32 v4, v4, v6 :: v_dual_cndmask_b32 v3, v3, v5
	s_delay_alu instid0(VALU_DEP_1) | instskip(NEXT) | instid1(VALU_DEP_2)
	v_cmp_le_u32_e32 vcc_lo, s8, v4
	v_add_nc_u32_e32 v5, 1, v3
	s_delay_alu instid0(VALU_DEP_1)
	v_cndmask_b32_e32 v6, v3, v5, vcc_lo
.LBB15_11:                              ;   in Loop: Header=BB15_3 Depth=1
	s_or_b32 exec_lo, exec_lo, s0
	v_mul_lo_u32 v5, v9, s2
	v_mul_lo_u32 v12, v8, s3
	v_mad_u64_u32 v[3:4], null, v8, s2, 0
	v_mul_lo_u32 v13, v7, s8
	v_mul_lo_u32 v14, v6, s9
	v_mad_u64_u32 v[10:11], null, v6, s8, 0
	s_mov_b64 s[34:35], s[28:29]
	s_mov_b64 s[36:37], s[26:27]
	s_delay_alu instid0(VALU_DEP_4) | instskip(SKIP_2) | instid1(VALU_DEP_3)
	v_add3_u32 v5, v4, v12, v5
	v_sub_co_u32 v4, vcc_lo, v0, v3
	s_mov_b64 s[38:39], s[24:25]
	v_add3_u32 v3, v11, v14, v13
	s_delay_alu instid0(VALU_DEP_3) | instskip(NEXT) | instid1(VALU_DEP_3)
	v_sub_co_ci_u32_e32 v5, vcc_lo, v1, v5, vcc_lo
	v_mul_lo_u32 v11, s15, v4
	v_mul_lo_u32 v12, s19, v4
	v_mad_u64_u32 v[14:15], null, s18, v4, 0
	s_delay_alu instid0(VALU_DEP_4)
	v_mul_lo_u32 v13, s14, v5
	v_mul_lo_u32 v16, s18, v5
	v_mad_u64_u32 v[21:22], null, s14, v4, 0
	v_sub_co_u32 v19, vcc_lo, v8, v10
	v_sub_co_ci_u32_e32 v20, vcc_lo, v9, v3, vcc_lo
	s_and_b32 vcc_lo, exec_lo, s1
	s_delay_alu instid0(VALU_DEP_4) | instskip(NEXT) | instid1(VALU_DEP_4)
	v_add3_u32 v15, v15, v16, v12
	v_add3_u32 v22, v22, v13, v11
	v_mul_lo_u32 v3, s13, v19
	v_mul_lo_u32 v8, s12, v20
	;; [unrolled: 1-line block ×3, first 2 shown]
	v_mad_u64_u32 v[12:13], null, s16, v19, v[14:15]
	v_mul_lo_u32 v10, s17, v19
	v_mad_u64_u32 v[16:17], null, s12, v19, v[21:22]
	s_delay_alu instid0(VALU_DEP_2) | instskip(NEXT) | instid1(VALU_DEP_2)
	v_add3_u32 v13, v10, v13, v9
	v_add3_u32 v17, v3, v17, v8
	v_mov_b32_e32 v8, v12
	s_delay_alu instid0(VALU_DEP_3) | instskip(NEXT) | instid1(VALU_DEP_3)
	v_dual_mov_b32 v10, v16 :: v_dual_mov_b32 v9, v13
	v_mov_b32_e32 v11, v17
	s_cbranch_vccnz .LBB15_22
.LBB15_12:                              ;   in Loop: Header=BB15_3 Depth=1
	v_mov_b32_e32 v10, 0
	v_mov_b32_e32 v11, 0
	v_sub_co_u32 v8, vcc_lo, v4, v19
	v_sub_co_ci_u32_e32 v9, vcc_lo, v5, v20, vcc_lo
	s_delay_alu instid0(VALU_DEP_3) | instskip(SKIP_1) | instid1(VALU_DEP_2)
	v_dual_mov_b32 v6, v10 :: v_dual_mov_b32 v7, v11
	s_mov_b32 s0, exec_lo
	v_cmpx_ge_i64_e64 s[4:5], v[8:9]
	s_cbranch_execz .LBB15_18
; %bb.13:                               ;   in Loop: Header=BB15_3 Depth=1
	v_mov_b32_e32 v6, 0
	v_mov_b32_e32 v7, 0
	s_mov_b32 s31, exec_lo
	s_delay_alu instid0(VALU_DEP_1)
	v_dual_mov_b32 v11, v7 :: v_dual_mov_b32 v10, v6
	v_cmpx_gt_i64_e64 s[10:11], v[4:5]
	s_cbranch_execz .LBB15_17
; %bb.14:                               ;   in Loop: Header=BB15_3 Depth=1
	v_lshlrev_b64 v[6:7], 3, v[16:17]
	s_delay_alu instid0(VALU_DEP_1) | instskip(NEXT) | instid1(VALU_DEP_2)
	v_add_co_u32 v14, vcc_lo, s20, v6
	v_add_co_ci_u32_e32 v15, vcc_lo, s21, v7, vcc_lo
	v_add_co_u32 v10, vcc_lo, v4, 1
	v_add_co_ci_u32_e32 v11, vcc_lo, 0, v5, vcc_lo
	global_load_b64 v[6:7], v[14:15], off
	v_cmp_gt_i64_e32 vcc_lo, s[10:11], v[10:11]
	v_mov_b32_e32 v10, 0
	v_mov_b32_e32 v11, 0
	s_and_saveexec_b32 s34, vcc_lo
	s_delay_alu instid0(SALU_CYCLE_1)
	s_xor_b32 s34, exec_lo, s34
	s_cbranch_execz .LBB15_16
; %bb.15:                               ;   in Loop: Header=BB15_3 Depth=1
	s_lshl_b64 s[36:37], s[14:15], 3
	s_delay_alu instid0(SALU_CYCLE_1)
	v_add_co_u32 v10, vcc_lo, v14, s36
	v_add_co_ci_u32_e32 v11, vcc_lo, s37, v15, vcc_lo
	global_load_b64 v[10:11], v[10:11], off
.LBB15_16:                              ;   in Loop: Header=BB15_3 Depth=1
	s_or_b32 exec_lo, exec_lo, s34
.LBB15_17:                              ;   in Loop: Header=BB15_3 Depth=1
	s_delay_alu instid0(SALU_CYCLE_1) | instskip(SKIP_2) | instid1(VALU_DEP_1)
	s_or_b32 exec_lo, exec_lo, s31
	v_add_co_u32 v8, vcc_lo, v8, 1
	v_add_co_ci_u32_e32 v9, vcc_lo, 0, v9, vcc_lo
	v_cmp_ge_i64_e32 vcc_lo, s[4:5], v[8:9]
	s_waitcnt vmcnt(0)
	v_dual_cndmask_b32 v11, 0, v11 :: v_dual_cndmask_b32 v10, 0, v10
.LBB15_18:                              ;   in Loop: Header=BB15_3 Depth=1
	s_or_b32 exec_lo, exec_lo, s0
	s_delay_alu instid0(SALU_CYCLE_1)
	s_mov_b32 s0, exec_lo
	v_cmpx_gt_i64_e64 s[10:11], v[4:5]
	s_cbranch_execz .LBB15_2
; %bb.19:                               ;   in Loop: Header=BB15_3 Depth=1
	v_lshlrev_b64 v[8:9], 3, v[12:13]
	v_add_co_u32 v12, vcc_lo, v4, 1
	v_add_co_ci_u32_e32 v13, vcc_lo, 0, v5, vcc_lo
	s_mov_b32 s31, exec_lo
	s_delay_alu instid0(VALU_DEP_3) | instskip(NEXT) | instid1(VALU_DEP_4)
	v_add_co_u32 v3, vcc_lo, s22, v8
	v_add_co_ci_u32_e32 v4, vcc_lo, s23, v9, vcc_lo
	global_store_b64 v[3:4], v[6:7], off
	v_cmpx_gt_i64_e64 s[10:11], v[12:13]
	s_xor_b32 s31, exec_lo, s31
	s_cbranch_execz .LBB15_2
; %bb.20:                               ;   in Loop: Header=BB15_3 Depth=1
	s_lshl_b64 s[34:35], s[18:19], 3
	s_delay_alu instid0(SALU_CYCLE_1)
	v_add_co_u32 v3, vcc_lo, v3, s34
	v_add_co_ci_u32_e32 v4, vcc_lo, s35, v4, vcc_lo
	global_store_b64 v[3:4], v[10:11], off
	s_branch .LBB15_2
.LBB15_21:                              ;   in Loop: Header=BB15_22 Depth=2
	s_or_b32 exec_lo, exec_lo, s0
	s_delay_alu instid0(VALU_DEP_1) | instskip(NEXT) | instid1(VALU_DEP_2)
	v_mul_lo_u32 v3, v15, s40
	v_mul_lo_u32 v16, v14, s41
	s_load_b64 s[42:43], s[36:37], 0xc8
	v_mad_u64_u32 v[12:13], null, v14, s40, 0
	s_load_b64 s[40:41], s[38:39], 0x0
	s_add_u32 s38, s38, -8
	s_addc_u32 s39, s39, -1
	s_add_u32 s36, s36, -8
	s_addc_u32 s37, s37, -1
	s_add_u32 s34, s34, -1
	s_delay_alu instid0(VALU_DEP_1) | instskip(SKIP_2) | instid1(VALU_DEP_2)
	v_add3_u32 v3, v13, v16, v3
	v_sub_co_u32 v6, vcc_lo, v6, v12
	s_addc_u32 s35, s35, -1
	v_sub_co_ci_u32_e32 v3, vcc_lo, v7, v3, vcc_lo
	v_cmp_lt_i64_e64 s0, s[34:35], 1
	s_waitcnt lgkmcnt(0)
	s_delay_alu instid0(VALU_DEP_2)
	v_mul_lo_u32 v7, s42, v3
	v_mul_lo_u32 v21, s43, v6
	v_mad_u64_u32 v[16:17], null, s42, v6, v[10:11]
	v_mul_lo_u32 v3, s40, v3
	v_mul_lo_u32 v10, s41, v6
	v_mad_u64_u32 v[12:13], null, s40, v6, v[8:9]
	s_and_b32 vcc_lo, exec_lo, s0
	s_delay_alu instid0(VALU_DEP_4) | instskip(SKIP_1) | instid1(VALU_DEP_3)
	v_add3_u32 v17, v21, v17, v7
	v_dual_mov_b32 v6, v14 :: v_dual_mov_b32 v7, v15
	v_add3_u32 v13, v10, v13, v3
	s_delay_alu instid0(VALU_DEP_4) | instskip(NEXT) | instid1(VALU_DEP_4)
	v_mov_b32_e32 v8, v12
	v_dual_mov_b32 v10, v16 :: v_dual_mov_b32 v11, v17
	s_delay_alu instid0(VALU_DEP_3)
	v_mov_b32_e32 v9, v13
	s_cbranch_vccnz .LBB15_12
.LBB15_22:                              ;   Parent Loop BB15_3 Depth=1
                                        ; =>  This Inner Loop Header: Depth=2
	s_load_b64 s[40:41], s[36:37], 0x0
                                        ; implicit-def: $vgpr14_vgpr15
	s_mov_b32 s0, exec_lo
	s_waitcnt lgkmcnt(0)
	v_or_b32_e32 v3, s41, v7
	s_delay_alu instid0(VALU_DEP_1)
	v_cmpx_ne_u64_e32 0, v[2:3]
	s_xor_b32 s31, exec_lo, s0
	s_cbranch_execz .LBB15_24
; %bb.23:                               ;   in Loop: Header=BB15_22 Depth=2
	s_ashr_i32 s42, s41, 31
	s_delay_alu instid0(SALU_CYCLE_1) | instskip(SKIP_2) | instid1(SALU_CYCLE_1)
	s_add_u32 s44, s40, s42
	s_mov_b32 s43, s42
	s_addc_u32 s45, s41, s42
	s_xor_b64 s[44:45], s[44:45], s[42:43]
	s_delay_alu instid0(SALU_CYCLE_1) | instskip(SKIP_3) | instid1(VALU_DEP_1)
	v_cvt_f32_u32_e32 v3, s44
	v_cvt_f32_u32_e32 v12, s45
	s_sub_u32 s0, 0, s44
	s_subb_u32 s43, 0, s45
	v_fmac_f32_e32 v3, 0x4f800000, v12
	s_delay_alu instid0(VALU_DEP_1) | instskip(SKIP_2) | instid1(VALU_DEP_1)
	v_rcp_f32_e32 v3, v3
	s_waitcnt_depctr 0xfff
	v_mul_f32_e32 v3, 0x5f7ffffc, v3
	v_mul_f32_e32 v12, 0x2f800000, v3
	s_delay_alu instid0(VALU_DEP_1) | instskip(NEXT) | instid1(VALU_DEP_1)
	v_trunc_f32_e32 v12, v12
	v_fmac_f32_e32 v3, 0xcf800000, v12
	v_cvt_u32_f32_e32 v12, v12
	s_delay_alu instid0(VALU_DEP_2) | instskip(NEXT) | instid1(VALU_DEP_2)
	v_cvt_u32_f32_e32 v3, v3
	v_mul_lo_u32 v13, s0, v12
	s_delay_alu instid0(VALU_DEP_2) | instskip(SKIP_1) | instid1(VALU_DEP_2)
	v_mul_hi_u32 v14, s0, v3
	v_mul_lo_u32 v15, s43, v3
	v_add_nc_u32_e32 v13, v14, v13
	v_mul_lo_u32 v14, s0, v3
	s_delay_alu instid0(VALU_DEP_2) | instskip(NEXT) | instid1(VALU_DEP_2)
	v_add_nc_u32_e32 v13, v13, v15
	v_mul_hi_u32 v15, v3, v14
	s_delay_alu instid0(VALU_DEP_2)
	v_mul_lo_u32 v16, v3, v13
	v_mul_hi_u32 v17, v3, v13
	v_mul_hi_u32 v21, v12, v14
	v_mul_lo_u32 v14, v12, v14
	v_mul_hi_u32 v22, v12, v13
	v_mul_lo_u32 v13, v12, v13
	v_add_co_u32 v15, vcc_lo, v15, v16
	v_add_co_ci_u32_e32 v16, vcc_lo, 0, v17, vcc_lo
	s_delay_alu instid0(VALU_DEP_2) | instskip(NEXT) | instid1(VALU_DEP_2)
	v_add_co_u32 v14, vcc_lo, v15, v14
	v_add_co_ci_u32_e32 v14, vcc_lo, v16, v21, vcc_lo
	v_add_co_ci_u32_e32 v15, vcc_lo, 0, v22, vcc_lo
	v_ashrrev_i32_e32 v21, 31, v7
	s_delay_alu instid0(VALU_DEP_3) | instskip(NEXT) | instid1(VALU_DEP_3)
	v_add_co_u32 v13, vcc_lo, v14, v13
	v_add_co_ci_u32_e32 v14, vcc_lo, 0, v15, vcc_lo
	s_delay_alu instid0(VALU_DEP_2) | instskip(NEXT) | instid1(VALU_DEP_2)
	v_add_co_u32 v3, vcc_lo, v3, v13
	v_add_co_ci_u32_e32 v12, vcc_lo, v12, v14, vcc_lo
	s_delay_alu instid0(VALU_DEP_2) | instskip(SKIP_1) | instid1(VALU_DEP_3)
	v_mul_hi_u32 v13, s0, v3
	v_mul_lo_u32 v15, s43, v3
	v_mul_lo_u32 v14, s0, v12
	s_delay_alu instid0(VALU_DEP_1) | instskip(SKIP_1) | instid1(VALU_DEP_2)
	v_add_nc_u32_e32 v13, v13, v14
	v_mul_lo_u32 v14, s0, v3
	v_add_nc_u32_e32 v13, v13, v15
	s_delay_alu instid0(VALU_DEP_2) | instskip(NEXT) | instid1(VALU_DEP_2)
	v_mul_hi_u32 v15, v3, v14
	v_mul_lo_u32 v16, v3, v13
	v_mul_hi_u32 v17, v3, v13
	v_mul_hi_u32 v22, v12, v14
	v_mul_lo_u32 v14, v12, v14
	v_mul_hi_u32 v23, v12, v13
	v_mul_lo_u32 v13, v12, v13
	v_add_co_u32 v15, vcc_lo, v15, v16
	v_add_co_ci_u32_e32 v16, vcc_lo, 0, v17, vcc_lo
	s_delay_alu instid0(VALU_DEP_2) | instskip(NEXT) | instid1(VALU_DEP_2)
	v_add_co_u32 v14, vcc_lo, v15, v14
	v_add_co_ci_u32_e32 v14, vcc_lo, v16, v22, vcc_lo
	v_add_co_ci_u32_e32 v15, vcc_lo, 0, v23, vcc_lo
	v_add_co_u32 v16, vcc_lo, v6, v21
	v_add_co_ci_u32_e32 v17, vcc_lo, v7, v21, vcc_lo
	s_delay_alu instid0(VALU_DEP_4) | instskip(NEXT) | instid1(VALU_DEP_4)
	v_add_co_u32 v13, vcc_lo, v14, v13
	v_add_co_ci_u32_e32 v14, vcc_lo, 0, v15, vcc_lo
	s_delay_alu instid0(VALU_DEP_4) | instskip(NEXT) | instid1(VALU_DEP_3)
	v_xor_b32_e32 v22, v16, v21
	v_add_co_u32 v3, vcc_lo, v3, v13
	s_delay_alu instid0(VALU_DEP_3) | instskip(SKIP_1) | instid1(VALU_DEP_3)
	v_add_co_ci_u32_e32 v23, vcc_lo, v12, v14, vcc_lo
	v_xor_b32_e32 v24, v17, v21
	v_mul_hi_u32 v25, v22, v3
	s_delay_alu instid0(VALU_DEP_3) | instskip(NEXT) | instid1(VALU_DEP_3)
	v_mad_u64_u32 v[12:13], null, v22, v23, 0
	v_mad_u64_u32 v[14:15], null, v24, v3, 0
	;; [unrolled: 1-line block ×3, first 2 shown]
	s_delay_alu instid0(VALU_DEP_3) | instskip(NEXT) | instid1(VALU_DEP_4)
	v_add_co_u32 v3, vcc_lo, v25, v12
	v_add_co_ci_u32_e32 v12, vcc_lo, 0, v13, vcc_lo
	s_delay_alu instid0(VALU_DEP_2) | instskip(NEXT) | instid1(VALU_DEP_2)
	v_add_co_u32 v3, vcc_lo, v3, v14
	v_add_co_ci_u32_e32 v3, vcc_lo, v12, v15, vcc_lo
	v_add_co_ci_u32_e32 v12, vcc_lo, 0, v17, vcc_lo
	s_delay_alu instid0(VALU_DEP_2) | instskip(NEXT) | instid1(VALU_DEP_2)
	v_add_co_u32 v3, vcc_lo, v3, v16
	v_add_co_ci_u32_e32 v14, vcc_lo, 0, v12, vcc_lo
	s_delay_alu instid0(VALU_DEP_2) | instskip(SKIP_1) | instid1(VALU_DEP_3)
	v_mul_lo_u32 v15, s45, v3
	v_mad_u64_u32 v[12:13], null, s44, v3, 0
	v_mul_lo_u32 v16, s44, v14
	s_delay_alu instid0(VALU_DEP_2) | instskip(NEXT) | instid1(VALU_DEP_2)
	v_sub_co_u32 v12, vcc_lo, v22, v12
	v_add3_u32 v13, v13, v16, v15
	s_delay_alu instid0(VALU_DEP_1) | instskip(NEXT) | instid1(VALU_DEP_1)
	v_sub_nc_u32_e32 v15, v24, v13
	v_subrev_co_ci_u32_e64 v15, s0, s45, v15, vcc_lo
	v_add_co_u32 v16, s0, v3, 2
	s_delay_alu instid0(VALU_DEP_1) | instskip(SKIP_3) | instid1(VALU_DEP_3)
	v_add_co_ci_u32_e64 v17, s0, 0, v14, s0
	v_sub_co_u32 v22, s0, v12, s44
	v_sub_co_ci_u32_e32 v13, vcc_lo, v24, v13, vcc_lo
	v_subrev_co_ci_u32_e64 v15, s0, 0, v15, s0
	v_cmp_le_u32_e32 vcc_lo, s44, v22
	s_delay_alu instid0(VALU_DEP_3) | instskip(SKIP_1) | instid1(VALU_DEP_4)
	v_cmp_eq_u32_e64 s0, s45, v13
	v_cndmask_b32_e64 v22, 0, -1, vcc_lo
	v_cmp_le_u32_e32 vcc_lo, s45, v15
	v_cndmask_b32_e64 v23, 0, -1, vcc_lo
	v_cmp_le_u32_e32 vcc_lo, s44, v12
	;; [unrolled: 2-line block ×3, first 2 shown]
	v_cndmask_b32_e64 v24, 0, -1, vcc_lo
	v_cmp_eq_u32_e32 vcc_lo, s45, v15
	s_delay_alu instid0(VALU_DEP_2) | instskip(SKIP_3) | instid1(VALU_DEP_3)
	v_cndmask_b32_e64 v12, v24, v12, s0
	v_cndmask_b32_e32 v15, v23, v22, vcc_lo
	v_add_co_u32 v22, vcc_lo, v3, 1
	v_add_co_ci_u32_e32 v23, vcc_lo, 0, v14, vcc_lo
	v_cmp_ne_u32_e32 vcc_lo, 0, v15
	s_delay_alu instid0(VALU_DEP_2) | instskip(NEXT) | instid1(VALU_DEP_4)
	v_cndmask_b32_e32 v13, v23, v17, vcc_lo
	v_cndmask_b32_e32 v15, v22, v16, vcc_lo
	v_cmp_ne_u32_e32 vcc_lo, 0, v12
	v_xor_b32_e32 v12, s42, v21
	s_delay_alu instid0(VALU_DEP_3) | instskip(SKIP_1) | instid1(VALU_DEP_2)
	v_cndmask_b32_e32 v3, v3, v15, vcc_lo
	v_cndmask_b32_e32 v13, v14, v13, vcc_lo
	v_xor_b32_e32 v3, v3, v12
	s_delay_alu instid0(VALU_DEP_2) | instskip(NEXT) | instid1(VALU_DEP_2)
	v_xor_b32_e32 v13, v13, v12
	v_sub_co_u32 v14, vcc_lo, v3, v12
	s_delay_alu instid0(VALU_DEP_2)
	v_sub_co_ci_u32_e32 v15, vcc_lo, v13, v12, vcc_lo
.LBB15_24:                              ;   in Loop: Header=BB15_22 Depth=2
	s_and_not1_saveexec_b32 s0, s31
	s_cbranch_execz .LBB15_21
; %bb.25:                               ;   in Loop: Header=BB15_22 Depth=2
	v_cvt_f32_u32_e32 v3, s40
	s_sub_i32 s31, 0, s40
	v_mov_b32_e32 v15, v2
	s_delay_alu instid0(VALU_DEP_2) | instskip(SKIP_2) | instid1(VALU_DEP_1)
	v_rcp_iflag_f32_e32 v3, v3
	s_waitcnt_depctr 0xfff
	v_mul_f32_e32 v3, 0x4f7ffffe, v3
	v_cvt_u32_f32_e32 v3, v3
	s_delay_alu instid0(VALU_DEP_1) | instskip(NEXT) | instid1(VALU_DEP_1)
	v_mul_lo_u32 v12, s31, v3
	v_mul_hi_u32 v12, v3, v12
	s_delay_alu instid0(VALU_DEP_1) | instskip(NEXT) | instid1(VALU_DEP_1)
	v_add_nc_u32_e32 v3, v3, v12
	v_mul_hi_u32 v3, v6, v3
	s_delay_alu instid0(VALU_DEP_1) | instskip(SKIP_1) | instid1(VALU_DEP_2)
	v_mul_lo_u32 v12, v3, s40
	v_add_nc_u32_e32 v13, 1, v3
	v_sub_nc_u32_e32 v12, v6, v12
	s_delay_alu instid0(VALU_DEP_1) | instskip(SKIP_1) | instid1(VALU_DEP_2)
	v_subrev_nc_u32_e32 v14, s40, v12
	v_cmp_le_u32_e32 vcc_lo, s40, v12
	v_dual_cndmask_b32 v12, v12, v14 :: v_dual_cndmask_b32 v3, v3, v13
	s_delay_alu instid0(VALU_DEP_1) | instskip(NEXT) | instid1(VALU_DEP_2)
	v_cmp_le_u32_e32 vcc_lo, s40, v12
	v_add_nc_u32_e32 v13, 1, v3
	s_delay_alu instid0(VALU_DEP_1)
	v_cndmask_b32_e32 v14, v3, v13, vcc_lo
	s_branch .LBB15_21
.LBB15_26:
	s_nop 0
	s_sendmsg sendmsg(MSG_DEALLOC_VGPRS)
	s_endpgm
	.section	.rodata,"a",@progbits
	.p2align	6, 0x0
	.amdhsa_kernel _ZN2at6native16triu_tril_kernelIllLb0ELi2ELb0EEEvNS_4cuda6detail10TensorInfoIT_T0_EENS4_IKS5_S6_EEllS6_
		.amdhsa_group_segment_fixed_size 0
		.amdhsa_private_segment_fixed_size 0
		.amdhsa_kernarg_size 1112
		.amdhsa_user_sgpr_count 15
		.amdhsa_user_sgpr_dispatch_ptr 0
		.amdhsa_user_sgpr_queue_ptr 0
		.amdhsa_user_sgpr_kernarg_segment_ptr 1
		.amdhsa_user_sgpr_dispatch_id 0
		.amdhsa_user_sgpr_private_segment_size 0
		.amdhsa_wavefront_size32 1
		.amdhsa_uses_dynamic_stack 0
		.amdhsa_enable_private_segment 0
		.amdhsa_system_sgpr_workgroup_id_x 1
		.amdhsa_system_sgpr_workgroup_id_y 0
		.amdhsa_system_sgpr_workgroup_id_z 0
		.amdhsa_system_sgpr_workgroup_info 0
		.amdhsa_system_vgpr_workitem_id 0
		.amdhsa_next_free_vgpr 26
		.amdhsa_next_free_sgpr 47
		.amdhsa_reserve_vcc 1
		.amdhsa_float_round_mode_32 0
		.amdhsa_float_round_mode_16_64 0
		.amdhsa_float_denorm_mode_32 3
		.amdhsa_float_denorm_mode_16_64 3
		.amdhsa_dx10_clamp 1
		.amdhsa_ieee_mode 1
		.amdhsa_fp16_overflow 0
		.amdhsa_workgroup_processor_mode 1
		.amdhsa_memory_ordered 1
		.amdhsa_forward_progress 0
		.amdhsa_shared_vgpr_count 0
		.amdhsa_exception_fp_ieee_invalid_op 0
		.amdhsa_exception_fp_denorm_src 0
		.amdhsa_exception_fp_ieee_div_zero 0
		.amdhsa_exception_fp_ieee_overflow 0
		.amdhsa_exception_fp_ieee_underflow 0
		.amdhsa_exception_fp_ieee_inexact 0
		.amdhsa_exception_int_div_zero 0
	.end_amdhsa_kernel
	.section	.text._ZN2at6native16triu_tril_kernelIllLb0ELi2ELb0EEEvNS_4cuda6detail10TensorInfoIT_T0_EENS4_IKS5_S6_EEllS6_,"axG",@progbits,_ZN2at6native16triu_tril_kernelIllLb0ELi2ELb0EEEvNS_4cuda6detail10TensorInfoIT_T0_EENS4_IKS5_S6_EEllS6_,comdat
.Lfunc_end15:
	.size	_ZN2at6native16triu_tril_kernelIllLb0ELi2ELb0EEEvNS_4cuda6detail10TensorInfoIT_T0_EENS4_IKS5_S6_EEllS6_, .Lfunc_end15-_ZN2at6native16triu_tril_kernelIllLb0ELi2ELb0EEEvNS_4cuda6detail10TensorInfoIT_T0_EENS4_IKS5_S6_EEllS6_
                                        ; -- End function
	.section	.AMDGPU.csdata,"",@progbits
; Kernel info:
; codeLenInByte = 4180
; NumSgprs: 49
; NumVgprs: 26
; ScratchSize: 0
; MemoryBound: 0
; FloatMode: 240
; IeeeMode: 1
; LDSByteSize: 0 bytes/workgroup (compile time only)
; SGPRBlocks: 6
; VGPRBlocks: 3
; NumSGPRsForWavesPerEU: 49
; NumVGPRsForWavesPerEU: 26
; Occupancy: 16
; WaveLimiterHint : 0
; COMPUTE_PGM_RSRC2:SCRATCH_EN: 0
; COMPUTE_PGM_RSRC2:USER_SGPR: 15
; COMPUTE_PGM_RSRC2:TRAP_HANDLER: 0
; COMPUTE_PGM_RSRC2:TGID_X_EN: 1
; COMPUTE_PGM_RSRC2:TGID_Y_EN: 0
; COMPUTE_PGM_RSRC2:TGID_Z_EN: 0
; COMPUTE_PGM_RSRC2:TIDIG_COMP_CNT: 0
	.section	.text._ZN2at6native16triu_tril_kernelIsiLb0ELi4ELb1EEEvNS_4cuda6detail10TensorInfoIT_T0_EENS4_IKS5_S6_EEllS6_,"axG",@progbits,_ZN2at6native16triu_tril_kernelIsiLb0ELi4ELb1EEEvNS_4cuda6detail10TensorInfoIT_T0_EENS4_IKS5_S6_EEllS6_,comdat
	.protected	_ZN2at6native16triu_tril_kernelIsiLb0ELi4ELb1EEEvNS_4cuda6detail10TensorInfoIT_T0_EENS4_IKS5_S6_EEllS6_ ; -- Begin function _ZN2at6native16triu_tril_kernelIsiLb0ELi4ELb1EEEvNS_4cuda6detail10TensorInfoIT_T0_EENS4_IKS5_S6_EEllS6_
	.globl	_ZN2at6native16triu_tril_kernelIsiLb0ELi4ELb1EEEvNS_4cuda6detail10TensorInfoIT_T0_EENS4_IKS5_S6_EEllS6_
	.p2align	8
	.type	_ZN2at6native16triu_tril_kernelIsiLb0ELi4ELb1EEEvNS_4cuda6detail10TensorInfoIT_T0_EENS4_IKS5_S6_EEllS6_,@function
_ZN2at6native16triu_tril_kernelIsiLb0ELi4ELb1EEEvNS_4cuda6detail10TensorInfoIT_T0_EENS4_IKS5_S6_EEllS6_: ; @_ZN2at6native16triu_tril_kernelIsiLb0ELi4ELb1EEEvNS_4cuda6detail10TensorInfoIT_T0_EENS4_IKS5_S6_EEllS6_
; %bb.0:
	s_clause 0x1
	s_load_b32 s2, s[0:1], 0x1d4
	s_load_b128 s[4:7], s[0:1], 0x1b0
	v_mov_b32_e32 v2, 0
	s_add_u32 s8, s0, 0x1c8
	s_addc_u32 s9, s1, 0
	s_delay_alu instid0(VALU_DEP_1) | instskip(SKIP_3) | instid1(VALU_DEP_1)
	v_mov_b32_e32 v1, v2
	s_waitcnt lgkmcnt(0)
	s_and_b32 s14, s2, 0xffff
	s_mov_b32 s2, exec_lo
	v_mad_u64_u32 v[3:4], null, s14, s15, v[0:1]
	s_delay_alu instid0(VALU_DEP_1) | instskip(NEXT) | instid1(VALU_DEP_1)
	v_lshlrev_b64 v[0:1], 2, v[3:4]
	v_cmpx_gt_i64_e64 s[6:7], v[0:1]
	s_cbranch_execz .LBB16_70
; %bb.1:
	s_clause 0x2
	s_load_b32 s24, s[0:1], 0x1c0
	s_load_b32 s16, s[0:1], 0x1a8
	s_load_b64 s[2:3], s[0:1], 0x0
	s_load_b32 s19, s[8:9], 0x0
	s_mov_b32 s38, 0
	s_waitcnt lgkmcnt(0)
	s_ashr_i32 s25, s24, 31
	s_ashr_i32 s17, s16, 31
	s_add_u32 s26, s0, 0xe0
	s_addc_u32 s27, s1, 0
	s_lshl_b64 s[10:11], s[16:17], 2
	v_cvt_f32_u32_e32 v3, s24
	s_add_u32 s15, s10, -8
	s_addc_u32 s18, s11, -1
	s_add_u32 s12, s26, s15
	s_addc_u32 s13, s27, s18
	v_rcp_iflag_f32_e32 v3, v3
	s_load_b32 s28, s[12:13], 0x0
	s_mul_i32 s19, s19, s14
	v_cmp_gt_i64_e64 s37, s[16:17], 2
	s_waitcnt_depctr 0xfff
	v_mul_f32_e32 v3, 0x4f7ffffe, v3
	s_delay_alu instid0(VALU_DEP_1)
	v_cvt_u32_f32_e32 v3, v3
	s_waitcnt lgkmcnt(0)
	s_ashr_i32 s29, s28, 31
	s_add_u32 s12, s10, -4
	s_addc_u32 s13, s11, -1
	s_add_u32 s30, s0, 0x6c
	s_addc_u32 s1, s1, 0
	s_add_u32 s8, s30, s12
	s_addc_u32 s9, s1, s13
	;; [unrolled: 2-line block ×3, first 2 shown]
	s_add_i32 s31, s16, -3
	s_add_u32 s12, s26, s12
	s_addc_u32 s13, s27, s13
	s_add_i32 s0, s16, 6
	s_lshl_b32 s34, s19, 2
	s_and_b32 s33, s0, 7
	s_mov_b32 s15, 0
	s_cmp_lg_u32 s33, 0
	s_cselect_b32 s35, -1, 0
	s_cmp_gt_u32 s31, 6
	s_cselect_b32 s36, -1, 0
	s_sub_i32 s0, 0, s24
	s_delay_alu instid0(SALU_CYCLE_1) | instskip(NEXT) | instid1(VALU_DEP_1)
	v_mul_lo_u32 v4, s0, v3
	v_mul_hi_u32 v4, v3, v4
	s_delay_alu instid0(VALU_DEP_1)
	v_add_nc_u32_e32 v25, v3, v4
	s_branch .LBB16_3
.LBB16_2:                               ;   in Loop: Header=BB16_3 Depth=1
	s_or_b32 exec_lo, exec_lo, s39
	v_add_co_u32 v0, vcc_lo, v0, s34
	v_add_co_ci_u32_e32 v1, vcc_lo, 0, v1, vcc_lo
	s_delay_alu instid0(VALU_DEP_1) | instskip(SKIP_1) | instid1(SALU_CYCLE_1)
	v_cmp_le_i64_e32 vcc_lo, s[6:7], v[0:1]
	s_or_b32 s38, vcc_lo, s38
	s_and_not1_b32 exec_lo, exec_lo, s38
	s_cbranch_execz .LBB16_70
.LBB16_3:                               ; =>This Loop Header: Depth=1
                                        ;     Child Loop BB16_15 Depth 2
                                        ;     Child Loop BB16_24 Depth 2
	v_or_b32_e32 v3, s25, v1
                                        ; implicit-def: $vgpr4_vgpr5
	s_mov_b32 s0, exec_lo
	s_delay_alu instid0(VALU_DEP_1)
	v_cmpx_ne_u64_e32 0, v[2:3]
	s_xor_b32 s14, exec_lo, s0
	s_cbranch_execz .LBB16_5
; %bb.4:                                ;   in Loop: Header=BB16_3 Depth=1
	s_add_u32 s18, s24, s25
	s_mov_b32 s16, s25
	s_mov_b32 s17, s25
	s_addc_u32 s19, s25, s25
	s_delay_alu instid0(SALU_CYCLE_1) | instskip(NEXT) | instid1(SALU_CYCLE_1)
	s_xor_b64 s[18:19], s[18:19], s[16:17]
	v_cvt_f32_u32_e32 v3, s18
	v_cvt_f32_u32_e32 v4, s19
	s_sub_u32 s0, 0, s18
	s_subb_u32 s20, 0, s19
	s_delay_alu instid0(VALU_DEP_1) | instskip(NEXT) | instid1(VALU_DEP_1)
	v_fmac_f32_e32 v3, 0x4f800000, v4
	v_rcp_f32_e32 v3, v3
	s_waitcnt_depctr 0xfff
	v_mul_f32_e32 v3, 0x5f7ffffc, v3
	s_delay_alu instid0(VALU_DEP_1) | instskip(NEXT) | instid1(VALU_DEP_1)
	v_mul_f32_e32 v4, 0x2f800000, v3
	v_trunc_f32_e32 v4, v4
	s_delay_alu instid0(VALU_DEP_1) | instskip(SKIP_1) | instid1(VALU_DEP_2)
	v_fmac_f32_e32 v3, 0xcf800000, v4
	v_cvt_u32_f32_e32 v4, v4
	v_cvt_u32_f32_e32 v3, v3
	s_delay_alu instid0(VALU_DEP_2) | instskip(NEXT) | instid1(VALU_DEP_2)
	v_mul_lo_u32 v5, s0, v4
	v_mul_hi_u32 v6, s0, v3
	v_mul_lo_u32 v7, s20, v3
	s_delay_alu instid0(VALU_DEP_2) | instskip(SKIP_1) | instid1(VALU_DEP_2)
	v_add_nc_u32_e32 v5, v6, v5
	v_mul_lo_u32 v6, s0, v3
	v_add_nc_u32_e32 v5, v5, v7
	s_delay_alu instid0(VALU_DEP_2) | instskip(NEXT) | instid1(VALU_DEP_2)
	v_mul_hi_u32 v7, v3, v6
	v_mul_lo_u32 v8, v3, v5
	v_mul_hi_u32 v9, v3, v5
	v_mul_hi_u32 v10, v4, v6
	v_mul_lo_u32 v6, v4, v6
	v_mul_hi_u32 v11, v4, v5
	v_mul_lo_u32 v5, v4, v5
	v_add_co_u32 v7, vcc_lo, v7, v8
	v_add_co_ci_u32_e32 v8, vcc_lo, 0, v9, vcc_lo
	s_delay_alu instid0(VALU_DEP_2) | instskip(NEXT) | instid1(VALU_DEP_2)
	v_add_co_u32 v6, vcc_lo, v7, v6
	v_add_co_ci_u32_e32 v6, vcc_lo, v8, v10, vcc_lo
	v_add_co_ci_u32_e32 v7, vcc_lo, 0, v11, vcc_lo
	v_ashrrev_i32_e32 v10, 31, v1
	s_delay_alu instid0(VALU_DEP_3) | instskip(NEXT) | instid1(VALU_DEP_3)
	v_add_co_u32 v5, vcc_lo, v6, v5
	v_add_co_ci_u32_e32 v6, vcc_lo, 0, v7, vcc_lo
	s_delay_alu instid0(VALU_DEP_2) | instskip(NEXT) | instid1(VALU_DEP_2)
	v_add_co_u32 v3, vcc_lo, v3, v5
	v_add_co_ci_u32_e32 v4, vcc_lo, v4, v6, vcc_lo
	s_delay_alu instid0(VALU_DEP_2) | instskip(SKIP_1) | instid1(VALU_DEP_3)
	v_mul_hi_u32 v5, s0, v3
	v_mul_lo_u32 v7, s20, v3
	v_mul_lo_u32 v6, s0, v4
	s_delay_alu instid0(VALU_DEP_1) | instskip(SKIP_1) | instid1(VALU_DEP_2)
	v_add_nc_u32_e32 v5, v5, v6
	v_mul_lo_u32 v6, s0, v3
	v_add_nc_u32_e32 v5, v5, v7
	s_delay_alu instid0(VALU_DEP_2) | instskip(NEXT) | instid1(VALU_DEP_2)
	v_mul_hi_u32 v7, v3, v6
	v_mul_lo_u32 v8, v3, v5
	v_mul_hi_u32 v9, v3, v5
	v_mul_hi_u32 v11, v4, v6
	v_mul_lo_u32 v6, v4, v6
	v_mul_hi_u32 v12, v4, v5
	v_mul_lo_u32 v5, v4, v5
	v_add_co_u32 v7, vcc_lo, v7, v8
	v_add_co_ci_u32_e32 v8, vcc_lo, 0, v9, vcc_lo
	s_delay_alu instid0(VALU_DEP_2) | instskip(NEXT) | instid1(VALU_DEP_2)
	v_add_co_u32 v6, vcc_lo, v7, v6
	v_add_co_ci_u32_e32 v6, vcc_lo, v8, v11, vcc_lo
	v_add_co_ci_u32_e32 v7, vcc_lo, 0, v12, vcc_lo
	v_add_co_u32 v8, vcc_lo, v0, v10
	v_add_co_ci_u32_e32 v9, vcc_lo, v1, v10, vcc_lo
	s_delay_alu instid0(VALU_DEP_4) | instskip(NEXT) | instid1(VALU_DEP_4)
	v_add_co_u32 v5, vcc_lo, v6, v5
	v_add_co_ci_u32_e32 v6, vcc_lo, 0, v7, vcc_lo
	s_delay_alu instid0(VALU_DEP_4) | instskip(NEXT) | instid1(VALU_DEP_3)
	v_xor_b32_e32 v11, v8, v10
	v_add_co_u32 v7, vcc_lo, v3, v5
	s_delay_alu instid0(VALU_DEP_3) | instskip(SKIP_1) | instid1(VALU_DEP_3)
	v_add_co_ci_u32_e32 v12, vcc_lo, v4, v6, vcc_lo
	v_xor_b32_e32 v9, v9, v10
	v_mul_hi_u32 v13, v11, v7
	s_delay_alu instid0(VALU_DEP_3) | instskip(NEXT) | instid1(VALU_DEP_3)
	v_mad_u64_u32 v[3:4], null, v11, v12, 0
	v_mad_u64_u32 v[5:6], null, v9, v7, 0
	;; [unrolled: 1-line block ×3, first 2 shown]
	s_delay_alu instid0(VALU_DEP_3) | instskip(NEXT) | instid1(VALU_DEP_4)
	v_add_co_u32 v3, vcc_lo, v13, v3
	v_add_co_ci_u32_e32 v4, vcc_lo, 0, v4, vcc_lo
	s_delay_alu instid0(VALU_DEP_2) | instskip(NEXT) | instid1(VALU_DEP_2)
	v_add_co_u32 v3, vcc_lo, v3, v5
	v_add_co_ci_u32_e32 v3, vcc_lo, v4, v6, vcc_lo
	v_add_co_ci_u32_e32 v4, vcc_lo, 0, v8, vcc_lo
	s_delay_alu instid0(VALU_DEP_2) | instskip(NEXT) | instid1(VALU_DEP_2)
	v_add_co_u32 v5, vcc_lo, v3, v7
	v_add_co_ci_u32_e32 v6, vcc_lo, 0, v4, vcc_lo
	s_delay_alu instid0(VALU_DEP_2) | instskip(SKIP_1) | instid1(VALU_DEP_3)
	v_mul_lo_u32 v7, s19, v5
	v_mad_u64_u32 v[3:4], null, s18, v5, 0
	v_mul_lo_u32 v8, s18, v6
	s_delay_alu instid0(VALU_DEP_2) | instskip(NEXT) | instid1(VALU_DEP_2)
	v_sub_co_u32 v3, vcc_lo, v11, v3
	v_add3_u32 v4, v4, v8, v7
	s_delay_alu instid0(VALU_DEP_1) | instskip(NEXT) | instid1(VALU_DEP_1)
	v_sub_nc_u32_e32 v7, v9, v4
	v_subrev_co_ci_u32_e64 v7, s0, s19, v7, vcc_lo
	v_add_co_u32 v8, s0, v5, 2
	s_delay_alu instid0(VALU_DEP_1) | instskip(SKIP_3) | instid1(VALU_DEP_3)
	v_add_co_ci_u32_e64 v11, s0, 0, v6, s0
	v_sub_co_u32 v12, s0, v3, s18
	v_sub_co_ci_u32_e32 v4, vcc_lo, v9, v4, vcc_lo
	v_subrev_co_ci_u32_e64 v7, s0, 0, v7, s0
	v_cmp_le_u32_e32 vcc_lo, s18, v12
	s_delay_alu instid0(VALU_DEP_3) | instskip(SKIP_1) | instid1(VALU_DEP_4)
	v_cmp_eq_u32_e64 s0, s19, v4
	v_cndmask_b32_e64 v9, 0, -1, vcc_lo
	v_cmp_le_u32_e32 vcc_lo, s19, v7
	v_cndmask_b32_e64 v12, 0, -1, vcc_lo
	v_cmp_le_u32_e32 vcc_lo, s18, v3
	;; [unrolled: 2-line block ×3, first 2 shown]
	v_cndmask_b32_e64 v13, 0, -1, vcc_lo
	v_cmp_eq_u32_e32 vcc_lo, s19, v7
	s_delay_alu instid0(VALU_DEP_2) | instskip(SKIP_3) | instid1(VALU_DEP_3)
	v_cndmask_b32_e64 v3, v13, v3, s0
	v_cndmask_b32_e32 v7, v12, v9, vcc_lo
	v_add_co_u32 v9, vcc_lo, v5, 1
	v_add_co_ci_u32_e32 v12, vcc_lo, 0, v6, vcc_lo
	v_cmp_ne_u32_e32 vcc_lo, 0, v7
	s_delay_alu instid0(VALU_DEP_2) | instskip(SKIP_2) | instid1(VALU_DEP_3)
	v_dual_cndmask_b32 v4, v12, v11 :: v_dual_cndmask_b32 v7, v9, v8
	v_cmp_ne_u32_e32 vcc_lo, 0, v3
	v_xor_b32_e32 v3, s16, v10
	v_dual_cndmask_b32 v5, v5, v7 :: v_dual_cndmask_b32 v4, v6, v4
	v_xor_b32_e32 v6, s17, v10
	s_delay_alu instid0(VALU_DEP_2) | instskip(NEXT) | instid1(VALU_DEP_2)
	v_xor_b32_e32 v5, v5, v3
	v_xor_b32_e32 v7, v4, v6
	s_delay_alu instid0(VALU_DEP_2) | instskip(NEXT) | instid1(VALU_DEP_2)
	v_sub_co_u32 v4, vcc_lo, v5, v3
	v_sub_co_ci_u32_e32 v5, vcc_lo, v7, v6, vcc_lo
.LBB16_5:                               ;   in Loop: Header=BB16_3 Depth=1
	s_and_not1_saveexec_b32 s0, s14
; %bb.6:                                ;   in Loop: Header=BB16_3 Depth=1
	v_mul_hi_u32 v3, v0, v25
	s_delay_alu instid0(VALU_DEP_1) | instskip(NEXT) | instid1(VALU_DEP_1)
	v_mul_lo_u32 v4, v3, s24
	v_sub_nc_u32_e32 v4, v0, v4
	s_delay_alu instid0(VALU_DEP_1) | instskip(SKIP_1) | instid1(VALU_DEP_2)
	v_subrev_nc_u32_e32 v6, s24, v4
	v_cmp_le_u32_e32 vcc_lo, s24, v4
	v_dual_cndmask_b32 v4, v4, v6 :: v_dual_add_nc_u32 v5, 1, v3
	s_delay_alu instid0(VALU_DEP_1) | instskip(NEXT) | instid1(VALU_DEP_2)
	v_cndmask_b32_e32 v3, v3, v5, vcc_lo
	v_cmp_le_u32_e32 vcc_lo, s24, v4
	s_delay_alu instid0(VALU_DEP_2) | instskip(NEXT) | instid1(VALU_DEP_1)
	v_add_nc_u32_e32 v5, 1, v3
	v_dual_cndmask_b32 v4, v3, v5 :: v_dual_mov_b32 v5, v2
; %bb.7:                                ;   in Loop: Header=BB16_3 Depth=1
	s_or_b32 exec_lo, exec_lo, s0
	s_delay_alu instid0(VALU_DEP_1) | instskip(SKIP_1) | instid1(VALU_DEP_1)
	v_or_b32_e32 v3, s29, v5
                                        ; implicit-def: $vgpr7_vgpr8
	s_mov_b32 s0, exec_lo
	v_cmpx_ne_u64_e32 0, v[2:3]
	s_xor_b32 s14, exec_lo, s0
	s_cbranch_execz .LBB16_9
; %bb.8:                                ;   in Loop: Header=BB16_3 Depth=1
	s_add_u32 s18, s28, s29
	s_mov_b32 s16, s29
	s_mov_b32 s17, s29
	s_addc_u32 s19, s29, s29
	s_delay_alu instid0(SALU_CYCLE_1) | instskip(NEXT) | instid1(SALU_CYCLE_1)
	s_xor_b64 s[18:19], s[18:19], s[16:17]
	v_cvt_f32_u32_e32 v3, s18
	v_cvt_f32_u32_e32 v6, s19
	s_sub_u32 s0, 0, s18
	s_subb_u32 s20, 0, s19
	s_delay_alu instid0(VALU_DEP_1) | instskip(NEXT) | instid1(VALU_DEP_1)
	v_fmac_f32_e32 v3, 0x4f800000, v6
	v_rcp_f32_e32 v3, v3
	s_waitcnt_depctr 0xfff
	v_mul_f32_e32 v3, 0x5f7ffffc, v3
	s_delay_alu instid0(VALU_DEP_1) | instskip(NEXT) | instid1(VALU_DEP_1)
	v_mul_f32_e32 v6, 0x2f800000, v3
	v_trunc_f32_e32 v6, v6
	s_delay_alu instid0(VALU_DEP_1) | instskip(SKIP_1) | instid1(VALU_DEP_2)
	v_fmac_f32_e32 v3, 0xcf800000, v6
	v_cvt_u32_f32_e32 v6, v6
	v_cvt_u32_f32_e32 v3, v3
	s_delay_alu instid0(VALU_DEP_2) | instskip(NEXT) | instid1(VALU_DEP_2)
	v_mul_lo_u32 v7, s0, v6
	v_mul_hi_u32 v8, s0, v3
	v_mul_lo_u32 v9, s20, v3
	s_delay_alu instid0(VALU_DEP_2) | instskip(SKIP_1) | instid1(VALU_DEP_2)
	v_add_nc_u32_e32 v7, v8, v7
	v_mul_lo_u32 v8, s0, v3
	v_add_nc_u32_e32 v7, v7, v9
	s_delay_alu instid0(VALU_DEP_2) | instskip(NEXT) | instid1(VALU_DEP_2)
	v_mul_hi_u32 v9, v3, v8
	v_mul_lo_u32 v10, v3, v7
	v_mul_hi_u32 v11, v3, v7
	v_mul_hi_u32 v12, v6, v8
	v_mul_lo_u32 v8, v6, v8
	v_mul_hi_u32 v13, v6, v7
	v_mul_lo_u32 v7, v6, v7
	v_add_co_u32 v9, vcc_lo, v9, v10
	v_add_co_ci_u32_e32 v10, vcc_lo, 0, v11, vcc_lo
	s_delay_alu instid0(VALU_DEP_2) | instskip(NEXT) | instid1(VALU_DEP_2)
	v_add_co_u32 v8, vcc_lo, v9, v8
	v_add_co_ci_u32_e32 v8, vcc_lo, v10, v12, vcc_lo
	v_add_co_ci_u32_e32 v9, vcc_lo, 0, v13, vcc_lo
	v_ashrrev_i32_e32 v12, 31, v5
	s_delay_alu instid0(VALU_DEP_3) | instskip(NEXT) | instid1(VALU_DEP_3)
	v_add_co_u32 v7, vcc_lo, v8, v7
	v_add_co_ci_u32_e32 v8, vcc_lo, 0, v9, vcc_lo
	s_delay_alu instid0(VALU_DEP_2) | instskip(NEXT) | instid1(VALU_DEP_2)
	v_add_co_u32 v3, vcc_lo, v3, v7
	v_add_co_ci_u32_e32 v6, vcc_lo, v6, v8, vcc_lo
	s_delay_alu instid0(VALU_DEP_2) | instskip(SKIP_1) | instid1(VALU_DEP_3)
	v_mul_hi_u32 v7, s0, v3
	v_mul_lo_u32 v9, s20, v3
	v_mul_lo_u32 v8, s0, v6
	s_delay_alu instid0(VALU_DEP_1) | instskip(SKIP_1) | instid1(VALU_DEP_2)
	v_add_nc_u32_e32 v7, v7, v8
	v_mul_lo_u32 v8, s0, v3
	v_add_nc_u32_e32 v7, v7, v9
	s_delay_alu instid0(VALU_DEP_2) | instskip(NEXT) | instid1(VALU_DEP_2)
	v_mul_hi_u32 v9, v3, v8
	v_mul_lo_u32 v10, v3, v7
	v_mul_hi_u32 v11, v3, v7
	v_mul_hi_u32 v13, v6, v8
	v_mul_lo_u32 v8, v6, v8
	v_mul_hi_u32 v14, v6, v7
	v_mul_lo_u32 v7, v6, v7
	v_add_co_u32 v9, vcc_lo, v9, v10
	v_add_co_ci_u32_e32 v10, vcc_lo, 0, v11, vcc_lo
	s_delay_alu instid0(VALU_DEP_2) | instskip(NEXT) | instid1(VALU_DEP_2)
	v_add_co_u32 v8, vcc_lo, v9, v8
	v_add_co_ci_u32_e32 v8, vcc_lo, v10, v13, vcc_lo
	v_add_co_ci_u32_e32 v9, vcc_lo, 0, v14, vcc_lo
	v_add_co_u32 v10, vcc_lo, v4, v12
	v_add_co_ci_u32_e32 v5, vcc_lo, v5, v12, vcc_lo
	s_delay_alu instid0(VALU_DEP_4) | instskip(NEXT) | instid1(VALU_DEP_4)
	v_add_co_u32 v7, vcc_lo, v8, v7
	v_add_co_ci_u32_e32 v8, vcc_lo, 0, v9, vcc_lo
	s_delay_alu instid0(VALU_DEP_4) | instskip(NEXT) | instid1(VALU_DEP_3)
	v_xor_b32_e32 v11, v10, v12
	v_add_co_u32 v3, vcc_lo, v3, v7
	s_delay_alu instid0(VALU_DEP_3) | instskip(SKIP_1) | instid1(VALU_DEP_3)
	v_add_co_ci_u32_e32 v13, vcc_lo, v6, v8, vcc_lo
	v_xor_b32_e32 v14, v5, v12
	v_mul_hi_u32 v15, v11, v3
	s_delay_alu instid0(VALU_DEP_3) | instskip(NEXT) | instid1(VALU_DEP_3)
	v_mad_u64_u32 v[5:6], null, v11, v13, 0
	v_mad_u64_u32 v[7:8], null, v14, v3, 0
	;; [unrolled: 1-line block ×3, first 2 shown]
	s_delay_alu instid0(VALU_DEP_3) | instskip(NEXT) | instid1(VALU_DEP_4)
	v_add_co_u32 v3, vcc_lo, v15, v5
	v_add_co_ci_u32_e32 v5, vcc_lo, 0, v6, vcc_lo
	s_delay_alu instid0(VALU_DEP_2) | instskip(NEXT) | instid1(VALU_DEP_2)
	v_add_co_u32 v3, vcc_lo, v3, v7
	v_add_co_ci_u32_e32 v3, vcc_lo, v5, v8, vcc_lo
	v_add_co_ci_u32_e32 v5, vcc_lo, 0, v10, vcc_lo
	s_delay_alu instid0(VALU_DEP_2) | instskip(NEXT) | instid1(VALU_DEP_2)
	v_add_co_u32 v3, vcc_lo, v3, v9
	v_add_co_ci_u32_e32 v7, vcc_lo, 0, v5, vcc_lo
	s_delay_alu instid0(VALU_DEP_2) | instskip(SKIP_1) | instid1(VALU_DEP_3)
	v_mul_lo_u32 v8, s19, v3
	v_mad_u64_u32 v[5:6], null, s18, v3, 0
	v_mul_lo_u32 v9, s18, v7
	s_delay_alu instid0(VALU_DEP_2) | instskip(NEXT) | instid1(VALU_DEP_2)
	v_sub_co_u32 v5, vcc_lo, v11, v5
	v_add3_u32 v6, v6, v9, v8
	s_delay_alu instid0(VALU_DEP_1) | instskip(NEXT) | instid1(VALU_DEP_1)
	v_sub_nc_u32_e32 v8, v14, v6
	v_subrev_co_ci_u32_e64 v8, s0, s19, v8, vcc_lo
	v_add_co_u32 v9, s0, v3, 2
	s_delay_alu instid0(VALU_DEP_1) | instskip(SKIP_3) | instid1(VALU_DEP_3)
	v_add_co_ci_u32_e64 v10, s0, 0, v7, s0
	v_sub_co_u32 v11, s0, v5, s18
	v_sub_co_ci_u32_e32 v6, vcc_lo, v14, v6, vcc_lo
	v_subrev_co_ci_u32_e64 v8, s0, 0, v8, s0
	v_cmp_le_u32_e32 vcc_lo, s18, v11
	s_delay_alu instid0(VALU_DEP_3) | instskip(SKIP_1) | instid1(VALU_DEP_4)
	v_cmp_eq_u32_e64 s0, s19, v6
	v_cndmask_b32_e64 v11, 0, -1, vcc_lo
	v_cmp_le_u32_e32 vcc_lo, s19, v8
	v_cndmask_b32_e64 v13, 0, -1, vcc_lo
	v_cmp_le_u32_e32 vcc_lo, s18, v5
	;; [unrolled: 2-line block ×3, first 2 shown]
	v_cndmask_b32_e64 v14, 0, -1, vcc_lo
	v_cmp_eq_u32_e32 vcc_lo, s19, v8
	s_delay_alu instid0(VALU_DEP_2) | instskip(SKIP_3) | instid1(VALU_DEP_3)
	v_cndmask_b32_e64 v5, v14, v5, s0
	v_cndmask_b32_e32 v8, v13, v11, vcc_lo
	v_add_co_u32 v11, vcc_lo, v3, 1
	v_add_co_ci_u32_e32 v13, vcc_lo, 0, v7, vcc_lo
	v_cmp_ne_u32_e32 vcc_lo, 0, v8
	s_delay_alu instid0(VALU_DEP_3) | instskip(NEXT) | instid1(VALU_DEP_3)
	v_cndmask_b32_e32 v8, v11, v9, vcc_lo
	v_cndmask_b32_e32 v6, v13, v10, vcc_lo
	v_cmp_ne_u32_e32 vcc_lo, 0, v5
	v_xor_b32_e32 v5, s16, v12
	s_delay_alu instid0(VALU_DEP_4) | instskip(NEXT) | instid1(VALU_DEP_4)
	v_cndmask_b32_e32 v3, v3, v8, vcc_lo
	v_cndmask_b32_e32 v6, v7, v6, vcc_lo
	v_xor_b32_e32 v8, s17, v12
	s_delay_alu instid0(VALU_DEP_3) | instskip(NEXT) | instid1(VALU_DEP_2)
	v_xor_b32_e32 v3, v3, v5
	v_xor_b32_e32 v6, v6, v8
	s_delay_alu instid0(VALU_DEP_2) | instskip(NEXT) | instid1(VALU_DEP_2)
	v_sub_co_u32 v7, vcc_lo, v3, v5
	v_sub_co_ci_u32_e32 v8, vcc_lo, v6, v8, vcc_lo
.LBB16_9:                               ;   in Loop: Header=BB16_3 Depth=1
	s_and_not1_saveexec_b32 s0, s14
	s_cbranch_execz .LBB16_11
; %bb.10:                               ;   in Loop: Header=BB16_3 Depth=1
	v_cvt_f32_u32_e32 v3, s28
	s_sub_i32 s14, 0, s28
	v_mov_b32_e32 v8, v2
	s_delay_alu instid0(VALU_DEP_2) | instskip(SKIP_2) | instid1(VALU_DEP_1)
	v_rcp_iflag_f32_e32 v3, v3
	s_waitcnt_depctr 0xfff
	v_mul_f32_e32 v3, 0x4f7ffffe, v3
	v_cvt_u32_f32_e32 v3, v3
	s_delay_alu instid0(VALU_DEP_1) | instskip(NEXT) | instid1(VALU_DEP_1)
	v_mul_lo_u32 v5, s14, v3
	v_mul_hi_u32 v5, v3, v5
	s_delay_alu instid0(VALU_DEP_1) | instskip(NEXT) | instid1(VALU_DEP_1)
	v_add_nc_u32_e32 v3, v3, v5
	v_mul_hi_u32 v3, v4, v3
	s_delay_alu instid0(VALU_DEP_1) | instskip(SKIP_1) | instid1(VALU_DEP_2)
	v_mul_lo_u32 v5, v3, s28
	v_add_nc_u32_e32 v6, 1, v3
	v_sub_nc_u32_e32 v5, v4, v5
	s_delay_alu instid0(VALU_DEP_1) | instskip(SKIP_1) | instid1(VALU_DEP_2)
	v_subrev_nc_u32_e32 v7, s28, v5
	v_cmp_le_u32_e32 vcc_lo, s28, v5
	v_cndmask_b32_e32 v5, v5, v7, vcc_lo
	v_cndmask_b32_e32 v3, v3, v6, vcc_lo
	s_delay_alu instid0(VALU_DEP_2) | instskip(NEXT) | instid1(VALU_DEP_2)
	v_cmp_le_u32_e32 vcc_lo, s28, v5
	v_add_nc_u32_e32 v6, 1, v3
	s_delay_alu instid0(VALU_DEP_1)
	v_cndmask_b32_e32 v7, v3, v6, vcc_lo
.LBB16_11:                              ;   in Loop: Header=BB16_3 Depth=1
	s_or_b32 exec_lo, exec_lo, s0
	v_mad_u64_u32 v[5:6], null, v4, s24, 0
	s_delay_alu instid0(VALU_DEP_2) | instskip(SKIP_1) | instid1(VALU_DEP_2)
	v_mad_u64_u32 v[9:10], null, v7, s28, 0
	s_mov_b32 s39, exec_lo
	v_sub_co_u32 v27, null, v0, v5
	s_delay_alu instid0(VALU_DEP_2) | instskip(NEXT) | instid1(VALU_DEP_1)
	v_sub_co_u32 v26, null, v4, v9
	v_sub_nc_u32_e32 v6, v27, v26
	s_delay_alu instid0(VALU_DEP_1) | instskip(NEXT) | instid1(VALU_DEP_1)
	v_add_nc_u32_e32 v3, 4, v6
	v_ashrrev_i32_e32 v4, 31, v3
	s_delay_alu instid0(VALU_DEP_1)
	v_cmpx_lt_i64_e64 s[4:5], v[3:4]
	s_cbranch_execz .LBB16_2
; %bb.12:                               ;   in Loop: Header=BB16_3 Depth=1
	s_clause 0x1
	s_load_b32 s40, s[8:9], 0x0
	s_load_b32 s0, s[10:11], 0x0
	s_and_not1_b32 vcc_lo, exec_lo, s37
	s_waitcnt lgkmcnt(0)
	v_mul_lo_u32 v3, s40, v27
	s_delay_alu instid0(VALU_DEP_1)
	v_mad_u64_u32 v[4:5], null, s0, v26, v[3:4]
	s_cbranch_vccnz .LBB16_58
; %bb.13:                               ;   in Loop: Header=BB16_3 Depth=1
	s_and_not1_b32 vcc_lo, exec_lo, s35
	s_cbranch_vccnz .LBB16_21
; %bb.14:                               ;   in Loop: Header=BB16_3 Depth=1
	v_dual_mov_b32 v10, v8 :: v_dual_mov_b32 v9, v7
	s_mov_b32 s22, s33
	s_mov_b32 s14, s31
.LBB16_15:                              ;   Parent Loop BB16_3 Depth=1
                                        ; =>  This Inner Loop Header: Depth=2
	s_delay_alu instid0(SALU_CYCLE_1) | instskip(NEXT) | instid1(SALU_CYCLE_1)
	s_lshl_b64 s[16:17], s[14:15], 2
                                        ; implicit-def: $vgpr7_vgpr8
	s_add_u32 s18, s26, s16
	s_addc_u32 s19, s27, s17
	s_load_b32 s23, s[18:19], 0x0
	s_mov_b32 s18, exec_lo
	s_waitcnt lgkmcnt(0)
	s_ashr_i32 s0, s23, 31
	s_delay_alu instid0(SALU_CYCLE_1) | instskip(NEXT) | instid1(VALU_DEP_1)
	v_or_b32_e32 v3, s0, v10
	v_cmpx_ne_u64_e32 0, v[2:3]
	s_xor_b32 s41, exec_lo, s18
	s_cbranch_execz .LBB16_17
; %bb.16:                               ;   in Loop: Header=BB16_15 Depth=2
	s_add_u32 s20, s23, s0
	s_mov_b32 s18, s0
	s_mov_b32 s19, s0
	s_addc_u32 s21, s0, s0
	s_delay_alu instid0(SALU_CYCLE_1) | instskip(NEXT) | instid1(SALU_CYCLE_1)
	s_xor_b64 s[20:21], s[20:21], s[18:19]
	v_cvt_f32_u32_e32 v3, s20
	v_cvt_f32_u32_e32 v5, s21
	s_sub_u32 s0, 0, s20
	s_subb_u32 s42, 0, s21
	s_delay_alu instid0(VALU_DEP_1) | instskip(NEXT) | instid1(VALU_DEP_1)
	v_fmac_f32_e32 v3, 0x4f800000, v5
	v_rcp_f32_e32 v3, v3
	s_waitcnt_depctr 0xfff
	v_mul_f32_e32 v3, 0x5f7ffffc, v3
	s_delay_alu instid0(VALU_DEP_1) | instskip(NEXT) | instid1(VALU_DEP_1)
	v_mul_f32_e32 v5, 0x2f800000, v3
	v_trunc_f32_e32 v5, v5
	s_delay_alu instid0(VALU_DEP_1) | instskip(SKIP_1) | instid1(VALU_DEP_2)
	v_fmac_f32_e32 v3, 0xcf800000, v5
	v_cvt_u32_f32_e32 v5, v5
	v_cvt_u32_f32_e32 v3, v3
	s_delay_alu instid0(VALU_DEP_2) | instskip(NEXT) | instid1(VALU_DEP_2)
	v_mul_lo_u32 v7, s0, v5
	v_mul_hi_u32 v8, s0, v3
	v_mul_lo_u32 v11, s42, v3
	s_delay_alu instid0(VALU_DEP_2) | instskip(SKIP_1) | instid1(VALU_DEP_2)
	v_add_nc_u32_e32 v7, v8, v7
	v_mul_lo_u32 v8, s0, v3
	v_add_nc_u32_e32 v7, v7, v11
	s_delay_alu instid0(VALU_DEP_2) | instskip(NEXT) | instid1(VALU_DEP_2)
	v_mul_hi_u32 v11, v3, v8
	v_mul_lo_u32 v12, v3, v7
	v_mul_hi_u32 v13, v3, v7
	v_mul_hi_u32 v14, v5, v8
	v_mul_lo_u32 v8, v5, v8
	v_mul_hi_u32 v15, v5, v7
	v_mul_lo_u32 v7, v5, v7
	v_add_co_u32 v11, vcc_lo, v11, v12
	v_add_co_ci_u32_e32 v12, vcc_lo, 0, v13, vcc_lo
	s_delay_alu instid0(VALU_DEP_2) | instskip(NEXT) | instid1(VALU_DEP_2)
	v_add_co_u32 v8, vcc_lo, v11, v8
	v_add_co_ci_u32_e32 v8, vcc_lo, v12, v14, vcc_lo
	v_add_co_ci_u32_e32 v11, vcc_lo, 0, v15, vcc_lo
	v_ashrrev_i32_e32 v14, 31, v10
	s_delay_alu instid0(VALU_DEP_3) | instskip(NEXT) | instid1(VALU_DEP_3)
	v_add_co_u32 v7, vcc_lo, v8, v7
	v_add_co_ci_u32_e32 v8, vcc_lo, 0, v11, vcc_lo
	s_delay_alu instid0(VALU_DEP_2) | instskip(NEXT) | instid1(VALU_DEP_2)
	v_add_co_u32 v3, vcc_lo, v3, v7
	v_add_co_ci_u32_e32 v5, vcc_lo, v5, v8, vcc_lo
	s_delay_alu instid0(VALU_DEP_2) | instskip(SKIP_1) | instid1(VALU_DEP_3)
	v_mul_hi_u32 v7, s0, v3
	v_mul_lo_u32 v11, s42, v3
	v_mul_lo_u32 v8, s0, v5
	s_delay_alu instid0(VALU_DEP_1) | instskip(SKIP_1) | instid1(VALU_DEP_2)
	v_add_nc_u32_e32 v7, v7, v8
	v_mul_lo_u32 v8, s0, v3
	v_add_nc_u32_e32 v7, v7, v11
	s_delay_alu instid0(VALU_DEP_2) | instskip(NEXT) | instid1(VALU_DEP_2)
	v_mul_hi_u32 v11, v3, v8
	v_mul_lo_u32 v12, v3, v7
	v_mul_hi_u32 v13, v3, v7
	v_mul_hi_u32 v15, v5, v8
	v_mul_lo_u32 v8, v5, v8
	v_mul_hi_u32 v16, v5, v7
	v_mul_lo_u32 v7, v5, v7
	v_add_co_u32 v11, vcc_lo, v11, v12
	v_add_co_ci_u32_e32 v12, vcc_lo, 0, v13, vcc_lo
	s_delay_alu instid0(VALU_DEP_2) | instskip(NEXT) | instid1(VALU_DEP_2)
	v_add_co_u32 v8, vcc_lo, v11, v8
	v_add_co_ci_u32_e32 v8, vcc_lo, v12, v15, vcc_lo
	v_add_co_ci_u32_e32 v11, vcc_lo, 0, v16, vcc_lo
	v_add_co_u32 v12, vcc_lo, v9, v14
	v_add_co_ci_u32_e32 v10, vcc_lo, v10, v14, vcc_lo
	s_delay_alu instid0(VALU_DEP_4) | instskip(NEXT) | instid1(VALU_DEP_4)
	v_add_co_u32 v7, vcc_lo, v8, v7
	v_add_co_ci_u32_e32 v8, vcc_lo, 0, v11, vcc_lo
	s_delay_alu instid0(VALU_DEP_4) | instskip(NEXT) | instid1(VALU_DEP_3)
	v_xor_b32_e32 v15, v12, v14
	v_add_co_u32 v3, vcc_lo, v3, v7
	s_delay_alu instid0(VALU_DEP_3) | instskip(SKIP_1) | instid1(VALU_DEP_3)
	v_add_co_ci_u32_e32 v5, vcc_lo, v5, v8, vcc_lo
	v_xor_b32_e32 v16, v10, v14
	v_mul_hi_u32 v17, v15, v3
	s_delay_alu instid0(VALU_DEP_3) | instskip(NEXT) | instid1(VALU_DEP_3)
	v_mad_u64_u32 v[7:8], null, v15, v5, 0
	v_mad_u64_u32 v[10:11], null, v16, v3, 0
	;; [unrolled: 1-line block ×3, first 2 shown]
	s_delay_alu instid0(VALU_DEP_3) | instskip(NEXT) | instid1(VALU_DEP_4)
	v_add_co_u32 v3, vcc_lo, v17, v7
	v_add_co_ci_u32_e32 v5, vcc_lo, 0, v8, vcc_lo
	s_delay_alu instid0(VALU_DEP_2) | instskip(NEXT) | instid1(VALU_DEP_2)
	v_add_co_u32 v3, vcc_lo, v3, v10
	v_add_co_ci_u32_e32 v3, vcc_lo, v5, v11, vcc_lo
	v_add_co_ci_u32_e32 v5, vcc_lo, 0, v13, vcc_lo
	s_delay_alu instid0(VALU_DEP_2) | instskip(NEXT) | instid1(VALU_DEP_2)
	v_add_co_u32 v3, vcc_lo, v3, v12
	v_add_co_ci_u32_e32 v5, vcc_lo, 0, v5, vcc_lo
	s_delay_alu instid0(VALU_DEP_2) | instskip(SKIP_1) | instid1(VALU_DEP_3)
	v_mul_lo_u32 v10, s21, v3
	v_mad_u64_u32 v[7:8], null, s20, v3, 0
	v_mul_lo_u32 v11, s20, v5
	s_delay_alu instid0(VALU_DEP_2) | instskip(NEXT) | instid1(VALU_DEP_2)
	v_sub_co_u32 v7, vcc_lo, v15, v7
	v_add3_u32 v8, v8, v11, v10
	s_delay_alu instid0(VALU_DEP_1) | instskip(NEXT) | instid1(VALU_DEP_1)
	v_sub_nc_u32_e32 v10, v16, v8
	v_subrev_co_ci_u32_e64 v10, s0, s21, v10, vcc_lo
	v_add_co_u32 v11, s0, v3, 2
	s_delay_alu instid0(VALU_DEP_1) | instskip(SKIP_3) | instid1(VALU_DEP_3)
	v_add_co_ci_u32_e64 v12, s0, 0, v5, s0
	v_sub_co_u32 v13, s0, v7, s20
	v_sub_co_ci_u32_e32 v8, vcc_lo, v16, v8, vcc_lo
	v_subrev_co_ci_u32_e64 v10, s0, 0, v10, s0
	v_cmp_le_u32_e32 vcc_lo, s20, v13
	s_delay_alu instid0(VALU_DEP_3) | instskip(SKIP_1) | instid1(VALU_DEP_4)
	v_cmp_eq_u32_e64 s0, s21, v8
	v_cndmask_b32_e64 v13, 0, -1, vcc_lo
	v_cmp_le_u32_e32 vcc_lo, s21, v10
	v_cndmask_b32_e64 v15, 0, -1, vcc_lo
	v_cmp_le_u32_e32 vcc_lo, s20, v7
	;; [unrolled: 2-line block ×3, first 2 shown]
	v_cndmask_b32_e64 v16, 0, -1, vcc_lo
	v_cmp_eq_u32_e32 vcc_lo, s21, v10
	s_delay_alu instid0(VALU_DEP_2) | instskip(SKIP_3) | instid1(VALU_DEP_3)
	v_cndmask_b32_e64 v7, v16, v7, s0
	v_cndmask_b32_e32 v10, v15, v13, vcc_lo
	v_add_co_u32 v13, vcc_lo, v3, 1
	v_add_co_ci_u32_e32 v15, vcc_lo, 0, v5, vcc_lo
	v_cmp_ne_u32_e32 vcc_lo, 0, v10
	s_delay_alu instid0(VALU_DEP_3) | instskip(NEXT) | instid1(VALU_DEP_3)
	v_cndmask_b32_e32 v10, v13, v11, vcc_lo
	v_cndmask_b32_e32 v8, v15, v12, vcc_lo
	v_cmp_ne_u32_e32 vcc_lo, 0, v7
	v_xor_b32_e32 v7, s18, v14
	s_delay_alu instid0(VALU_DEP_4) | instskip(NEXT) | instid1(VALU_DEP_4)
	v_cndmask_b32_e32 v3, v3, v10, vcc_lo
	v_cndmask_b32_e32 v5, v5, v8, vcc_lo
	v_xor_b32_e32 v8, s19, v14
	s_delay_alu instid0(VALU_DEP_3) | instskip(NEXT) | instid1(VALU_DEP_2)
	v_xor_b32_e32 v3, v3, v7
	v_xor_b32_e32 v5, v5, v8
	s_delay_alu instid0(VALU_DEP_2) | instskip(NEXT) | instid1(VALU_DEP_2)
	v_sub_co_u32 v7, vcc_lo, v3, v7
	v_sub_co_ci_u32_e32 v8, vcc_lo, v5, v8, vcc_lo
.LBB16_17:                              ;   in Loop: Header=BB16_15 Depth=2
	s_and_not1_saveexec_b32 s0, s41
	s_cbranch_execz .LBB16_19
; %bb.18:                               ;   in Loop: Header=BB16_15 Depth=2
	v_cvt_f32_u32_e32 v3, s23
	s_sub_i32 s18, 0, s23
	s_delay_alu instid0(VALU_DEP_1) | instskip(SKIP_2) | instid1(VALU_DEP_1)
	v_rcp_iflag_f32_e32 v3, v3
	s_waitcnt_depctr 0xfff
	v_mul_f32_e32 v3, 0x4f7ffffe, v3
	v_cvt_u32_f32_e32 v3, v3
	s_delay_alu instid0(VALU_DEP_1) | instskip(NEXT) | instid1(VALU_DEP_1)
	v_mul_lo_u32 v5, s18, v3
	v_mul_hi_u32 v5, v3, v5
	s_delay_alu instid0(VALU_DEP_1) | instskip(NEXT) | instid1(VALU_DEP_1)
	v_add_nc_u32_e32 v3, v3, v5
	v_mul_hi_u32 v3, v9, v3
	s_delay_alu instid0(VALU_DEP_1) | instskip(SKIP_1) | instid1(VALU_DEP_2)
	v_mul_lo_u32 v5, v3, s23
	v_add_nc_u32_e32 v7, 1, v3
	v_sub_nc_u32_e32 v5, v9, v5
	s_delay_alu instid0(VALU_DEP_1) | instskip(SKIP_1) | instid1(VALU_DEP_2)
	v_subrev_nc_u32_e32 v8, s23, v5
	v_cmp_le_u32_e32 vcc_lo, s23, v5
	v_dual_cndmask_b32 v5, v5, v8 :: v_dual_mov_b32 v8, v2
	v_cndmask_b32_e32 v3, v3, v7, vcc_lo
	s_delay_alu instid0(VALU_DEP_2) | instskip(NEXT) | instid1(VALU_DEP_2)
	v_cmp_le_u32_e32 vcc_lo, s23, v5
	v_add_nc_u32_e32 v7, 1, v3
	s_delay_alu instid0(VALU_DEP_1)
	v_cndmask_b32_e32 v7, v3, v7, vcc_lo
.LBB16_19:                              ;   in Loop: Header=BB16_15 Depth=2
	s_or_b32 exec_lo, exec_lo, s0
	s_add_u32 s16, s30, s16
	s_addc_u32 s17, s1, s17
	s_delay_alu instid0(VALU_DEP_1) | instskip(SKIP_4) | instid1(VALU_DEP_1)
	v_mul_lo_u32 v3, v7, s23
	s_load_b32 s0, s[16:17], 0x0
	s_add_i32 s22, s22, -1
	s_add_i32 s14, s14, -1
	s_cmp_lg_u32 s22, 0
	v_sub_nc_u32_e32 v3, v9, v3
	s_waitcnt lgkmcnt(0)
	s_delay_alu instid0(VALU_DEP_1) | instskip(NEXT) | instid1(VALU_DEP_1)
	v_mad_u64_u32 v[9:10], null, s0, v3, v[4:5]
	v_mov_b32_e32 v4, v9
	s_cbranch_scc0 .LBB16_22
; %bb.20:                               ;   in Loop: Header=BB16_15 Depth=2
	v_dual_mov_b32 v10, v8 :: v_dual_mov_b32 v9, v7
	s_branch .LBB16_15
.LBB16_21:                              ;   in Loop: Header=BB16_3 Depth=1
	s_mov_b32 s14, s31
.LBB16_22:                              ;   in Loop: Header=BB16_3 Depth=1
	s_and_not1_b32 vcc_lo, exec_lo, s36
	s_cbranch_vccnz .LBB16_58
; %bb.23:                               ;   in Loop: Header=BB16_3 Depth=1
	s_add_i32 s16, s14, -7
.LBB16_24:                              ;   Parent Loop BB16_3 Depth=1
                                        ; =>  This Inner Loop Header: Depth=2
	s_delay_alu instid0(SALU_CYCLE_1) | instskip(NEXT) | instid1(SALU_CYCLE_1)
	s_add_i32 s14, s16, 7
                                        ; implicit-def: $vgpr9_vgpr10
	s_lshl_b64 s[18:19], s[14:15], 2
	s_mov_b32 s14, exec_lo
	s_add_u32 s20, s26, s18
	s_addc_u32 s21, s27, s19
	s_load_b32 s41, s[20:21], 0x0
	s_waitcnt lgkmcnt(0)
	s_ashr_i32 s0, s41, 31
	s_delay_alu instid0(SALU_CYCLE_1) | instskip(NEXT) | instid1(VALU_DEP_1)
	v_or_b32_e32 v3, s0, v8
	v_cmpx_ne_u64_e32 0, v[2:3]
	s_xor_b32 s14, exec_lo, s14
	s_cbranch_execz .LBB16_26
; %bb.25:                               ;   in Loop: Header=BB16_24 Depth=2
	s_add_u32 s22, s41, s0
	s_mov_b32 s20, s0
	s_mov_b32 s21, s0
	s_addc_u32 s23, s0, s0
	s_delay_alu instid0(SALU_CYCLE_1) | instskip(NEXT) | instid1(SALU_CYCLE_1)
	s_xor_b64 s[22:23], s[22:23], s[20:21]
	v_cvt_f32_u32_e32 v3, s22
	v_cvt_f32_u32_e32 v5, s23
	s_sub_u32 s0, 0, s22
	s_subb_u32 s17, 0, s23
	s_delay_alu instid0(VALU_DEP_1) | instskip(NEXT) | instid1(VALU_DEP_1)
	v_fmac_f32_e32 v3, 0x4f800000, v5
	v_rcp_f32_e32 v3, v3
	s_waitcnt_depctr 0xfff
	v_mul_f32_e32 v3, 0x5f7ffffc, v3
	s_delay_alu instid0(VALU_DEP_1) | instskip(NEXT) | instid1(VALU_DEP_1)
	v_mul_f32_e32 v5, 0x2f800000, v3
	v_trunc_f32_e32 v5, v5
	s_delay_alu instid0(VALU_DEP_1) | instskip(SKIP_1) | instid1(VALU_DEP_2)
	v_fmac_f32_e32 v3, 0xcf800000, v5
	v_cvt_u32_f32_e32 v5, v5
	v_cvt_u32_f32_e32 v3, v3
	s_delay_alu instid0(VALU_DEP_2) | instskip(NEXT) | instid1(VALU_DEP_2)
	v_mul_lo_u32 v9, s0, v5
	v_mul_hi_u32 v10, s0, v3
	v_mul_lo_u32 v11, s17, v3
	s_delay_alu instid0(VALU_DEP_2) | instskip(SKIP_1) | instid1(VALU_DEP_2)
	v_add_nc_u32_e32 v9, v10, v9
	v_mul_lo_u32 v10, s0, v3
	v_add_nc_u32_e32 v9, v9, v11
	s_delay_alu instid0(VALU_DEP_2) | instskip(NEXT) | instid1(VALU_DEP_2)
	v_mul_hi_u32 v11, v3, v10
	v_mul_lo_u32 v12, v3, v9
	v_mul_hi_u32 v13, v3, v9
	v_mul_hi_u32 v14, v5, v10
	v_mul_lo_u32 v10, v5, v10
	v_mul_hi_u32 v15, v5, v9
	v_mul_lo_u32 v9, v5, v9
	v_add_co_u32 v11, vcc_lo, v11, v12
	v_add_co_ci_u32_e32 v12, vcc_lo, 0, v13, vcc_lo
	s_delay_alu instid0(VALU_DEP_2) | instskip(NEXT) | instid1(VALU_DEP_2)
	v_add_co_u32 v10, vcc_lo, v11, v10
	v_add_co_ci_u32_e32 v10, vcc_lo, v12, v14, vcc_lo
	v_add_co_ci_u32_e32 v11, vcc_lo, 0, v15, vcc_lo
	v_ashrrev_i32_e32 v14, 31, v8
	s_delay_alu instid0(VALU_DEP_3) | instskip(NEXT) | instid1(VALU_DEP_3)
	v_add_co_u32 v9, vcc_lo, v10, v9
	v_add_co_ci_u32_e32 v10, vcc_lo, 0, v11, vcc_lo
	s_delay_alu instid0(VALU_DEP_2) | instskip(NEXT) | instid1(VALU_DEP_2)
	v_add_co_u32 v3, vcc_lo, v3, v9
	v_add_co_ci_u32_e32 v5, vcc_lo, v5, v10, vcc_lo
	s_delay_alu instid0(VALU_DEP_2) | instskip(SKIP_1) | instid1(VALU_DEP_3)
	v_mul_hi_u32 v9, s0, v3
	v_mul_lo_u32 v11, s17, v3
	v_mul_lo_u32 v10, s0, v5
	s_delay_alu instid0(VALU_DEP_1) | instskip(SKIP_1) | instid1(VALU_DEP_2)
	v_add_nc_u32_e32 v9, v9, v10
	v_mul_lo_u32 v10, s0, v3
	v_add_nc_u32_e32 v9, v9, v11
	s_delay_alu instid0(VALU_DEP_2) | instskip(NEXT) | instid1(VALU_DEP_2)
	v_mul_hi_u32 v11, v3, v10
	v_mul_lo_u32 v12, v3, v9
	v_mul_hi_u32 v13, v3, v9
	v_mul_hi_u32 v15, v5, v10
	v_mul_lo_u32 v10, v5, v10
	v_mul_hi_u32 v16, v5, v9
	v_mul_lo_u32 v9, v5, v9
	v_add_co_u32 v11, vcc_lo, v11, v12
	v_add_co_ci_u32_e32 v12, vcc_lo, 0, v13, vcc_lo
	s_delay_alu instid0(VALU_DEP_2) | instskip(NEXT) | instid1(VALU_DEP_2)
	v_add_co_u32 v10, vcc_lo, v11, v10
	v_add_co_ci_u32_e32 v10, vcc_lo, v12, v15, vcc_lo
	v_add_co_ci_u32_e32 v11, vcc_lo, 0, v16, vcc_lo
	v_add_co_u32 v12, vcc_lo, v7, v14
	v_add_co_ci_u32_e32 v8, vcc_lo, v8, v14, vcc_lo
	s_delay_alu instid0(VALU_DEP_4) | instskip(NEXT) | instid1(VALU_DEP_4)
	v_add_co_u32 v9, vcc_lo, v10, v9
	v_add_co_ci_u32_e32 v10, vcc_lo, 0, v11, vcc_lo
	s_delay_alu instid0(VALU_DEP_4) | instskip(NEXT) | instid1(VALU_DEP_3)
	v_xor_b32_e32 v15, v12, v14
	v_add_co_u32 v3, vcc_lo, v3, v9
	s_delay_alu instid0(VALU_DEP_3) | instskip(SKIP_1) | instid1(VALU_DEP_3)
	v_add_co_ci_u32_e32 v5, vcc_lo, v5, v10, vcc_lo
	v_xor_b32_e32 v16, v8, v14
	v_mul_hi_u32 v17, v15, v3
	s_delay_alu instid0(VALU_DEP_3) | instskip(NEXT) | instid1(VALU_DEP_3)
	v_mad_u64_u32 v[8:9], null, v15, v5, 0
	v_mad_u64_u32 v[10:11], null, v16, v3, 0
	;; [unrolled: 1-line block ×3, first 2 shown]
	s_delay_alu instid0(VALU_DEP_3) | instskip(NEXT) | instid1(VALU_DEP_4)
	v_add_co_u32 v3, vcc_lo, v17, v8
	v_add_co_ci_u32_e32 v5, vcc_lo, 0, v9, vcc_lo
	s_delay_alu instid0(VALU_DEP_2) | instskip(NEXT) | instid1(VALU_DEP_2)
	v_add_co_u32 v3, vcc_lo, v3, v10
	v_add_co_ci_u32_e32 v3, vcc_lo, v5, v11, vcc_lo
	v_add_co_ci_u32_e32 v5, vcc_lo, 0, v13, vcc_lo
	s_delay_alu instid0(VALU_DEP_2) | instskip(NEXT) | instid1(VALU_DEP_2)
	v_add_co_u32 v3, vcc_lo, v3, v12
	v_add_co_ci_u32_e32 v5, vcc_lo, 0, v5, vcc_lo
	s_delay_alu instid0(VALU_DEP_2) | instskip(SKIP_1) | instid1(VALU_DEP_3)
	v_mul_lo_u32 v10, s23, v3
	v_mad_u64_u32 v[8:9], null, s22, v3, 0
	v_mul_lo_u32 v11, s22, v5
	s_delay_alu instid0(VALU_DEP_2) | instskip(NEXT) | instid1(VALU_DEP_2)
	v_sub_co_u32 v8, vcc_lo, v15, v8
	v_add3_u32 v9, v9, v11, v10
	s_delay_alu instid0(VALU_DEP_1) | instskip(NEXT) | instid1(VALU_DEP_1)
	v_sub_nc_u32_e32 v10, v16, v9
	v_subrev_co_ci_u32_e64 v10, s0, s23, v10, vcc_lo
	v_add_co_u32 v11, s0, v3, 2
	s_delay_alu instid0(VALU_DEP_1) | instskip(SKIP_3) | instid1(VALU_DEP_3)
	v_add_co_ci_u32_e64 v12, s0, 0, v5, s0
	v_sub_co_u32 v13, s0, v8, s22
	v_sub_co_ci_u32_e32 v9, vcc_lo, v16, v9, vcc_lo
	v_subrev_co_ci_u32_e64 v10, s0, 0, v10, s0
	v_cmp_le_u32_e32 vcc_lo, s22, v13
	s_delay_alu instid0(VALU_DEP_3) | instskip(SKIP_1) | instid1(VALU_DEP_4)
	v_cmp_eq_u32_e64 s0, s23, v9
	v_cndmask_b32_e64 v13, 0, -1, vcc_lo
	v_cmp_le_u32_e32 vcc_lo, s23, v10
	v_cndmask_b32_e64 v15, 0, -1, vcc_lo
	v_cmp_le_u32_e32 vcc_lo, s22, v8
	;; [unrolled: 2-line block ×3, first 2 shown]
	v_cndmask_b32_e64 v16, 0, -1, vcc_lo
	v_cmp_eq_u32_e32 vcc_lo, s23, v10
	s_delay_alu instid0(VALU_DEP_2) | instskip(SKIP_3) | instid1(VALU_DEP_3)
	v_cndmask_b32_e64 v8, v16, v8, s0
	v_cndmask_b32_e32 v10, v15, v13, vcc_lo
	v_add_co_u32 v13, vcc_lo, v3, 1
	v_add_co_ci_u32_e32 v15, vcc_lo, 0, v5, vcc_lo
	v_cmp_ne_u32_e32 vcc_lo, 0, v10
	s_delay_alu instid0(VALU_DEP_2) | instskip(SKIP_2) | instid1(VALU_DEP_3)
	v_dual_cndmask_b32 v9, v15, v12 :: v_dual_cndmask_b32 v10, v13, v11
	v_cmp_ne_u32_e32 vcc_lo, 0, v8
	v_xor_b32_e32 v8, s20, v14
	v_cndmask_b32_e32 v3, v3, v10, vcc_lo
	s_delay_alu instid0(VALU_DEP_4) | instskip(SKIP_1) | instid1(VALU_DEP_3)
	v_cndmask_b32_e32 v5, v5, v9, vcc_lo
	v_xor_b32_e32 v10, s21, v14
	v_xor_b32_e32 v3, v3, v8
	s_delay_alu instid0(VALU_DEP_2) | instskip(NEXT) | instid1(VALU_DEP_2)
	v_xor_b32_e32 v5, v5, v10
	v_sub_co_u32 v9, vcc_lo, v3, v8
	s_delay_alu instid0(VALU_DEP_2)
	v_sub_co_ci_u32_e32 v10, vcc_lo, v5, v10, vcc_lo
.LBB16_26:                              ;   in Loop: Header=BB16_24 Depth=2
	s_and_not1_saveexec_b32 s0, s14
	s_cbranch_execz .LBB16_28
; %bb.27:                               ;   in Loop: Header=BB16_24 Depth=2
	v_cvt_f32_u32_e32 v3, s41
	s_sub_i32 s14, 0, s41
	v_mov_b32_e32 v10, v2
	s_delay_alu instid0(VALU_DEP_2) | instskip(SKIP_2) | instid1(VALU_DEP_1)
	v_rcp_iflag_f32_e32 v3, v3
	s_waitcnt_depctr 0xfff
	v_mul_f32_e32 v3, 0x4f7ffffe, v3
	v_cvt_u32_f32_e32 v3, v3
	s_delay_alu instid0(VALU_DEP_1) | instskip(NEXT) | instid1(VALU_DEP_1)
	v_mul_lo_u32 v5, s14, v3
	v_mul_hi_u32 v5, v3, v5
	s_delay_alu instid0(VALU_DEP_1) | instskip(NEXT) | instid1(VALU_DEP_1)
	v_add_nc_u32_e32 v3, v3, v5
	v_mul_hi_u32 v3, v7, v3
	s_delay_alu instid0(VALU_DEP_1) | instskip(NEXT) | instid1(VALU_DEP_1)
	v_mul_lo_u32 v5, v3, s41
	v_sub_nc_u32_e32 v5, v7, v5
	s_delay_alu instid0(VALU_DEP_1) | instskip(SKIP_1) | instid1(VALU_DEP_2)
	v_subrev_nc_u32_e32 v9, s41, v5
	v_cmp_le_u32_e32 vcc_lo, s41, v5
	v_dual_cndmask_b32 v5, v5, v9 :: v_dual_add_nc_u32 v8, 1, v3
	s_delay_alu instid0(VALU_DEP_1) | instskip(NEXT) | instid1(VALU_DEP_2)
	v_cndmask_b32_e32 v3, v3, v8, vcc_lo
	v_cmp_le_u32_e32 vcc_lo, s41, v5
	s_delay_alu instid0(VALU_DEP_2) | instskip(NEXT) | instid1(VALU_DEP_1)
	v_add_nc_u32_e32 v8, 1, v3
	v_cndmask_b32_e32 v9, v3, v8, vcc_lo
.LBB16_28:                              ;   in Loop: Header=BB16_24 Depth=2
	s_or_b32 exec_lo, exec_lo, s0
	s_add_u32 s20, s30, s18
	s_addc_u32 s21, s1, s19
	s_add_i32 s14, s16, 6
                                        ; implicit-def: $vgpr11_vgpr12
	s_delay_alu instid0(SALU_CYCLE_1)
	s_lshl_b64 s[18:19], s[14:15], 2
	s_mov_b32 s14, exec_lo
	s_add_u32 s22, s26, s18
	s_addc_u32 s23, s27, s19
	s_clause 0x1
	s_load_b32 s43, s[22:23], 0x0
	s_load_b32 s42, s[20:21], 0x0
	s_waitcnt lgkmcnt(0)
	s_ashr_i32 s0, s43, 31
	s_delay_alu instid0(SALU_CYCLE_1) | instskip(NEXT) | instid1(VALU_DEP_1)
	v_or_b32_e32 v3, s0, v10
	v_cmpx_ne_u64_e32 0, v[2:3]
	s_xor_b32 s14, exec_lo, s14
	s_cbranch_execz .LBB16_30
; %bb.29:                               ;   in Loop: Header=BB16_24 Depth=2
	s_add_u32 s22, s43, s0
	s_mov_b32 s20, s0
	s_mov_b32 s21, s0
	s_addc_u32 s23, s0, s0
	s_delay_alu instid0(SALU_CYCLE_1) | instskip(NEXT) | instid1(SALU_CYCLE_1)
	s_xor_b64 s[22:23], s[22:23], s[20:21]
	v_cvt_f32_u32_e32 v3, s22
	v_cvt_f32_u32_e32 v5, s23
	s_sub_u32 s0, 0, s22
	s_subb_u32 s17, 0, s23
	s_delay_alu instid0(VALU_DEP_1) | instskip(NEXT) | instid1(VALU_DEP_1)
	v_fmac_f32_e32 v3, 0x4f800000, v5
	v_rcp_f32_e32 v3, v3
	s_waitcnt_depctr 0xfff
	v_mul_f32_e32 v3, 0x5f7ffffc, v3
	s_delay_alu instid0(VALU_DEP_1) | instskip(NEXT) | instid1(VALU_DEP_1)
	v_mul_f32_e32 v5, 0x2f800000, v3
	v_trunc_f32_e32 v5, v5
	s_delay_alu instid0(VALU_DEP_1) | instskip(SKIP_1) | instid1(VALU_DEP_2)
	v_fmac_f32_e32 v3, 0xcf800000, v5
	v_cvt_u32_f32_e32 v5, v5
	v_cvt_u32_f32_e32 v3, v3
	s_delay_alu instid0(VALU_DEP_2) | instskip(NEXT) | instid1(VALU_DEP_2)
	v_mul_lo_u32 v8, s0, v5
	v_mul_hi_u32 v11, s0, v3
	v_mul_lo_u32 v12, s17, v3
	s_delay_alu instid0(VALU_DEP_2) | instskip(SKIP_1) | instid1(VALU_DEP_2)
	v_add_nc_u32_e32 v8, v11, v8
	v_mul_lo_u32 v11, s0, v3
	v_add_nc_u32_e32 v8, v8, v12
	s_delay_alu instid0(VALU_DEP_2) | instskip(NEXT) | instid1(VALU_DEP_2)
	v_mul_hi_u32 v12, v3, v11
	v_mul_lo_u32 v13, v3, v8
	v_mul_hi_u32 v14, v3, v8
	v_mul_hi_u32 v15, v5, v11
	v_mul_lo_u32 v11, v5, v11
	v_mul_hi_u32 v16, v5, v8
	v_mul_lo_u32 v8, v5, v8
	v_add_co_u32 v12, vcc_lo, v12, v13
	v_add_co_ci_u32_e32 v13, vcc_lo, 0, v14, vcc_lo
	s_delay_alu instid0(VALU_DEP_2) | instskip(NEXT) | instid1(VALU_DEP_2)
	v_add_co_u32 v11, vcc_lo, v12, v11
	v_add_co_ci_u32_e32 v11, vcc_lo, v13, v15, vcc_lo
	v_add_co_ci_u32_e32 v12, vcc_lo, 0, v16, vcc_lo
	v_ashrrev_i32_e32 v16, 31, v10
	s_delay_alu instid0(VALU_DEP_3) | instskip(NEXT) | instid1(VALU_DEP_3)
	v_add_co_u32 v8, vcc_lo, v11, v8
	v_add_co_ci_u32_e32 v11, vcc_lo, 0, v12, vcc_lo
	s_delay_alu instid0(VALU_DEP_2) | instskip(NEXT) | instid1(VALU_DEP_2)
	v_add_co_u32 v3, vcc_lo, v3, v8
	v_add_co_ci_u32_e32 v5, vcc_lo, v5, v11, vcc_lo
	s_delay_alu instid0(VALU_DEP_2) | instskip(SKIP_1) | instid1(VALU_DEP_3)
	v_mul_hi_u32 v8, s0, v3
	v_mul_lo_u32 v12, s17, v3
	v_mul_lo_u32 v11, s0, v5
	s_delay_alu instid0(VALU_DEP_1) | instskip(SKIP_1) | instid1(VALU_DEP_2)
	v_add_nc_u32_e32 v8, v8, v11
	v_mul_lo_u32 v11, s0, v3
	v_add_nc_u32_e32 v8, v8, v12
	s_delay_alu instid0(VALU_DEP_2) | instskip(NEXT) | instid1(VALU_DEP_2)
	v_mul_hi_u32 v12, v3, v11
	v_mul_lo_u32 v13, v3, v8
	v_mul_hi_u32 v14, v3, v8
	v_mul_hi_u32 v15, v5, v11
	v_mul_lo_u32 v11, v5, v11
	v_mul_hi_u32 v17, v5, v8
	v_mul_lo_u32 v8, v5, v8
	v_add_co_u32 v12, vcc_lo, v12, v13
	v_add_co_ci_u32_e32 v13, vcc_lo, 0, v14, vcc_lo
	s_delay_alu instid0(VALU_DEP_2) | instskip(NEXT) | instid1(VALU_DEP_2)
	v_add_co_u32 v11, vcc_lo, v12, v11
	v_add_co_ci_u32_e32 v11, vcc_lo, v13, v15, vcc_lo
	v_add_co_ci_u32_e32 v12, vcc_lo, 0, v17, vcc_lo
	v_add_co_u32 v13, vcc_lo, v9, v16
	v_add_co_ci_u32_e32 v10, vcc_lo, v10, v16, vcc_lo
	s_delay_alu instid0(VALU_DEP_4) | instskip(NEXT) | instid1(VALU_DEP_4)
	v_add_co_u32 v8, vcc_lo, v11, v8
	v_add_co_ci_u32_e32 v11, vcc_lo, 0, v12, vcc_lo
	s_delay_alu instid0(VALU_DEP_4) | instskip(NEXT) | instid1(VALU_DEP_3)
	v_xor_b32_e32 v17, v13, v16
	v_add_co_u32 v3, vcc_lo, v3, v8
	s_delay_alu instid0(VALU_DEP_3) | instskip(SKIP_1) | instid1(VALU_DEP_3)
	v_add_co_ci_u32_e32 v5, vcc_lo, v5, v11, vcc_lo
	v_xor_b32_e32 v8, v10, v16
	v_mul_hi_u32 v18, v17, v3
	s_delay_alu instid0(VALU_DEP_3) | instskip(NEXT) | instid1(VALU_DEP_3)
	v_mad_u64_u32 v[10:11], null, v17, v5, 0
	v_mad_u64_u32 v[12:13], null, v8, v3, 0
	;; [unrolled: 1-line block ×3, first 2 shown]
	s_delay_alu instid0(VALU_DEP_3) | instskip(NEXT) | instid1(VALU_DEP_4)
	v_add_co_u32 v3, vcc_lo, v18, v10
	v_add_co_ci_u32_e32 v5, vcc_lo, 0, v11, vcc_lo
	s_delay_alu instid0(VALU_DEP_2) | instskip(NEXT) | instid1(VALU_DEP_2)
	v_add_co_u32 v3, vcc_lo, v3, v12
	v_add_co_ci_u32_e32 v3, vcc_lo, v5, v13, vcc_lo
	v_add_co_ci_u32_e32 v5, vcc_lo, 0, v15, vcc_lo
	s_delay_alu instid0(VALU_DEP_2) | instskip(NEXT) | instid1(VALU_DEP_2)
	v_add_co_u32 v3, vcc_lo, v3, v14
	v_add_co_ci_u32_e32 v5, vcc_lo, 0, v5, vcc_lo
	s_delay_alu instid0(VALU_DEP_2) | instskip(SKIP_1) | instid1(VALU_DEP_3)
	v_mul_lo_u32 v12, s23, v3
	v_mad_u64_u32 v[10:11], null, s22, v3, 0
	v_mul_lo_u32 v13, s22, v5
	s_delay_alu instid0(VALU_DEP_2) | instskip(NEXT) | instid1(VALU_DEP_2)
	v_sub_co_u32 v10, vcc_lo, v17, v10
	v_add3_u32 v11, v11, v13, v12
	s_delay_alu instid0(VALU_DEP_1) | instskip(NEXT) | instid1(VALU_DEP_1)
	v_sub_nc_u32_e32 v12, v8, v11
	v_subrev_co_ci_u32_e64 v12, s0, s23, v12, vcc_lo
	v_add_co_u32 v13, s0, v3, 2
	s_delay_alu instid0(VALU_DEP_1) | instskip(SKIP_3) | instid1(VALU_DEP_3)
	v_add_co_ci_u32_e64 v14, s0, 0, v5, s0
	v_sub_co_u32 v15, s0, v10, s22
	v_sub_co_ci_u32_e32 v8, vcc_lo, v8, v11, vcc_lo
	v_subrev_co_ci_u32_e64 v12, s0, 0, v12, s0
	v_cmp_le_u32_e32 vcc_lo, s22, v15
	s_delay_alu instid0(VALU_DEP_3) | instskip(SKIP_1) | instid1(VALU_DEP_4)
	v_cmp_eq_u32_e64 s0, s23, v8
	v_cndmask_b32_e64 v11, 0, -1, vcc_lo
	v_cmp_le_u32_e32 vcc_lo, s23, v12
	v_cndmask_b32_e64 v15, 0, -1, vcc_lo
	v_cmp_le_u32_e32 vcc_lo, s22, v10
	;; [unrolled: 2-line block ×3, first 2 shown]
	v_cndmask_b32_e64 v17, 0, -1, vcc_lo
	v_cmp_eq_u32_e32 vcc_lo, s23, v12
	s_delay_alu instid0(VALU_DEP_2) | instskip(SKIP_3) | instid1(VALU_DEP_3)
	v_cndmask_b32_e64 v8, v17, v10, s0
	v_cndmask_b32_e32 v11, v15, v11, vcc_lo
	v_add_co_u32 v12, vcc_lo, v3, 1
	v_add_co_ci_u32_e32 v15, vcc_lo, 0, v5, vcc_lo
	v_cmp_ne_u32_e32 vcc_lo, 0, v11
	s_delay_alu instid0(VALU_DEP_2) | instskip(SKIP_2) | instid1(VALU_DEP_3)
	v_dual_cndmask_b32 v10, v15, v14 :: v_dual_cndmask_b32 v11, v12, v13
	v_cmp_ne_u32_e32 vcc_lo, 0, v8
	v_xor_b32_e32 v8, s20, v16
	v_cndmask_b32_e32 v3, v3, v11, vcc_lo
	s_delay_alu instid0(VALU_DEP_4) | instskip(SKIP_1) | instid1(VALU_DEP_3)
	v_cndmask_b32_e32 v5, v5, v10, vcc_lo
	v_xor_b32_e32 v10, s21, v16
	v_xor_b32_e32 v3, v3, v8
	s_delay_alu instid0(VALU_DEP_2) | instskip(NEXT) | instid1(VALU_DEP_2)
	v_xor_b32_e32 v5, v5, v10
	v_sub_co_u32 v11, vcc_lo, v3, v8
	s_delay_alu instid0(VALU_DEP_2)
	v_sub_co_ci_u32_e32 v12, vcc_lo, v5, v10, vcc_lo
.LBB16_30:                              ;   in Loop: Header=BB16_24 Depth=2
	s_and_not1_saveexec_b32 s0, s14
	s_cbranch_execz .LBB16_32
; %bb.31:                               ;   in Loop: Header=BB16_24 Depth=2
	v_cvt_f32_u32_e32 v3, s43
	s_sub_i32 s14, 0, s43
	v_mov_b32_e32 v12, v2
	s_delay_alu instid0(VALU_DEP_2) | instskip(SKIP_2) | instid1(VALU_DEP_1)
	v_rcp_iflag_f32_e32 v3, v3
	s_waitcnt_depctr 0xfff
	v_mul_f32_e32 v3, 0x4f7ffffe, v3
	v_cvt_u32_f32_e32 v3, v3
	s_delay_alu instid0(VALU_DEP_1) | instskip(NEXT) | instid1(VALU_DEP_1)
	v_mul_lo_u32 v5, s14, v3
	v_mul_hi_u32 v5, v3, v5
	s_delay_alu instid0(VALU_DEP_1) | instskip(NEXT) | instid1(VALU_DEP_1)
	v_add_nc_u32_e32 v3, v3, v5
	v_mul_hi_u32 v3, v9, v3
	s_delay_alu instid0(VALU_DEP_1) | instskip(NEXT) | instid1(VALU_DEP_1)
	v_mul_lo_u32 v5, v3, s43
	v_sub_nc_u32_e32 v5, v9, v5
	s_delay_alu instid0(VALU_DEP_1) | instskip(SKIP_1) | instid1(VALU_DEP_2)
	v_subrev_nc_u32_e32 v10, s43, v5
	v_cmp_le_u32_e32 vcc_lo, s43, v5
	v_dual_cndmask_b32 v5, v5, v10 :: v_dual_add_nc_u32 v8, 1, v3
	s_delay_alu instid0(VALU_DEP_1) | instskip(NEXT) | instid1(VALU_DEP_2)
	v_cndmask_b32_e32 v3, v3, v8, vcc_lo
	v_cmp_le_u32_e32 vcc_lo, s43, v5
	s_delay_alu instid0(VALU_DEP_2) | instskip(NEXT) | instid1(VALU_DEP_1)
	v_add_nc_u32_e32 v8, 1, v3
	v_cndmask_b32_e32 v11, v3, v8, vcc_lo
.LBB16_32:                              ;   in Loop: Header=BB16_24 Depth=2
	s_or_b32 exec_lo, exec_lo, s0
	s_add_u32 s20, s30, s18
	s_addc_u32 s21, s1, s19
	s_add_i32 s14, s16, 5
                                        ; implicit-def: $vgpr13_vgpr14
	s_delay_alu instid0(SALU_CYCLE_1)
	s_lshl_b64 s[18:19], s[14:15], 2
	s_mov_b32 s14, exec_lo
	s_add_u32 s22, s26, s18
	s_addc_u32 s23, s27, s19
	s_clause 0x1
	s_load_b32 s45, s[22:23], 0x0
	s_load_b32 s44, s[20:21], 0x0
	s_waitcnt lgkmcnt(0)
	s_ashr_i32 s0, s45, 31
	s_delay_alu instid0(SALU_CYCLE_1) | instskip(NEXT) | instid1(VALU_DEP_1)
	v_or_b32_e32 v3, s0, v12
	v_cmpx_ne_u64_e32 0, v[2:3]
	s_xor_b32 s14, exec_lo, s14
	s_cbranch_execz .LBB16_34
; %bb.33:                               ;   in Loop: Header=BB16_24 Depth=2
	s_add_u32 s22, s45, s0
	s_mov_b32 s20, s0
	s_mov_b32 s21, s0
	s_addc_u32 s23, s0, s0
	v_ashrrev_i32_e32 v18, 31, v12
	s_xor_b64 s[22:23], s[22:23], s[20:21]
	s_delay_alu instid0(SALU_CYCLE_1) | instskip(SKIP_3) | instid1(VALU_DEP_1)
	v_cvt_f32_u32_e32 v3, s22
	v_cvt_f32_u32_e32 v5, s23
	s_sub_u32 s0, 0, s22
	s_subb_u32 s17, 0, s23
	v_fmac_f32_e32 v3, 0x4f800000, v5
	s_delay_alu instid0(VALU_DEP_1) | instskip(SKIP_2) | instid1(VALU_DEP_1)
	v_rcp_f32_e32 v3, v3
	s_waitcnt_depctr 0xfff
	v_mul_f32_e32 v3, 0x5f7ffffc, v3
	v_mul_f32_e32 v5, 0x2f800000, v3
	s_delay_alu instid0(VALU_DEP_1) | instskip(NEXT) | instid1(VALU_DEP_1)
	v_trunc_f32_e32 v5, v5
	v_fmac_f32_e32 v3, 0xcf800000, v5
	v_cvt_u32_f32_e32 v5, v5
	s_delay_alu instid0(VALU_DEP_2) | instskip(NEXT) | instid1(VALU_DEP_2)
	v_cvt_u32_f32_e32 v3, v3
	v_mul_lo_u32 v8, s0, v5
	s_delay_alu instid0(VALU_DEP_2) | instskip(SKIP_1) | instid1(VALU_DEP_2)
	v_mul_hi_u32 v10, s0, v3
	v_mul_lo_u32 v13, s17, v3
	v_add_nc_u32_e32 v8, v10, v8
	v_mul_lo_u32 v10, s0, v3
	s_delay_alu instid0(VALU_DEP_2) | instskip(NEXT) | instid1(VALU_DEP_2)
	v_add_nc_u32_e32 v8, v8, v13
	v_mul_hi_u32 v13, v3, v10
	s_delay_alu instid0(VALU_DEP_2)
	v_mul_lo_u32 v14, v3, v8
	v_mul_hi_u32 v15, v3, v8
	v_mul_hi_u32 v16, v5, v10
	v_mul_lo_u32 v10, v5, v10
	v_mul_hi_u32 v17, v5, v8
	v_mul_lo_u32 v8, v5, v8
	v_add_co_u32 v13, vcc_lo, v13, v14
	v_add_co_ci_u32_e32 v14, vcc_lo, 0, v15, vcc_lo
	s_delay_alu instid0(VALU_DEP_2) | instskip(NEXT) | instid1(VALU_DEP_2)
	v_add_co_u32 v10, vcc_lo, v13, v10
	v_add_co_ci_u32_e32 v10, vcc_lo, v14, v16, vcc_lo
	v_add_co_ci_u32_e32 v13, vcc_lo, 0, v17, vcc_lo
	s_delay_alu instid0(VALU_DEP_2) | instskip(NEXT) | instid1(VALU_DEP_2)
	v_add_co_u32 v8, vcc_lo, v10, v8
	v_add_co_ci_u32_e32 v10, vcc_lo, 0, v13, vcc_lo
	s_delay_alu instid0(VALU_DEP_2) | instskip(NEXT) | instid1(VALU_DEP_2)
	v_add_co_u32 v3, vcc_lo, v3, v8
	v_add_co_ci_u32_e32 v5, vcc_lo, v5, v10, vcc_lo
	s_delay_alu instid0(VALU_DEP_2) | instskip(SKIP_1) | instid1(VALU_DEP_3)
	v_mul_hi_u32 v8, s0, v3
	v_mul_lo_u32 v13, s17, v3
	v_mul_lo_u32 v10, s0, v5
	s_delay_alu instid0(VALU_DEP_1) | instskip(SKIP_1) | instid1(VALU_DEP_2)
	v_add_nc_u32_e32 v8, v8, v10
	v_mul_lo_u32 v10, s0, v3
	v_add_nc_u32_e32 v8, v8, v13
	s_delay_alu instid0(VALU_DEP_2) | instskip(NEXT) | instid1(VALU_DEP_2)
	v_mul_hi_u32 v13, v3, v10
	v_mul_lo_u32 v14, v3, v8
	v_mul_hi_u32 v15, v3, v8
	v_mul_hi_u32 v16, v5, v10
	v_mul_lo_u32 v10, v5, v10
	v_mul_hi_u32 v17, v5, v8
	v_mul_lo_u32 v8, v5, v8
	v_add_co_u32 v13, vcc_lo, v13, v14
	v_add_co_ci_u32_e32 v14, vcc_lo, 0, v15, vcc_lo
	s_delay_alu instid0(VALU_DEP_2) | instskip(NEXT) | instid1(VALU_DEP_2)
	v_add_co_u32 v10, vcc_lo, v13, v10
	v_add_co_ci_u32_e32 v10, vcc_lo, v14, v16, vcc_lo
	v_add_co_ci_u32_e32 v13, vcc_lo, 0, v17, vcc_lo
	v_add_co_u32 v14, vcc_lo, v11, v18
	v_add_co_ci_u32_e32 v12, vcc_lo, v12, v18, vcc_lo
	s_delay_alu instid0(VALU_DEP_4) | instskip(NEXT) | instid1(VALU_DEP_4)
	v_add_co_u32 v8, vcc_lo, v10, v8
	v_add_co_ci_u32_e32 v10, vcc_lo, 0, v13, vcc_lo
	s_delay_alu instid0(VALU_DEP_4) | instskip(NEXT) | instid1(VALU_DEP_3)
	v_xor_b32_e32 v19, v14, v18
	v_add_co_u32 v3, vcc_lo, v3, v8
	s_delay_alu instid0(VALU_DEP_3) | instskip(SKIP_1) | instid1(VALU_DEP_3)
	v_add_co_ci_u32_e32 v5, vcc_lo, v5, v10, vcc_lo
	v_xor_b32_e32 v8, v12, v18
	v_mul_hi_u32 v10, v19, v3
	s_delay_alu instid0(VALU_DEP_3) | instskip(NEXT) | instid1(VALU_DEP_3)
	v_mad_u64_u32 v[12:13], null, v19, v5, 0
	v_mad_u64_u32 v[14:15], null, v8, v3, 0
	;; [unrolled: 1-line block ×3, first 2 shown]
	s_delay_alu instid0(VALU_DEP_3) | instskip(NEXT) | instid1(VALU_DEP_4)
	v_add_co_u32 v3, vcc_lo, v10, v12
	v_add_co_ci_u32_e32 v5, vcc_lo, 0, v13, vcc_lo
	s_delay_alu instid0(VALU_DEP_2) | instskip(NEXT) | instid1(VALU_DEP_2)
	v_add_co_u32 v3, vcc_lo, v3, v14
	v_add_co_ci_u32_e32 v3, vcc_lo, v5, v15, vcc_lo
	v_add_co_ci_u32_e32 v5, vcc_lo, 0, v17, vcc_lo
	s_delay_alu instid0(VALU_DEP_2) | instskip(NEXT) | instid1(VALU_DEP_2)
	v_add_co_u32 v3, vcc_lo, v3, v16
	v_add_co_ci_u32_e32 v5, vcc_lo, 0, v5, vcc_lo
	s_delay_alu instid0(VALU_DEP_2) | instskip(SKIP_1) | instid1(VALU_DEP_3)
	v_mul_lo_u32 v10, s23, v3
	v_mad_u64_u32 v[12:13], null, s22, v3, 0
	v_mul_lo_u32 v14, s22, v5
	s_delay_alu instid0(VALU_DEP_2) | instskip(NEXT) | instid1(VALU_DEP_2)
	v_sub_co_u32 v12, vcc_lo, v19, v12
	v_add3_u32 v10, v13, v14, v10
	s_delay_alu instid0(VALU_DEP_1) | instskip(NEXT) | instid1(VALU_DEP_1)
	v_sub_nc_u32_e32 v13, v8, v10
	v_subrev_co_ci_u32_e64 v13, s0, s23, v13, vcc_lo
	v_add_co_u32 v14, s0, v3, 2
	s_delay_alu instid0(VALU_DEP_1) | instskip(SKIP_3) | instid1(VALU_DEP_3)
	v_add_co_ci_u32_e64 v15, s0, 0, v5, s0
	v_sub_co_u32 v16, s0, v12, s22
	v_sub_co_ci_u32_e32 v8, vcc_lo, v8, v10, vcc_lo
	v_subrev_co_ci_u32_e64 v13, s0, 0, v13, s0
	v_cmp_le_u32_e32 vcc_lo, s22, v16
	s_delay_alu instid0(VALU_DEP_3) | instskip(SKIP_1) | instid1(VALU_DEP_4)
	v_cmp_eq_u32_e64 s0, s23, v8
	v_cndmask_b32_e64 v10, 0, -1, vcc_lo
	v_cmp_le_u32_e32 vcc_lo, s23, v13
	v_cndmask_b32_e64 v16, 0, -1, vcc_lo
	v_cmp_le_u32_e32 vcc_lo, s22, v12
	;; [unrolled: 2-line block ×3, first 2 shown]
	v_cndmask_b32_e64 v17, 0, -1, vcc_lo
	v_cmp_eq_u32_e32 vcc_lo, s23, v13
	s_delay_alu instid0(VALU_DEP_2) | instskip(SKIP_3) | instid1(VALU_DEP_3)
	v_cndmask_b32_e64 v8, v17, v12, s0
	v_cndmask_b32_e32 v10, v16, v10, vcc_lo
	v_add_co_u32 v13, vcc_lo, v3, 1
	v_add_co_ci_u32_e32 v16, vcc_lo, 0, v5, vcc_lo
	v_cmp_ne_u32_e32 vcc_lo, 0, v10
	s_delay_alu instid0(VALU_DEP_3) | instskip(NEXT) | instid1(VALU_DEP_3)
	v_cndmask_b32_e32 v12, v13, v14, vcc_lo
	v_cndmask_b32_e32 v10, v16, v15, vcc_lo
	v_cmp_ne_u32_e32 vcc_lo, 0, v8
	v_xor_b32_e32 v8, s20, v18
	s_delay_alu instid0(VALU_DEP_4) | instskip(NEXT) | instid1(VALU_DEP_4)
	v_cndmask_b32_e32 v3, v3, v12, vcc_lo
	v_cndmask_b32_e32 v5, v5, v10, vcc_lo
	v_xor_b32_e32 v10, s21, v18
	s_delay_alu instid0(VALU_DEP_3) | instskip(NEXT) | instid1(VALU_DEP_2)
	v_xor_b32_e32 v3, v3, v8
	v_xor_b32_e32 v5, v5, v10
	s_delay_alu instid0(VALU_DEP_2) | instskip(NEXT) | instid1(VALU_DEP_2)
	v_sub_co_u32 v13, vcc_lo, v3, v8
	v_sub_co_ci_u32_e32 v14, vcc_lo, v5, v10, vcc_lo
.LBB16_34:                              ;   in Loop: Header=BB16_24 Depth=2
	s_and_not1_saveexec_b32 s0, s14
	s_cbranch_execz .LBB16_36
; %bb.35:                               ;   in Loop: Header=BB16_24 Depth=2
	v_cvt_f32_u32_e32 v3, s45
	s_sub_i32 s14, 0, s45
	v_mov_b32_e32 v14, v2
	s_delay_alu instid0(VALU_DEP_2) | instskip(SKIP_2) | instid1(VALU_DEP_1)
	v_rcp_iflag_f32_e32 v3, v3
	s_waitcnt_depctr 0xfff
	v_mul_f32_e32 v3, 0x4f7ffffe, v3
	v_cvt_u32_f32_e32 v3, v3
	s_delay_alu instid0(VALU_DEP_1) | instskip(NEXT) | instid1(VALU_DEP_1)
	v_mul_lo_u32 v5, s14, v3
	v_mul_hi_u32 v5, v3, v5
	s_delay_alu instid0(VALU_DEP_1) | instskip(NEXT) | instid1(VALU_DEP_1)
	v_add_nc_u32_e32 v3, v3, v5
	v_mul_hi_u32 v3, v11, v3
	s_delay_alu instid0(VALU_DEP_1) | instskip(NEXT) | instid1(VALU_DEP_1)
	v_mul_lo_u32 v5, v3, s45
	v_sub_nc_u32_e32 v5, v11, v5
	s_delay_alu instid0(VALU_DEP_1) | instskip(SKIP_1) | instid1(VALU_DEP_2)
	v_subrev_nc_u32_e32 v10, s45, v5
	v_cmp_le_u32_e32 vcc_lo, s45, v5
	v_dual_cndmask_b32 v5, v5, v10 :: v_dual_add_nc_u32 v8, 1, v3
	s_delay_alu instid0(VALU_DEP_1) | instskip(NEXT) | instid1(VALU_DEP_2)
	v_cndmask_b32_e32 v3, v3, v8, vcc_lo
	v_cmp_le_u32_e32 vcc_lo, s45, v5
	s_delay_alu instid0(VALU_DEP_2) | instskip(NEXT) | instid1(VALU_DEP_1)
	v_add_nc_u32_e32 v8, 1, v3
	v_cndmask_b32_e32 v13, v3, v8, vcc_lo
.LBB16_36:                              ;   in Loop: Header=BB16_24 Depth=2
	s_or_b32 exec_lo, exec_lo, s0
	s_add_u32 s20, s30, s18
	s_addc_u32 s21, s1, s19
	s_add_i32 s14, s16, 4
                                        ; implicit-def: $vgpr15_vgpr16
	s_delay_alu instid0(SALU_CYCLE_1)
	s_lshl_b64 s[18:19], s[14:15], 2
	s_mov_b32 s14, exec_lo
	s_add_u32 s22, s26, s18
	s_addc_u32 s23, s27, s19
	s_clause 0x1
	s_load_b32 s47, s[22:23], 0x0
	s_load_b32 s46, s[20:21], 0x0
	s_waitcnt lgkmcnt(0)
	s_ashr_i32 s0, s47, 31
	s_delay_alu instid0(SALU_CYCLE_1) | instskip(NEXT) | instid1(VALU_DEP_1)
	v_or_b32_e32 v3, s0, v14
	v_cmpx_ne_u64_e32 0, v[2:3]
	s_xor_b32 s14, exec_lo, s14
	s_cbranch_execz .LBB16_38
; %bb.37:                               ;   in Loop: Header=BB16_24 Depth=2
	s_add_u32 s22, s47, s0
	s_mov_b32 s20, s0
	s_mov_b32 s21, s0
	s_addc_u32 s23, s0, s0
	v_ashrrev_i32_e32 v20, 31, v14
	s_xor_b64 s[22:23], s[22:23], s[20:21]
	s_delay_alu instid0(SALU_CYCLE_1) | instskip(SKIP_3) | instid1(VALU_DEP_1)
	v_cvt_f32_u32_e32 v3, s22
	v_cvt_f32_u32_e32 v5, s23
	s_sub_u32 s0, 0, s22
	s_subb_u32 s17, 0, s23
	v_fmac_f32_e32 v3, 0x4f800000, v5
	s_delay_alu instid0(VALU_DEP_1) | instskip(SKIP_2) | instid1(VALU_DEP_1)
	v_rcp_f32_e32 v3, v3
	s_waitcnt_depctr 0xfff
	v_mul_f32_e32 v3, 0x5f7ffffc, v3
	v_mul_f32_e32 v5, 0x2f800000, v3
	s_delay_alu instid0(VALU_DEP_1) | instskip(NEXT) | instid1(VALU_DEP_1)
	v_trunc_f32_e32 v5, v5
	v_fmac_f32_e32 v3, 0xcf800000, v5
	v_cvt_u32_f32_e32 v5, v5
	s_delay_alu instid0(VALU_DEP_2) | instskip(NEXT) | instid1(VALU_DEP_2)
	v_cvt_u32_f32_e32 v3, v3
	v_mul_lo_u32 v8, s0, v5
	s_delay_alu instid0(VALU_DEP_2) | instskip(SKIP_1) | instid1(VALU_DEP_2)
	v_mul_hi_u32 v10, s0, v3
	v_mul_lo_u32 v12, s17, v3
	v_add_nc_u32_e32 v8, v10, v8
	v_mul_lo_u32 v10, s0, v3
	s_delay_alu instid0(VALU_DEP_2) | instskip(NEXT) | instid1(VALU_DEP_2)
	v_add_nc_u32_e32 v8, v8, v12
	v_mul_hi_u32 v12, v3, v10
	s_delay_alu instid0(VALU_DEP_2)
	v_mul_lo_u32 v15, v3, v8
	v_mul_hi_u32 v16, v3, v8
	v_mul_hi_u32 v17, v5, v10
	v_mul_lo_u32 v10, v5, v10
	v_mul_hi_u32 v18, v5, v8
	v_mul_lo_u32 v8, v5, v8
	v_add_co_u32 v12, vcc_lo, v12, v15
	v_add_co_ci_u32_e32 v15, vcc_lo, 0, v16, vcc_lo
	s_delay_alu instid0(VALU_DEP_2) | instskip(NEXT) | instid1(VALU_DEP_2)
	v_add_co_u32 v10, vcc_lo, v12, v10
	v_add_co_ci_u32_e32 v10, vcc_lo, v15, v17, vcc_lo
	v_add_co_ci_u32_e32 v12, vcc_lo, 0, v18, vcc_lo
	s_delay_alu instid0(VALU_DEP_2) | instskip(NEXT) | instid1(VALU_DEP_2)
	v_add_co_u32 v8, vcc_lo, v10, v8
	v_add_co_ci_u32_e32 v10, vcc_lo, 0, v12, vcc_lo
	s_delay_alu instid0(VALU_DEP_2) | instskip(NEXT) | instid1(VALU_DEP_2)
	v_add_co_u32 v3, vcc_lo, v3, v8
	v_add_co_ci_u32_e32 v5, vcc_lo, v5, v10, vcc_lo
	s_delay_alu instid0(VALU_DEP_2) | instskip(SKIP_1) | instid1(VALU_DEP_3)
	v_mul_hi_u32 v8, s0, v3
	v_mul_lo_u32 v12, s17, v3
	v_mul_lo_u32 v10, s0, v5
	s_delay_alu instid0(VALU_DEP_1) | instskip(SKIP_1) | instid1(VALU_DEP_2)
	v_add_nc_u32_e32 v8, v8, v10
	v_mul_lo_u32 v10, s0, v3
	v_add_nc_u32_e32 v8, v8, v12
	s_delay_alu instid0(VALU_DEP_2) | instskip(NEXT) | instid1(VALU_DEP_2)
	v_mul_hi_u32 v12, v3, v10
	v_mul_lo_u32 v15, v3, v8
	v_mul_hi_u32 v16, v3, v8
	v_mul_hi_u32 v17, v5, v10
	v_mul_lo_u32 v10, v5, v10
	v_mul_hi_u32 v18, v5, v8
	v_mul_lo_u32 v8, v5, v8
	v_add_co_u32 v12, vcc_lo, v12, v15
	v_add_co_ci_u32_e32 v15, vcc_lo, 0, v16, vcc_lo
	s_delay_alu instid0(VALU_DEP_2) | instskip(NEXT) | instid1(VALU_DEP_2)
	v_add_co_u32 v10, vcc_lo, v12, v10
	v_add_co_ci_u32_e32 v10, vcc_lo, v15, v17, vcc_lo
	v_add_co_ci_u32_e32 v12, vcc_lo, 0, v18, vcc_lo
	v_add_co_u32 v15, vcc_lo, v13, v20
	v_add_co_ci_u32_e32 v14, vcc_lo, v14, v20, vcc_lo
	s_delay_alu instid0(VALU_DEP_4) | instskip(NEXT) | instid1(VALU_DEP_4)
	v_add_co_u32 v8, vcc_lo, v10, v8
	v_add_co_ci_u32_e32 v10, vcc_lo, 0, v12, vcc_lo
	s_delay_alu instid0(VALU_DEP_4) | instskip(NEXT) | instid1(VALU_DEP_3)
	v_xor_b32_e32 v12, v15, v20
	v_add_co_u32 v3, vcc_lo, v3, v8
	s_delay_alu instid0(VALU_DEP_3) | instskip(SKIP_1) | instid1(VALU_DEP_3)
	v_add_co_ci_u32_e32 v5, vcc_lo, v5, v10, vcc_lo
	v_xor_b32_e32 v8, v14, v20
	v_mul_hi_u32 v10, v12, v3
	s_delay_alu instid0(VALU_DEP_3) | instskip(NEXT) | instid1(VALU_DEP_3)
	v_mad_u64_u32 v[14:15], null, v12, v5, 0
	v_mad_u64_u32 v[16:17], null, v8, v3, 0
	;; [unrolled: 1-line block ×3, first 2 shown]
	s_delay_alu instid0(VALU_DEP_3) | instskip(NEXT) | instid1(VALU_DEP_4)
	v_add_co_u32 v3, vcc_lo, v10, v14
	v_add_co_ci_u32_e32 v5, vcc_lo, 0, v15, vcc_lo
	s_delay_alu instid0(VALU_DEP_2) | instskip(NEXT) | instid1(VALU_DEP_2)
	v_add_co_u32 v3, vcc_lo, v3, v16
	v_add_co_ci_u32_e32 v3, vcc_lo, v5, v17, vcc_lo
	v_add_co_ci_u32_e32 v5, vcc_lo, 0, v19, vcc_lo
	s_delay_alu instid0(VALU_DEP_2) | instskip(NEXT) | instid1(VALU_DEP_2)
	v_add_co_u32 v3, vcc_lo, v3, v18
	v_add_co_ci_u32_e32 v5, vcc_lo, 0, v5, vcc_lo
	s_delay_alu instid0(VALU_DEP_2) | instskip(SKIP_1) | instid1(VALU_DEP_3)
	v_mul_lo_u32 v10, s23, v3
	v_mad_u64_u32 v[14:15], null, s22, v3, 0
	v_mul_lo_u32 v16, s22, v5
	s_delay_alu instid0(VALU_DEP_2) | instskip(NEXT) | instid1(VALU_DEP_2)
	v_sub_co_u32 v12, vcc_lo, v12, v14
	v_add3_u32 v10, v15, v16, v10
	s_delay_alu instid0(VALU_DEP_1) | instskip(NEXT) | instid1(VALU_DEP_1)
	v_sub_nc_u32_e32 v15, v8, v10
	v_subrev_co_ci_u32_e64 v14, s0, s23, v15, vcc_lo
	v_add_co_u32 v15, s0, v3, 2
	s_delay_alu instid0(VALU_DEP_1) | instskip(SKIP_3) | instid1(VALU_DEP_3)
	v_add_co_ci_u32_e64 v16, s0, 0, v5, s0
	v_sub_co_u32 v17, s0, v12, s22
	v_sub_co_ci_u32_e32 v8, vcc_lo, v8, v10, vcc_lo
	v_subrev_co_ci_u32_e64 v14, s0, 0, v14, s0
	v_cmp_le_u32_e32 vcc_lo, s22, v17
	s_delay_alu instid0(VALU_DEP_3) | instskip(SKIP_1) | instid1(VALU_DEP_4)
	v_cmp_eq_u32_e64 s0, s23, v8
	v_cndmask_b32_e64 v10, 0, -1, vcc_lo
	v_cmp_le_u32_e32 vcc_lo, s23, v14
	v_cndmask_b32_e64 v17, 0, -1, vcc_lo
	v_cmp_le_u32_e32 vcc_lo, s22, v12
	;; [unrolled: 2-line block ×3, first 2 shown]
	v_cndmask_b32_e64 v18, 0, -1, vcc_lo
	v_cmp_eq_u32_e32 vcc_lo, s23, v14
	s_delay_alu instid0(VALU_DEP_2) | instskip(SKIP_3) | instid1(VALU_DEP_3)
	v_cndmask_b32_e64 v8, v18, v12, s0
	v_cndmask_b32_e32 v10, v17, v10, vcc_lo
	v_add_co_u32 v14, vcc_lo, v3, 1
	v_add_co_ci_u32_e32 v17, vcc_lo, 0, v5, vcc_lo
	v_cmp_ne_u32_e32 vcc_lo, 0, v10
	s_delay_alu instid0(VALU_DEP_2) | instskip(NEXT) | instid1(VALU_DEP_4)
	v_cndmask_b32_e32 v10, v17, v16, vcc_lo
	v_cndmask_b32_e32 v12, v14, v15, vcc_lo
	v_cmp_ne_u32_e32 vcc_lo, 0, v8
	v_xor_b32_e32 v8, s20, v20
	s_delay_alu instid0(VALU_DEP_4) | instskip(NEXT) | instid1(VALU_DEP_4)
	v_cndmask_b32_e32 v5, v5, v10, vcc_lo
	v_cndmask_b32_e32 v3, v3, v12, vcc_lo
	v_xor_b32_e32 v10, s21, v20
	s_delay_alu instid0(VALU_DEP_2) | instskip(NEXT) | instid1(VALU_DEP_2)
	v_xor_b32_e32 v3, v3, v8
	v_xor_b32_e32 v5, v5, v10
	s_delay_alu instid0(VALU_DEP_2) | instskip(NEXT) | instid1(VALU_DEP_2)
	v_sub_co_u32 v15, vcc_lo, v3, v8
	v_sub_co_ci_u32_e32 v16, vcc_lo, v5, v10, vcc_lo
.LBB16_38:                              ;   in Loop: Header=BB16_24 Depth=2
	s_and_not1_saveexec_b32 s0, s14
	s_cbranch_execz .LBB16_40
; %bb.39:                               ;   in Loop: Header=BB16_24 Depth=2
	v_cvt_f32_u32_e32 v3, s47
	s_sub_i32 s14, 0, s47
	v_mov_b32_e32 v16, v2
	s_delay_alu instid0(VALU_DEP_2) | instskip(SKIP_2) | instid1(VALU_DEP_1)
	v_rcp_iflag_f32_e32 v3, v3
	s_waitcnt_depctr 0xfff
	v_mul_f32_e32 v3, 0x4f7ffffe, v3
	v_cvt_u32_f32_e32 v3, v3
	s_delay_alu instid0(VALU_DEP_1) | instskip(NEXT) | instid1(VALU_DEP_1)
	v_mul_lo_u32 v5, s14, v3
	v_mul_hi_u32 v5, v3, v5
	s_delay_alu instid0(VALU_DEP_1) | instskip(NEXT) | instid1(VALU_DEP_1)
	v_add_nc_u32_e32 v3, v3, v5
	v_mul_hi_u32 v3, v13, v3
	s_delay_alu instid0(VALU_DEP_1) | instskip(NEXT) | instid1(VALU_DEP_1)
	v_mul_lo_u32 v5, v3, s47
	v_sub_nc_u32_e32 v5, v13, v5
	s_delay_alu instid0(VALU_DEP_1) | instskip(SKIP_1) | instid1(VALU_DEP_2)
	v_subrev_nc_u32_e32 v10, s47, v5
	v_cmp_le_u32_e32 vcc_lo, s47, v5
	v_dual_cndmask_b32 v5, v5, v10 :: v_dual_add_nc_u32 v8, 1, v3
	s_delay_alu instid0(VALU_DEP_1) | instskip(NEXT) | instid1(VALU_DEP_2)
	v_cndmask_b32_e32 v3, v3, v8, vcc_lo
	v_cmp_le_u32_e32 vcc_lo, s47, v5
	s_delay_alu instid0(VALU_DEP_2) | instskip(NEXT) | instid1(VALU_DEP_1)
	v_add_nc_u32_e32 v8, 1, v3
	v_cndmask_b32_e32 v15, v3, v8, vcc_lo
.LBB16_40:                              ;   in Loop: Header=BB16_24 Depth=2
	s_or_b32 exec_lo, exec_lo, s0
	s_add_u32 s20, s30, s18
	s_addc_u32 s21, s1, s19
	s_add_i32 s14, s16, 3
                                        ; implicit-def: $vgpr17_vgpr18
	s_delay_alu instid0(SALU_CYCLE_1)
	s_lshl_b64 s[18:19], s[14:15], 2
	s_mov_b32 s14, exec_lo
	s_add_u32 s22, s26, s18
	s_addc_u32 s23, s27, s19
	s_clause 0x1
	s_load_b32 s49, s[22:23], 0x0
	s_load_b32 s48, s[20:21], 0x0
	s_waitcnt lgkmcnt(0)
	s_ashr_i32 s0, s49, 31
	s_delay_alu instid0(SALU_CYCLE_1) | instskip(NEXT) | instid1(VALU_DEP_1)
	v_or_b32_e32 v3, s0, v16
	v_cmpx_ne_u64_e32 0, v[2:3]
	s_xor_b32 s14, exec_lo, s14
	s_cbranch_execz .LBB16_42
; %bb.41:                               ;   in Loop: Header=BB16_24 Depth=2
	s_add_u32 s22, s49, s0
	s_mov_b32 s20, s0
	s_mov_b32 s21, s0
	s_addc_u32 s23, s0, s0
	v_ashrrev_i32_e32 v22, 31, v16
	s_xor_b64 s[22:23], s[22:23], s[20:21]
	s_delay_alu instid0(SALU_CYCLE_1) | instskip(SKIP_3) | instid1(VALU_DEP_1)
	v_cvt_f32_u32_e32 v3, s22
	v_cvt_f32_u32_e32 v5, s23
	s_sub_u32 s0, 0, s22
	s_subb_u32 s17, 0, s23
	v_fmac_f32_e32 v3, 0x4f800000, v5
	s_delay_alu instid0(VALU_DEP_1) | instskip(SKIP_2) | instid1(VALU_DEP_1)
	v_rcp_f32_e32 v3, v3
	s_waitcnt_depctr 0xfff
	v_mul_f32_e32 v3, 0x5f7ffffc, v3
	v_mul_f32_e32 v5, 0x2f800000, v3
	s_delay_alu instid0(VALU_DEP_1) | instskip(NEXT) | instid1(VALU_DEP_1)
	v_trunc_f32_e32 v5, v5
	v_fmac_f32_e32 v3, 0xcf800000, v5
	v_cvt_u32_f32_e32 v5, v5
	s_delay_alu instid0(VALU_DEP_2) | instskip(NEXT) | instid1(VALU_DEP_2)
	v_cvt_u32_f32_e32 v3, v3
	v_mul_lo_u32 v8, s0, v5
	s_delay_alu instid0(VALU_DEP_2) | instskip(SKIP_1) | instid1(VALU_DEP_2)
	v_mul_hi_u32 v10, s0, v3
	v_mul_lo_u32 v12, s17, v3
	v_add_nc_u32_e32 v8, v10, v8
	v_mul_lo_u32 v10, s0, v3
	s_delay_alu instid0(VALU_DEP_2) | instskip(NEXT) | instid1(VALU_DEP_2)
	v_add_nc_u32_e32 v8, v8, v12
	v_mul_hi_u32 v12, v3, v10
	s_delay_alu instid0(VALU_DEP_2)
	v_mul_lo_u32 v14, v3, v8
	v_mul_hi_u32 v17, v3, v8
	v_mul_hi_u32 v18, v5, v10
	v_mul_lo_u32 v10, v5, v10
	v_mul_hi_u32 v19, v5, v8
	v_mul_lo_u32 v8, v5, v8
	v_add_co_u32 v12, vcc_lo, v12, v14
	v_add_co_ci_u32_e32 v14, vcc_lo, 0, v17, vcc_lo
	s_delay_alu instid0(VALU_DEP_2) | instskip(NEXT) | instid1(VALU_DEP_2)
	v_add_co_u32 v10, vcc_lo, v12, v10
	v_add_co_ci_u32_e32 v10, vcc_lo, v14, v18, vcc_lo
	v_add_co_ci_u32_e32 v12, vcc_lo, 0, v19, vcc_lo
	s_delay_alu instid0(VALU_DEP_2) | instskip(NEXT) | instid1(VALU_DEP_2)
	v_add_co_u32 v8, vcc_lo, v10, v8
	v_add_co_ci_u32_e32 v10, vcc_lo, 0, v12, vcc_lo
	s_delay_alu instid0(VALU_DEP_2) | instskip(NEXT) | instid1(VALU_DEP_2)
	v_add_co_u32 v3, vcc_lo, v3, v8
	v_add_co_ci_u32_e32 v5, vcc_lo, v5, v10, vcc_lo
	s_delay_alu instid0(VALU_DEP_2) | instskip(SKIP_1) | instid1(VALU_DEP_3)
	v_mul_hi_u32 v8, s0, v3
	v_mul_lo_u32 v12, s17, v3
	v_mul_lo_u32 v10, s0, v5
	s_delay_alu instid0(VALU_DEP_1) | instskip(SKIP_1) | instid1(VALU_DEP_2)
	v_add_nc_u32_e32 v8, v8, v10
	v_mul_lo_u32 v10, s0, v3
	v_add_nc_u32_e32 v8, v8, v12
	s_delay_alu instid0(VALU_DEP_2) | instskip(NEXT) | instid1(VALU_DEP_2)
	v_mul_hi_u32 v12, v3, v10
	v_mul_lo_u32 v14, v3, v8
	v_mul_hi_u32 v17, v3, v8
	v_mul_hi_u32 v18, v5, v10
	v_mul_lo_u32 v10, v5, v10
	v_mul_hi_u32 v19, v5, v8
	v_mul_lo_u32 v8, v5, v8
	v_add_co_u32 v12, vcc_lo, v12, v14
	v_add_co_ci_u32_e32 v14, vcc_lo, 0, v17, vcc_lo
	s_delay_alu instid0(VALU_DEP_2) | instskip(NEXT) | instid1(VALU_DEP_2)
	v_add_co_u32 v10, vcc_lo, v12, v10
	v_add_co_ci_u32_e32 v10, vcc_lo, v14, v18, vcc_lo
	v_add_co_ci_u32_e32 v12, vcc_lo, 0, v19, vcc_lo
	v_add_co_u32 v14, vcc_lo, v15, v22
	v_add_co_ci_u32_e32 v16, vcc_lo, v16, v22, vcc_lo
	s_delay_alu instid0(VALU_DEP_4) | instskip(NEXT) | instid1(VALU_DEP_4)
	v_add_co_u32 v8, vcc_lo, v10, v8
	v_add_co_ci_u32_e32 v10, vcc_lo, 0, v12, vcc_lo
	s_delay_alu instid0(VALU_DEP_4) | instskip(NEXT) | instid1(VALU_DEP_3)
	v_xor_b32_e32 v12, v14, v22
	v_add_co_u32 v3, vcc_lo, v3, v8
	s_delay_alu instid0(VALU_DEP_3) | instskip(SKIP_1) | instid1(VALU_DEP_3)
	v_add_co_ci_u32_e32 v5, vcc_lo, v5, v10, vcc_lo
	v_xor_b32_e32 v8, v16, v22
	v_mul_hi_u32 v10, v12, v3
	s_delay_alu instid0(VALU_DEP_3) | instskip(NEXT) | instid1(VALU_DEP_3)
	v_mad_u64_u32 v[16:17], null, v12, v5, 0
	v_mad_u64_u32 v[18:19], null, v8, v3, 0
	;; [unrolled: 1-line block ×3, first 2 shown]
	s_delay_alu instid0(VALU_DEP_3) | instskip(NEXT) | instid1(VALU_DEP_4)
	v_add_co_u32 v3, vcc_lo, v10, v16
	v_add_co_ci_u32_e32 v5, vcc_lo, 0, v17, vcc_lo
	s_delay_alu instid0(VALU_DEP_2) | instskip(NEXT) | instid1(VALU_DEP_2)
	v_add_co_u32 v3, vcc_lo, v3, v18
	v_add_co_ci_u32_e32 v3, vcc_lo, v5, v19, vcc_lo
	v_add_co_ci_u32_e32 v5, vcc_lo, 0, v21, vcc_lo
	s_delay_alu instid0(VALU_DEP_2) | instskip(NEXT) | instid1(VALU_DEP_2)
	v_add_co_u32 v3, vcc_lo, v3, v20
	v_add_co_ci_u32_e32 v5, vcc_lo, 0, v5, vcc_lo
	s_delay_alu instid0(VALU_DEP_2) | instskip(SKIP_1) | instid1(VALU_DEP_3)
	v_mul_lo_u32 v10, s23, v3
	v_mad_u64_u32 v[16:17], null, s22, v3, 0
	v_mul_lo_u32 v14, s22, v5
	s_delay_alu instid0(VALU_DEP_2) | instskip(NEXT) | instid1(VALU_DEP_2)
	v_sub_co_u32 v12, vcc_lo, v12, v16
	v_add3_u32 v10, v17, v14, v10
	s_delay_alu instid0(VALU_DEP_1) | instskip(NEXT) | instid1(VALU_DEP_1)
	v_sub_nc_u32_e32 v14, v8, v10
	v_subrev_co_ci_u32_e64 v14, s0, s23, v14, vcc_lo
	v_add_co_u32 v16, s0, v3, 2
	s_delay_alu instid0(VALU_DEP_1) | instskip(SKIP_3) | instid1(VALU_DEP_3)
	v_add_co_ci_u32_e64 v17, s0, 0, v5, s0
	v_sub_co_u32 v18, s0, v12, s22
	v_sub_co_ci_u32_e32 v8, vcc_lo, v8, v10, vcc_lo
	v_subrev_co_ci_u32_e64 v14, s0, 0, v14, s0
	v_cmp_le_u32_e32 vcc_lo, s22, v18
	s_delay_alu instid0(VALU_DEP_3) | instskip(SKIP_1) | instid1(VALU_DEP_4)
	v_cmp_eq_u32_e64 s0, s23, v8
	v_cndmask_b32_e64 v10, 0, -1, vcc_lo
	v_cmp_le_u32_e32 vcc_lo, s23, v14
	v_cndmask_b32_e64 v18, 0, -1, vcc_lo
	v_cmp_le_u32_e32 vcc_lo, s22, v12
	;; [unrolled: 2-line block ×3, first 2 shown]
	v_cndmask_b32_e64 v19, 0, -1, vcc_lo
	v_cmp_eq_u32_e32 vcc_lo, s23, v14
	s_delay_alu instid0(VALU_DEP_2) | instskip(SKIP_3) | instid1(VALU_DEP_3)
	v_cndmask_b32_e64 v8, v19, v12, s0
	v_cndmask_b32_e32 v10, v18, v10, vcc_lo
	v_add_co_u32 v14, vcc_lo, v3, 1
	v_add_co_ci_u32_e32 v18, vcc_lo, 0, v5, vcc_lo
	v_cmp_ne_u32_e32 vcc_lo, 0, v10
	s_delay_alu instid0(VALU_DEP_2) | instskip(NEXT) | instid1(VALU_DEP_4)
	v_cndmask_b32_e32 v10, v18, v17, vcc_lo
	v_cndmask_b32_e32 v12, v14, v16, vcc_lo
	v_cmp_ne_u32_e32 vcc_lo, 0, v8
	v_xor_b32_e32 v8, s20, v22
	s_delay_alu instid0(VALU_DEP_4) | instskip(NEXT) | instid1(VALU_DEP_4)
	v_cndmask_b32_e32 v5, v5, v10, vcc_lo
	v_cndmask_b32_e32 v3, v3, v12, vcc_lo
	v_xor_b32_e32 v10, s21, v22
	s_delay_alu instid0(VALU_DEP_2) | instskip(NEXT) | instid1(VALU_DEP_2)
	v_xor_b32_e32 v3, v3, v8
	v_xor_b32_e32 v5, v5, v10
	s_delay_alu instid0(VALU_DEP_2) | instskip(NEXT) | instid1(VALU_DEP_2)
	v_sub_co_u32 v17, vcc_lo, v3, v8
	v_sub_co_ci_u32_e32 v18, vcc_lo, v5, v10, vcc_lo
.LBB16_42:                              ;   in Loop: Header=BB16_24 Depth=2
	s_and_not1_saveexec_b32 s0, s14
	s_cbranch_execz .LBB16_44
; %bb.43:                               ;   in Loop: Header=BB16_24 Depth=2
	v_cvt_f32_u32_e32 v3, s49
	s_sub_i32 s14, 0, s49
	v_mov_b32_e32 v18, v2
	s_delay_alu instid0(VALU_DEP_2) | instskip(SKIP_2) | instid1(VALU_DEP_1)
	v_rcp_iflag_f32_e32 v3, v3
	s_waitcnt_depctr 0xfff
	v_mul_f32_e32 v3, 0x4f7ffffe, v3
	v_cvt_u32_f32_e32 v3, v3
	s_delay_alu instid0(VALU_DEP_1) | instskip(NEXT) | instid1(VALU_DEP_1)
	v_mul_lo_u32 v5, s14, v3
	v_mul_hi_u32 v5, v3, v5
	s_delay_alu instid0(VALU_DEP_1) | instskip(NEXT) | instid1(VALU_DEP_1)
	v_add_nc_u32_e32 v3, v3, v5
	v_mul_hi_u32 v3, v15, v3
	s_delay_alu instid0(VALU_DEP_1) | instskip(NEXT) | instid1(VALU_DEP_1)
	v_mul_lo_u32 v5, v3, s49
	v_sub_nc_u32_e32 v5, v15, v5
	s_delay_alu instid0(VALU_DEP_1) | instskip(SKIP_1) | instid1(VALU_DEP_2)
	v_subrev_nc_u32_e32 v10, s49, v5
	v_cmp_le_u32_e32 vcc_lo, s49, v5
	v_dual_cndmask_b32 v5, v5, v10 :: v_dual_add_nc_u32 v8, 1, v3
	s_delay_alu instid0(VALU_DEP_1) | instskip(NEXT) | instid1(VALU_DEP_2)
	v_cndmask_b32_e32 v3, v3, v8, vcc_lo
	v_cmp_le_u32_e32 vcc_lo, s49, v5
	s_delay_alu instid0(VALU_DEP_2) | instskip(NEXT) | instid1(VALU_DEP_1)
	v_add_nc_u32_e32 v8, 1, v3
	v_cndmask_b32_e32 v17, v3, v8, vcc_lo
.LBB16_44:                              ;   in Loop: Header=BB16_24 Depth=2
	s_or_b32 exec_lo, exec_lo, s0
	s_add_u32 s20, s30, s18
	s_addc_u32 s21, s1, s19
	s_add_i32 s14, s16, 2
                                        ; implicit-def: $vgpr19_vgpr20
	s_delay_alu instid0(SALU_CYCLE_1)
	s_lshl_b64 s[18:19], s[14:15], 2
	s_mov_b32 s14, exec_lo
	s_add_u32 s22, s26, s18
	s_addc_u32 s23, s27, s19
	s_clause 0x1
	s_load_b32 s51, s[22:23], 0x0
	s_load_b32 s50, s[20:21], 0x0
	s_waitcnt lgkmcnt(0)
	s_ashr_i32 s0, s51, 31
	s_delay_alu instid0(SALU_CYCLE_1) | instskip(NEXT) | instid1(VALU_DEP_1)
	v_or_b32_e32 v3, s0, v18
	v_cmpx_ne_u64_e32 0, v[2:3]
	s_xor_b32 s14, exec_lo, s14
	s_cbranch_execz .LBB16_46
; %bb.45:                               ;   in Loop: Header=BB16_24 Depth=2
	s_add_u32 s22, s51, s0
	s_mov_b32 s20, s0
	s_mov_b32 s21, s0
	s_addc_u32 s23, s0, s0
	v_ashrrev_i32_e32 v24, 31, v18
	s_xor_b64 s[22:23], s[22:23], s[20:21]
	s_delay_alu instid0(SALU_CYCLE_1) | instskip(SKIP_3) | instid1(VALU_DEP_1)
	v_cvt_f32_u32_e32 v3, s22
	v_cvt_f32_u32_e32 v5, s23
	s_sub_u32 s0, 0, s22
	s_subb_u32 s17, 0, s23
	v_fmac_f32_e32 v3, 0x4f800000, v5
	s_delay_alu instid0(VALU_DEP_1) | instskip(SKIP_2) | instid1(VALU_DEP_1)
	v_rcp_f32_e32 v3, v3
	s_waitcnt_depctr 0xfff
	v_mul_f32_e32 v3, 0x5f7ffffc, v3
	v_mul_f32_e32 v5, 0x2f800000, v3
	s_delay_alu instid0(VALU_DEP_1) | instskip(NEXT) | instid1(VALU_DEP_1)
	v_trunc_f32_e32 v5, v5
	v_fmac_f32_e32 v3, 0xcf800000, v5
	v_cvt_u32_f32_e32 v5, v5
	s_delay_alu instid0(VALU_DEP_2) | instskip(NEXT) | instid1(VALU_DEP_2)
	v_cvt_u32_f32_e32 v3, v3
	v_mul_lo_u32 v8, s0, v5
	s_delay_alu instid0(VALU_DEP_2) | instskip(SKIP_1) | instid1(VALU_DEP_2)
	v_mul_hi_u32 v10, s0, v3
	v_mul_lo_u32 v12, s17, v3
	v_add_nc_u32_e32 v8, v10, v8
	v_mul_lo_u32 v10, s0, v3
	s_delay_alu instid0(VALU_DEP_2) | instskip(NEXT) | instid1(VALU_DEP_2)
	v_add_nc_u32_e32 v8, v8, v12
	v_mul_hi_u32 v12, v3, v10
	s_delay_alu instid0(VALU_DEP_2)
	v_mul_lo_u32 v14, v3, v8
	v_mul_hi_u32 v16, v3, v8
	v_mul_hi_u32 v19, v5, v10
	v_mul_lo_u32 v10, v5, v10
	v_mul_hi_u32 v20, v5, v8
	v_mul_lo_u32 v8, v5, v8
	v_add_co_u32 v12, vcc_lo, v12, v14
	v_add_co_ci_u32_e32 v14, vcc_lo, 0, v16, vcc_lo
	s_delay_alu instid0(VALU_DEP_2) | instskip(NEXT) | instid1(VALU_DEP_2)
	v_add_co_u32 v10, vcc_lo, v12, v10
	v_add_co_ci_u32_e32 v10, vcc_lo, v14, v19, vcc_lo
	v_add_co_ci_u32_e32 v12, vcc_lo, 0, v20, vcc_lo
	s_delay_alu instid0(VALU_DEP_2) | instskip(NEXT) | instid1(VALU_DEP_2)
	v_add_co_u32 v8, vcc_lo, v10, v8
	v_add_co_ci_u32_e32 v10, vcc_lo, 0, v12, vcc_lo
	s_delay_alu instid0(VALU_DEP_2) | instskip(NEXT) | instid1(VALU_DEP_2)
	v_add_co_u32 v3, vcc_lo, v3, v8
	v_add_co_ci_u32_e32 v5, vcc_lo, v5, v10, vcc_lo
	s_delay_alu instid0(VALU_DEP_2) | instskip(SKIP_1) | instid1(VALU_DEP_3)
	v_mul_hi_u32 v8, s0, v3
	v_mul_lo_u32 v12, s17, v3
	v_mul_lo_u32 v10, s0, v5
	s_delay_alu instid0(VALU_DEP_1) | instskip(SKIP_1) | instid1(VALU_DEP_2)
	v_add_nc_u32_e32 v8, v8, v10
	v_mul_lo_u32 v10, s0, v3
	v_add_nc_u32_e32 v8, v8, v12
	s_delay_alu instid0(VALU_DEP_2) | instskip(NEXT) | instid1(VALU_DEP_2)
	v_mul_hi_u32 v12, v3, v10
	v_mul_lo_u32 v14, v3, v8
	v_mul_hi_u32 v16, v3, v8
	v_mul_hi_u32 v19, v5, v10
	v_mul_lo_u32 v10, v5, v10
	v_mul_hi_u32 v20, v5, v8
	v_mul_lo_u32 v8, v5, v8
	v_add_co_u32 v12, vcc_lo, v12, v14
	v_add_co_ci_u32_e32 v14, vcc_lo, 0, v16, vcc_lo
	s_delay_alu instid0(VALU_DEP_2) | instskip(NEXT) | instid1(VALU_DEP_2)
	v_add_co_u32 v10, vcc_lo, v12, v10
	v_add_co_ci_u32_e32 v10, vcc_lo, v14, v19, vcc_lo
	v_add_co_ci_u32_e32 v12, vcc_lo, 0, v20, vcc_lo
	v_add_co_u32 v14, vcc_lo, v17, v24
	v_add_co_ci_u32_e32 v16, vcc_lo, v18, v24, vcc_lo
	s_delay_alu instid0(VALU_DEP_4) | instskip(NEXT) | instid1(VALU_DEP_4)
	v_add_co_u32 v8, vcc_lo, v10, v8
	v_add_co_ci_u32_e32 v10, vcc_lo, 0, v12, vcc_lo
	s_delay_alu instid0(VALU_DEP_4) | instskip(NEXT) | instid1(VALU_DEP_3)
	v_xor_b32_e32 v12, v14, v24
	v_add_co_u32 v3, vcc_lo, v3, v8
	s_delay_alu instid0(VALU_DEP_3) | instskip(SKIP_1) | instid1(VALU_DEP_3)
	v_add_co_ci_u32_e32 v5, vcc_lo, v5, v10, vcc_lo
	v_xor_b32_e32 v8, v16, v24
	v_mul_hi_u32 v10, v12, v3
	s_delay_alu instid0(VALU_DEP_3) | instskip(NEXT) | instid1(VALU_DEP_3)
	v_mad_u64_u32 v[18:19], null, v12, v5, 0
	v_mad_u64_u32 v[20:21], null, v8, v3, 0
	;; [unrolled: 1-line block ×3, first 2 shown]
	s_delay_alu instid0(VALU_DEP_3) | instskip(NEXT) | instid1(VALU_DEP_4)
	v_add_co_u32 v3, vcc_lo, v10, v18
	v_add_co_ci_u32_e32 v5, vcc_lo, 0, v19, vcc_lo
	s_delay_alu instid0(VALU_DEP_2) | instskip(NEXT) | instid1(VALU_DEP_2)
	v_add_co_u32 v3, vcc_lo, v3, v20
	v_add_co_ci_u32_e32 v3, vcc_lo, v5, v21, vcc_lo
	v_add_co_ci_u32_e32 v5, vcc_lo, 0, v23, vcc_lo
	s_delay_alu instid0(VALU_DEP_2) | instskip(NEXT) | instid1(VALU_DEP_2)
	v_add_co_u32 v3, vcc_lo, v3, v22
	v_add_co_ci_u32_e32 v5, vcc_lo, 0, v5, vcc_lo
	s_delay_alu instid0(VALU_DEP_2) | instskip(SKIP_1) | instid1(VALU_DEP_3)
	v_mul_lo_u32 v10, s23, v3
	v_mad_u64_u32 v[18:19], null, s22, v3, 0
	v_mul_lo_u32 v14, s22, v5
	s_delay_alu instid0(VALU_DEP_2) | instskip(NEXT) | instid1(VALU_DEP_2)
	v_sub_co_u32 v12, vcc_lo, v12, v18
	v_add3_u32 v10, v19, v14, v10
	s_delay_alu instid0(VALU_DEP_1) | instskip(NEXT) | instid1(VALU_DEP_1)
	v_sub_nc_u32_e32 v14, v8, v10
	v_subrev_co_ci_u32_e64 v14, s0, s23, v14, vcc_lo
	v_add_co_u32 v16, s0, v3, 2
	s_delay_alu instid0(VALU_DEP_1) | instskip(SKIP_3) | instid1(VALU_DEP_3)
	v_add_co_ci_u32_e64 v18, s0, 0, v5, s0
	v_sub_co_u32 v19, s0, v12, s22
	v_sub_co_ci_u32_e32 v8, vcc_lo, v8, v10, vcc_lo
	v_subrev_co_ci_u32_e64 v14, s0, 0, v14, s0
	v_cmp_le_u32_e32 vcc_lo, s22, v19
	s_delay_alu instid0(VALU_DEP_3) | instskip(SKIP_1) | instid1(VALU_DEP_4)
	v_cmp_eq_u32_e64 s0, s23, v8
	v_cndmask_b32_e64 v10, 0, -1, vcc_lo
	v_cmp_le_u32_e32 vcc_lo, s23, v14
	v_cndmask_b32_e64 v19, 0, -1, vcc_lo
	v_cmp_le_u32_e32 vcc_lo, s22, v12
	;; [unrolled: 2-line block ×3, first 2 shown]
	v_cndmask_b32_e64 v20, 0, -1, vcc_lo
	v_cmp_eq_u32_e32 vcc_lo, s23, v14
	s_delay_alu instid0(VALU_DEP_2) | instskip(SKIP_3) | instid1(VALU_DEP_3)
	v_cndmask_b32_e64 v8, v20, v12, s0
	v_cndmask_b32_e32 v10, v19, v10, vcc_lo
	v_add_co_u32 v14, vcc_lo, v3, 1
	v_add_co_ci_u32_e32 v19, vcc_lo, 0, v5, vcc_lo
	v_cmp_ne_u32_e32 vcc_lo, 0, v10
	s_delay_alu instid0(VALU_DEP_2) | instskip(NEXT) | instid1(VALU_DEP_4)
	v_cndmask_b32_e32 v10, v19, v18, vcc_lo
	v_cndmask_b32_e32 v12, v14, v16, vcc_lo
	v_cmp_ne_u32_e32 vcc_lo, 0, v8
	v_xor_b32_e32 v8, s20, v24
	s_delay_alu instid0(VALU_DEP_4) | instskip(NEXT) | instid1(VALU_DEP_4)
	v_cndmask_b32_e32 v5, v5, v10, vcc_lo
	v_cndmask_b32_e32 v3, v3, v12, vcc_lo
	v_xor_b32_e32 v10, s21, v24
	s_delay_alu instid0(VALU_DEP_2) | instskip(NEXT) | instid1(VALU_DEP_2)
	v_xor_b32_e32 v3, v3, v8
	v_xor_b32_e32 v5, v5, v10
	s_delay_alu instid0(VALU_DEP_2) | instskip(NEXT) | instid1(VALU_DEP_2)
	v_sub_co_u32 v19, vcc_lo, v3, v8
	v_sub_co_ci_u32_e32 v20, vcc_lo, v5, v10, vcc_lo
.LBB16_46:                              ;   in Loop: Header=BB16_24 Depth=2
	s_and_not1_saveexec_b32 s0, s14
	s_cbranch_execz .LBB16_48
; %bb.47:                               ;   in Loop: Header=BB16_24 Depth=2
	v_cvt_f32_u32_e32 v3, s51
	s_sub_i32 s14, 0, s51
	v_mov_b32_e32 v20, v2
	s_delay_alu instid0(VALU_DEP_2) | instskip(SKIP_2) | instid1(VALU_DEP_1)
	v_rcp_iflag_f32_e32 v3, v3
	s_waitcnt_depctr 0xfff
	v_mul_f32_e32 v3, 0x4f7ffffe, v3
	v_cvt_u32_f32_e32 v3, v3
	s_delay_alu instid0(VALU_DEP_1) | instskip(NEXT) | instid1(VALU_DEP_1)
	v_mul_lo_u32 v5, s14, v3
	v_mul_hi_u32 v5, v3, v5
	s_delay_alu instid0(VALU_DEP_1) | instskip(NEXT) | instid1(VALU_DEP_1)
	v_add_nc_u32_e32 v3, v3, v5
	v_mul_hi_u32 v3, v17, v3
	s_delay_alu instid0(VALU_DEP_1) | instskip(NEXT) | instid1(VALU_DEP_1)
	v_mul_lo_u32 v5, v3, s51
	v_sub_nc_u32_e32 v5, v17, v5
	s_delay_alu instid0(VALU_DEP_1) | instskip(SKIP_1) | instid1(VALU_DEP_2)
	v_subrev_nc_u32_e32 v10, s51, v5
	v_cmp_le_u32_e32 vcc_lo, s51, v5
	v_dual_cndmask_b32 v5, v5, v10 :: v_dual_add_nc_u32 v8, 1, v3
	s_delay_alu instid0(VALU_DEP_1) | instskip(NEXT) | instid1(VALU_DEP_2)
	v_cndmask_b32_e32 v3, v3, v8, vcc_lo
	v_cmp_le_u32_e32 vcc_lo, s51, v5
	s_delay_alu instid0(VALU_DEP_2) | instskip(NEXT) | instid1(VALU_DEP_1)
	v_add_nc_u32_e32 v8, 1, v3
	v_cndmask_b32_e32 v19, v3, v8, vcc_lo
.LBB16_48:                              ;   in Loop: Header=BB16_24 Depth=2
	s_or_b32 exec_lo, exec_lo, s0
	s_add_u32 s20, s30, s18
	s_addc_u32 s21, s1, s19
	s_add_i32 s14, s16, 1
	s_mov_b32 s17, exec_lo
	s_lshl_b64 s[18:19], s[14:15], 2
                                        ; implicit-def: $vgpr21_vgpr22
	s_delay_alu instid0(SALU_CYCLE_1)
	s_add_u32 s22, s26, s18
	s_addc_u32 s23, s27, s19
	s_clause 0x1
	s_load_b32 s52, s[22:23], 0x0
	s_load_b32 s14, s[20:21], 0x0
	s_waitcnt lgkmcnt(0)
	s_ashr_i32 s0, s52, 31
	s_delay_alu instid0(SALU_CYCLE_1) | instskip(NEXT) | instid1(VALU_DEP_1)
	v_or_b32_e32 v3, s0, v20
	v_cmpx_ne_u64_e32 0, v[2:3]
	s_xor_b32 s17, exec_lo, s17
	s_cbranch_execz .LBB16_50
; %bb.49:                               ;   in Loop: Header=BB16_24 Depth=2
	s_add_u32 s22, s52, s0
	s_mov_b32 s20, s0
	s_mov_b32 s21, s0
	s_addc_u32 s23, s0, s0
	s_delay_alu instid0(SALU_CYCLE_1) | instskip(NEXT) | instid1(SALU_CYCLE_1)
	s_xor_b64 s[22:23], s[22:23], s[20:21]
	v_cvt_f32_u32_e32 v3, s22
	v_cvt_f32_u32_e32 v5, s23
	s_sub_u32 s0, 0, s22
	s_subb_u32 s53, 0, s23
	s_delay_alu instid0(VALU_DEP_1) | instskip(NEXT) | instid1(VALU_DEP_1)
	v_fmac_f32_e32 v3, 0x4f800000, v5
	v_rcp_f32_e32 v3, v3
	s_waitcnt_depctr 0xfff
	v_mul_f32_e32 v3, 0x5f7ffffc, v3
	s_delay_alu instid0(VALU_DEP_1) | instskip(NEXT) | instid1(VALU_DEP_1)
	v_mul_f32_e32 v5, 0x2f800000, v3
	v_trunc_f32_e32 v5, v5
	s_delay_alu instid0(VALU_DEP_1) | instskip(SKIP_1) | instid1(VALU_DEP_2)
	v_fmac_f32_e32 v3, 0xcf800000, v5
	v_cvt_u32_f32_e32 v5, v5
	v_cvt_u32_f32_e32 v3, v3
	s_delay_alu instid0(VALU_DEP_2) | instskip(NEXT) | instid1(VALU_DEP_2)
	v_mul_lo_u32 v8, s0, v5
	v_mul_hi_u32 v10, s0, v3
	v_mul_lo_u32 v12, s53, v3
	s_delay_alu instid0(VALU_DEP_2) | instskip(SKIP_1) | instid1(VALU_DEP_2)
	v_add_nc_u32_e32 v8, v10, v8
	v_mul_lo_u32 v10, s0, v3
	v_add_nc_u32_e32 v8, v8, v12
	s_delay_alu instid0(VALU_DEP_2) | instskip(NEXT) | instid1(VALU_DEP_2)
	v_mul_hi_u32 v12, v3, v10
	v_mul_lo_u32 v14, v3, v8
	v_mul_hi_u32 v16, v3, v8
	v_mul_hi_u32 v18, v5, v10
	v_mul_lo_u32 v10, v5, v10
	v_mul_hi_u32 v21, v5, v8
	v_mul_lo_u32 v8, v5, v8
	v_add_co_u32 v12, vcc_lo, v12, v14
	v_add_co_ci_u32_e32 v14, vcc_lo, 0, v16, vcc_lo
	s_delay_alu instid0(VALU_DEP_2) | instskip(NEXT) | instid1(VALU_DEP_2)
	v_add_co_u32 v10, vcc_lo, v12, v10
	v_add_co_ci_u32_e32 v10, vcc_lo, v14, v18, vcc_lo
	v_add_co_ci_u32_e32 v12, vcc_lo, 0, v21, vcc_lo
	v_ashrrev_i32_e32 v18, 31, v20
	s_delay_alu instid0(VALU_DEP_3) | instskip(NEXT) | instid1(VALU_DEP_3)
	v_add_co_u32 v8, vcc_lo, v10, v8
	v_add_co_ci_u32_e32 v10, vcc_lo, 0, v12, vcc_lo
	s_delay_alu instid0(VALU_DEP_2) | instskip(NEXT) | instid1(VALU_DEP_2)
	v_add_co_u32 v3, vcc_lo, v3, v8
	v_add_co_ci_u32_e32 v5, vcc_lo, v5, v10, vcc_lo
	s_delay_alu instid0(VALU_DEP_2) | instskip(SKIP_1) | instid1(VALU_DEP_3)
	v_mul_hi_u32 v8, s0, v3
	v_mul_lo_u32 v12, s53, v3
	v_mul_lo_u32 v10, s0, v5
	s_delay_alu instid0(VALU_DEP_1) | instskip(SKIP_1) | instid1(VALU_DEP_2)
	v_add_nc_u32_e32 v8, v8, v10
	v_mul_lo_u32 v10, s0, v3
	v_add_nc_u32_e32 v8, v8, v12
	s_delay_alu instid0(VALU_DEP_2) | instskip(NEXT) | instid1(VALU_DEP_2)
	v_mul_hi_u32 v12, v3, v10
	v_mul_lo_u32 v14, v3, v8
	v_mul_hi_u32 v16, v3, v8
	v_mul_hi_u32 v21, v5, v10
	v_mul_lo_u32 v10, v5, v10
	v_mul_hi_u32 v22, v5, v8
	v_mul_lo_u32 v8, v5, v8
	v_add_co_u32 v12, vcc_lo, v12, v14
	v_add_co_ci_u32_e32 v14, vcc_lo, 0, v16, vcc_lo
	s_delay_alu instid0(VALU_DEP_2) | instskip(NEXT) | instid1(VALU_DEP_2)
	v_add_co_u32 v10, vcc_lo, v12, v10
	v_add_co_ci_u32_e32 v10, vcc_lo, v14, v21, vcc_lo
	v_add_co_ci_u32_e32 v12, vcc_lo, 0, v22, vcc_lo
	v_add_co_u32 v14, vcc_lo, v19, v18
	v_add_co_ci_u32_e32 v16, vcc_lo, v20, v18, vcc_lo
	s_delay_alu instid0(VALU_DEP_4) | instskip(NEXT) | instid1(VALU_DEP_4)
	v_add_co_u32 v8, vcc_lo, v10, v8
	v_add_co_ci_u32_e32 v10, vcc_lo, 0, v12, vcc_lo
	s_delay_alu instid0(VALU_DEP_4) | instskip(NEXT) | instid1(VALU_DEP_3)
	v_xor_b32_e32 v12, v14, v18
	v_add_co_u32 v3, vcc_lo, v3, v8
	s_delay_alu instid0(VALU_DEP_3) | instskip(SKIP_1) | instid1(VALU_DEP_3)
	v_add_co_ci_u32_e32 v5, vcc_lo, v5, v10, vcc_lo
	v_xor_b32_e32 v8, v16, v18
	v_mul_hi_u32 v10, v12, v3
	s_delay_alu instid0(VALU_DEP_3) | instskip(NEXT) | instid1(VALU_DEP_3)
	v_mad_u64_u32 v[20:21], null, v12, v5, 0
	v_mad_u64_u32 v[22:23], null, v8, v3, 0
	;; [unrolled: 1-line block ×3, first 2 shown]
	s_delay_alu instid0(VALU_DEP_3) | instskip(NEXT) | instid1(VALU_DEP_4)
	v_add_co_u32 v3, vcc_lo, v10, v20
	v_add_co_ci_u32_e32 v5, vcc_lo, 0, v21, vcc_lo
	s_delay_alu instid0(VALU_DEP_2) | instskip(NEXT) | instid1(VALU_DEP_2)
	v_add_co_u32 v3, vcc_lo, v3, v22
	v_add_co_ci_u32_e32 v3, vcc_lo, v5, v23, vcc_lo
	v_add_co_ci_u32_e32 v5, vcc_lo, 0, v29, vcc_lo
	s_delay_alu instid0(VALU_DEP_2) | instskip(NEXT) | instid1(VALU_DEP_2)
	v_add_co_u32 v3, vcc_lo, v3, v28
	v_add_co_ci_u32_e32 v5, vcc_lo, 0, v5, vcc_lo
	s_delay_alu instid0(VALU_DEP_2) | instskip(SKIP_1) | instid1(VALU_DEP_3)
	v_mul_lo_u32 v10, s23, v3
	v_mad_u64_u32 v[20:21], null, s22, v3, 0
	v_mul_lo_u32 v14, s22, v5
	s_delay_alu instid0(VALU_DEP_2) | instskip(NEXT) | instid1(VALU_DEP_2)
	v_sub_co_u32 v12, vcc_lo, v12, v20
	v_add3_u32 v10, v21, v14, v10
	s_delay_alu instid0(VALU_DEP_1) | instskip(NEXT) | instid1(VALU_DEP_1)
	v_sub_nc_u32_e32 v14, v8, v10
	v_subrev_co_ci_u32_e64 v14, s0, s23, v14, vcc_lo
	v_add_co_u32 v16, s0, v3, 2
	s_delay_alu instid0(VALU_DEP_1) | instskip(SKIP_3) | instid1(VALU_DEP_3)
	v_add_co_ci_u32_e64 v20, s0, 0, v5, s0
	v_sub_co_u32 v21, s0, v12, s22
	v_sub_co_ci_u32_e32 v8, vcc_lo, v8, v10, vcc_lo
	v_subrev_co_ci_u32_e64 v14, s0, 0, v14, s0
	v_cmp_le_u32_e32 vcc_lo, s22, v21
	s_delay_alu instid0(VALU_DEP_3) | instskip(SKIP_1) | instid1(VALU_DEP_4)
	v_cmp_eq_u32_e64 s0, s23, v8
	v_cndmask_b32_e64 v10, 0, -1, vcc_lo
	v_cmp_le_u32_e32 vcc_lo, s23, v14
	v_cndmask_b32_e64 v21, 0, -1, vcc_lo
	v_cmp_le_u32_e32 vcc_lo, s22, v12
	;; [unrolled: 2-line block ×3, first 2 shown]
	v_cndmask_b32_e64 v22, 0, -1, vcc_lo
	v_cmp_eq_u32_e32 vcc_lo, s23, v14
	s_delay_alu instid0(VALU_DEP_2) | instskip(SKIP_3) | instid1(VALU_DEP_3)
	v_cndmask_b32_e64 v8, v22, v12, s0
	v_cndmask_b32_e32 v10, v21, v10, vcc_lo
	v_add_co_u32 v14, vcc_lo, v3, 1
	v_add_co_ci_u32_e32 v21, vcc_lo, 0, v5, vcc_lo
	v_cmp_ne_u32_e32 vcc_lo, 0, v10
	s_delay_alu instid0(VALU_DEP_2) | instskip(NEXT) | instid1(VALU_DEP_4)
	v_cndmask_b32_e32 v10, v21, v20, vcc_lo
	v_cndmask_b32_e32 v12, v14, v16, vcc_lo
	v_cmp_ne_u32_e32 vcc_lo, 0, v8
	v_xor_b32_e32 v8, s20, v18
	s_delay_alu instid0(VALU_DEP_4) | instskip(NEXT) | instid1(VALU_DEP_4)
	v_cndmask_b32_e32 v5, v5, v10, vcc_lo
	v_cndmask_b32_e32 v3, v3, v12, vcc_lo
	v_xor_b32_e32 v10, s21, v18
	s_delay_alu instid0(VALU_DEP_2) | instskip(NEXT) | instid1(VALU_DEP_2)
	v_xor_b32_e32 v3, v3, v8
	v_xor_b32_e32 v5, v5, v10
	s_delay_alu instid0(VALU_DEP_2) | instskip(NEXT) | instid1(VALU_DEP_2)
	v_sub_co_u32 v21, vcc_lo, v3, v8
	v_sub_co_ci_u32_e32 v22, vcc_lo, v5, v10, vcc_lo
.LBB16_50:                              ;   in Loop: Header=BB16_24 Depth=2
	s_and_not1_saveexec_b32 s0, s17
	s_cbranch_execz .LBB16_52
; %bb.51:                               ;   in Loop: Header=BB16_24 Depth=2
	v_cvt_f32_u32_e32 v3, s52
	s_sub_i32 s17, 0, s52
	v_mov_b32_e32 v22, v2
	s_delay_alu instid0(VALU_DEP_2) | instskip(SKIP_2) | instid1(VALU_DEP_1)
	v_rcp_iflag_f32_e32 v3, v3
	s_waitcnt_depctr 0xfff
	v_mul_f32_e32 v3, 0x4f7ffffe, v3
	v_cvt_u32_f32_e32 v3, v3
	s_delay_alu instid0(VALU_DEP_1) | instskip(NEXT) | instid1(VALU_DEP_1)
	v_mul_lo_u32 v5, s17, v3
	v_mul_hi_u32 v5, v3, v5
	s_delay_alu instid0(VALU_DEP_1) | instskip(NEXT) | instid1(VALU_DEP_1)
	v_add_nc_u32_e32 v3, v3, v5
	v_mul_hi_u32 v3, v19, v3
	s_delay_alu instid0(VALU_DEP_1) | instskip(NEXT) | instid1(VALU_DEP_1)
	v_mul_lo_u32 v5, v3, s52
	v_sub_nc_u32_e32 v5, v19, v5
	s_delay_alu instid0(VALU_DEP_1) | instskip(SKIP_1) | instid1(VALU_DEP_2)
	v_subrev_nc_u32_e32 v10, s52, v5
	v_cmp_le_u32_e32 vcc_lo, s52, v5
	v_dual_cndmask_b32 v5, v5, v10 :: v_dual_add_nc_u32 v8, 1, v3
	s_delay_alu instid0(VALU_DEP_1) | instskip(NEXT) | instid1(VALU_DEP_2)
	v_cndmask_b32_e32 v3, v3, v8, vcc_lo
	v_cmp_le_u32_e32 vcc_lo, s52, v5
	s_delay_alu instid0(VALU_DEP_2) | instskip(NEXT) | instid1(VALU_DEP_1)
	v_add_nc_u32_e32 v8, 1, v3
	v_cndmask_b32_e32 v21, v3, v8, vcc_lo
.LBB16_52:                              ;   in Loop: Header=BB16_24 Depth=2
	s_or_b32 exec_lo, exec_lo, s0
	s_mov_b32 s17, s15
	s_add_u32 s20, s30, s18
	s_addc_u32 s21, s1, s19
	s_lshl_b64 s[18:19], s[16:17], 2
                                        ; implicit-def: $vgpr23_vgpr24
	s_delay_alu instid0(SALU_CYCLE_1)
	s_add_u32 s22, s26, s18
	s_addc_u32 s23, s27, s19
	s_clause 0x1
	s_load_b32 s53, s[22:23], 0x0
	s_load_b32 s17, s[20:21], 0x0
	s_mov_b32 s20, exec_lo
	s_waitcnt lgkmcnt(0)
	s_ashr_i32 s0, s53, 31
	s_delay_alu instid0(SALU_CYCLE_1) | instskip(NEXT) | instid1(VALU_DEP_1)
	v_or_b32_e32 v3, s0, v22
	v_cmpx_ne_u64_e32 0, v[2:3]
	s_xor_b32 s54, exec_lo, s20
	s_cbranch_execz .LBB16_54
; %bb.53:                               ;   in Loop: Header=BB16_24 Depth=2
	s_add_u32 s22, s53, s0
	s_mov_b32 s20, s0
	s_mov_b32 s21, s0
	s_addc_u32 s23, s0, s0
	s_delay_alu instid0(SALU_CYCLE_1) | instskip(NEXT) | instid1(SALU_CYCLE_1)
	s_xor_b64 s[22:23], s[22:23], s[20:21]
	v_cvt_f32_u32_e32 v3, s22
	v_cvt_f32_u32_e32 v5, s23
	s_sub_u32 s0, 0, s22
	s_subb_u32 s55, 0, s23
	s_delay_alu instid0(VALU_DEP_1) | instskip(NEXT) | instid1(VALU_DEP_1)
	v_fmac_f32_e32 v3, 0x4f800000, v5
	v_rcp_f32_e32 v3, v3
	s_waitcnt_depctr 0xfff
	v_mul_f32_e32 v3, 0x5f7ffffc, v3
	s_delay_alu instid0(VALU_DEP_1) | instskip(NEXT) | instid1(VALU_DEP_1)
	v_mul_f32_e32 v5, 0x2f800000, v3
	v_trunc_f32_e32 v5, v5
	s_delay_alu instid0(VALU_DEP_1) | instskip(SKIP_1) | instid1(VALU_DEP_2)
	v_fmac_f32_e32 v3, 0xcf800000, v5
	v_cvt_u32_f32_e32 v5, v5
	v_cvt_u32_f32_e32 v3, v3
	s_delay_alu instid0(VALU_DEP_2) | instskip(NEXT) | instid1(VALU_DEP_2)
	v_mul_lo_u32 v8, s0, v5
	v_mul_hi_u32 v10, s0, v3
	v_mul_lo_u32 v12, s55, v3
	s_delay_alu instid0(VALU_DEP_2) | instskip(SKIP_1) | instid1(VALU_DEP_2)
	v_add_nc_u32_e32 v8, v10, v8
	v_mul_lo_u32 v10, s0, v3
	v_add_nc_u32_e32 v8, v8, v12
	s_delay_alu instid0(VALU_DEP_2) | instskip(NEXT) | instid1(VALU_DEP_2)
	v_mul_hi_u32 v12, v3, v10
	v_mul_lo_u32 v14, v3, v8
	v_mul_hi_u32 v16, v3, v8
	v_mul_hi_u32 v18, v5, v10
	v_mul_lo_u32 v10, v5, v10
	v_mul_hi_u32 v20, v5, v8
	v_mul_lo_u32 v8, v5, v8
	v_add_co_u32 v12, vcc_lo, v12, v14
	v_add_co_ci_u32_e32 v14, vcc_lo, 0, v16, vcc_lo
	s_delay_alu instid0(VALU_DEP_2) | instskip(NEXT) | instid1(VALU_DEP_2)
	v_add_co_u32 v10, vcc_lo, v12, v10
	v_add_co_ci_u32_e32 v10, vcc_lo, v14, v18, vcc_lo
	v_add_co_ci_u32_e32 v12, vcc_lo, 0, v20, vcc_lo
	v_ashrrev_i32_e32 v18, 31, v22
	s_delay_alu instid0(VALU_DEP_3) | instskip(NEXT) | instid1(VALU_DEP_3)
	v_add_co_u32 v8, vcc_lo, v10, v8
	v_add_co_ci_u32_e32 v10, vcc_lo, 0, v12, vcc_lo
	s_delay_alu instid0(VALU_DEP_2) | instskip(NEXT) | instid1(VALU_DEP_2)
	v_add_co_u32 v3, vcc_lo, v3, v8
	v_add_co_ci_u32_e32 v5, vcc_lo, v5, v10, vcc_lo
	s_delay_alu instid0(VALU_DEP_2) | instskip(SKIP_1) | instid1(VALU_DEP_3)
	v_mul_hi_u32 v8, s0, v3
	v_mul_lo_u32 v12, s55, v3
	v_mul_lo_u32 v10, s0, v5
	s_delay_alu instid0(VALU_DEP_1) | instskip(SKIP_1) | instid1(VALU_DEP_2)
	v_add_nc_u32_e32 v8, v8, v10
	v_mul_lo_u32 v10, s0, v3
	v_add_nc_u32_e32 v8, v8, v12
	s_delay_alu instid0(VALU_DEP_2) | instskip(NEXT) | instid1(VALU_DEP_2)
	v_mul_hi_u32 v12, v3, v10
	v_mul_lo_u32 v14, v3, v8
	v_mul_hi_u32 v16, v3, v8
	v_mul_hi_u32 v20, v5, v10
	v_mul_lo_u32 v10, v5, v10
	v_mul_hi_u32 v23, v5, v8
	v_mul_lo_u32 v8, v5, v8
	v_add_co_u32 v12, vcc_lo, v12, v14
	v_add_co_ci_u32_e32 v14, vcc_lo, 0, v16, vcc_lo
	s_delay_alu instid0(VALU_DEP_2) | instskip(NEXT) | instid1(VALU_DEP_2)
	v_add_co_u32 v10, vcc_lo, v12, v10
	v_add_co_ci_u32_e32 v10, vcc_lo, v14, v20, vcc_lo
	v_add_co_ci_u32_e32 v12, vcc_lo, 0, v23, vcc_lo
	v_add_co_u32 v14, vcc_lo, v21, v18
	v_add_co_ci_u32_e32 v16, vcc_lo, v22, v18, vcc_lo
	s_delay_alu instid0(VALU_DEP_4) | instskip(NEXT) | instid1(VALU_DEP_4)
	v_add_co_u32 v8, vcc_lo, v10, v8
	v_add_co_ci_u32_e32 v10, vcc_lo, 0, v12, vcc_lo
	s_delay_alu instid0(VALU_DEP_4) | instskip(NEXT) | instid1(VALU_DEP_3)
	v_xor_b32_e32 v12, v14, v18
	v_add_co_u32 v3, vcc_lo, v3, v8
	s_delay_alu instid0(VALU_DEP_3) | instskip(SKIP_1) | instid1(VALU_DEP_3)
	v_add_co_ci_u32_e32 v5, vcc_lo, v5, v10, vcc_lo
	v_xor_b32_e32 v8, v16, v18
	v_mul_hi_u32 v10, v12, v3
	s_delay_alu instid0(VALU_DEP_3) | instskip(NEXT) | instid1(VALU_DEP_3)
	v_mad_u64_u32 v[22:23], null, v12, v5, 0
	v_mad_u64_u32 v[28:29], null, v8, v3, 0
	;; [unrolled: 1-line block ×3, first 2 shown]
	s_delay_alu instid0(VALU_DEP_3) | instskip(NEXT) | instid1(VALU_DEP_4)
	v_add_co_u32 v3, vcc_lo, v10, v22
	v_add_co_ci_u32_e32 v5, vcc_lo, 0, v23, vcc_lo
	s_delay_alu instid0(VALU_DEP_2) | instskip(NEXT) | instid1(VALU_DEP_2)
	v_add_co_u32 v3, vcc_lo, v3, v28
	v_add_co_ci_u32_e32 v3, vcc_lo, v5, v29, vcc_lo
	v_add_co_ci_u32_e32 v5, vcc_lo, 0, v31, vcc_lo
	s_delay_alu instid0(VALU_DEP_2) | instskip(NEXT) | instid1(VALU_DEP_2)
	v_add_co_u32 v3, vcc_lo, v3, v30
	v_add_co_ci_u32_e32 v5, vcc_lo, 0, v5, vcc_lo
	s_delay_alu instid0(VALU_DEP_2) | instskip(SKIP_1) | instid1(VALU_DEP_3)
	v_mul_lo_u32 v10, s23, v3
	v_mad_u64_u32 v[22:23], null, s22, v3, 0
	v_mul_lo_u32 v14, s22, v5
	s_delay_alu instid0(VALU_DEP_2) | instskip(NEXT) | instid1(VALU_DEP_2)
	v_sub_co_u32 v12, vcc_lo, v12, v22
	v_add3_u32 v10, v23, v14, v10
	s_delay_alu instid0(VALU_DEP_1) | instskip(NEXT) | instid1(VALU_DEP_1)
	v_sub_nc_u32_e32 v14, v8, v10
	v_subrev_co_ci_u32_e64 v14, s0, s23, v14, vcc_lo
	v_add_co_u32 v16, s0, v3, 2
	s_delay_alu instid0(VALU_DEP_1) | instskip(SKIP_3) | instid1(VALU_DEP_3)
	v_add_co_ci_u32_e64 v20, s0, 0, v5, s0
	v_sub_co_u32 v22, s0, v12, s22
	v_sub_co_ci_u32_e32 v8, vcc_lo, v8, v10, vcc_lo
	v_subrev_co_ci_u32_e64 v14, s0, 0, v14, s0
	v_cmp_le_u32_e32 vcc_lo, s22, v22
	s_delay_alu instid0(VALU_DEP_3) | instskip(SKIP_1) | instid1(VALU_DEP_4)
	v_cmp_eq_u32_e64 s0, s23, v8
	v_cndmask_b32_e64 v10, 0, -1, vcc_lo
	v_cmp_le_u32_e32 vcc_lo, s23, v14
	v_cndmask_b32_e64 v22, 0, -1, vcc_lo
	v_cmp_le_u32_e32 vcc_lo, s22, v12
	;; [unrolled: 2-line block ×3, first 2 shown]
	v_cndmask_b32_e64 v23, 0, -1, vcc_lo
	v_cmp_eq_u32_e32 vcc_lo, s23, v14
	s_delay_alu instid0(VALU_DEP_2) | instskip(SKIP_3) | instid1(VALU_DEP_3)
	v_cndmask_b32_e64 v8, v23, v12, s0
	v_cndmask_b32_e32 v10, v22, v10, vcc_lo
	v_add_co_u32 v14, vcc_lo, v3, 1
	v_add_co_ci_u32_e32 v22, vcc_lo, 0, v5, vcc_lo
	v_cmp_ne_u32_e32 vcc_lo, 0, v10
	s_delay_alu instid0(VALU_DEP_2) | instskip(NEXT) | instid1(VALU_DEP_4)
	v_cndmask_b32_e32 v10, v22, v20, vcc_lo
	v_cndmask_b32_e32 v12, v14, v16, vcc_lo
	v_cmp_ne_u32_e32 vcc_lo, 0, v8
	v_xor_b32_e32 v8, s20, v18
	s_delay_alu instid0(VALU_DEP_4) | instskip(NEXT) | instid1(VALU_DEP_4)
	v_cndmask_b32_e32 v5, v5, v10, vcc_lo
	v_cndmask_b32_e32 v3, v3, v12, vcc_lo
	v_xor_b32_e32 v10, s21, v18
	s_delay_alu instid0(VALU_DEP_2) | instskip(NEXT) | instid1(VALU_DEP_2)
	v_xor_b32_e32 v3, v3, v8
	v_xor_b32_e32 v5, v5, v10
	s_delay_alu instid0(VALU_DEP_2) | instskip(NEXT) | instid1(VALU_DEP_2)
	v_sub_co_u32 v23, vcc_lo, v3, v8
	v_sub_co_ci_u32_e32 v24, vcc_lo, v5, v10, vcc_lo
.LBB16_54:                              ;   in Loop: Header=BB16_24 Depth=2
	s_and_not1_saveexec_b32 s0, s54
	s_cbranch_execz .LBB16_56
; %bb.55:                               ;   in Loop: Header=BB16_24 Depth=2
	v_cvt_f32_u32_e32 v3, s53
	s_sub_i32 s20, 0, s53
	v_mov_b32_e32 v24, v2
	s_delay_alu instid0(VALU_DEP_2) | instskip(SKIP_2) | instid1(VALU_DEP_1)
	v_rcp_iflag_f32_e32 v3, v3
	s_waitcnt_depctr 0xfff
	v_mul_f32_e32 v3, 0x4f7ffffe, v3
	v_cvt_u32_f32_e32 v3, v3
	s_delay_alu instid0(VALU_DEP_1) | instskip(NEXT) | instid1(VALU_DEP_1)
	v_mul_lo_u32 v5, s20, v3
	v_mul_hi_u32 v5, v3, v5
	s_delay_alu instid0(VALU_DEP_1) | instskip(NEXT) | instid1(VALU_DEP_1)
	v_add_nc_u32_e32 v3, v3, v5
	v_mul_hi_u32 v3, v21, v3
	s_delay_alu instid0(VALU_DEP_1) | instskip(NEXT) | instid1(VALU_DEP_1)
	v_mul_lo_u32 v5, v3, s53
	v_sub_nc_u32_e32 v5, v21, v5
	s_delay_alu instid0(VALU_DEP_1) | instskip(SKIP_1) | instid1(VALU_DEP_2)
	v_subrev_nc_u32_e32 v10, s53, v5
	v_cmp_le_u32_e32 vcc_lo, s53, v5
	v_dual_cndmask_b32 v5, v5, v10 :: v_dual_add_nc_u32 v8, 1, v3
	s_delay_alu instid0(VALU_DEP_1) | instskip(NEXT) | instid1(VALU_DEP_2)
	v_cndmask_b32_e32 v3, v3, v8, vcc_lo
	v_cmp_le_u32_e32 vcc_lo, s53, v5
	s_delay_alu instid0(VALU_DEP_2) | instskip(NEXT) | instid1(VALU_DEP_1)
	v_add_nc_u32_e32 v8, 1, v3
	v_cndmask_b32_e32 v23, v3, v8, vcc_lo
.LBB16_56:                              ;   in Loop: Header=BB16_24 Depth=2
	s_or_b32 exec_lo, exec_lo, s0
	v_mul_lo_u32 v3, v9, s41
	v_mul_lo_u32 v5, v11, s43
	;; [unrolled: 1-line block ×4, first 2 shown]
	s_add_u32 s18, s30, s18
	s_addc_u32 s19, s1, s19
	v_mul_lo_u32 v12, v17, s49
	s_load_b32 s0, s[18:19], 0x0
	v_sub_nc_u32_e32 v3, v7, v3
	v_sub_nc_u32_e32 v5, v9, v5
	v_mul_lo_u32 v7, v19, s51
	v_sub_nc_u32_e32 v8, v11, v8
	v_sub_nc_u32_e32 v10, v13, v10
	v_mul_lo_u32 v3, s42, v3
	v_mul_lo_u32 v5, s44, v5
	;; [unrolled: 1-line block ×4, first 2 shown]
	v_sub_nc_u32_e32 v12, v15, v12
	v_sub_nc_u32_e32 v7, v17, v7
	v_mul_lo_u32 v8, s46, v8
	v_mul_lo_u32 v10, s48, v10
	s_add_i32 s16, s16, -8
	v_add3_u32 v3, v3, v4, v5
	v_mul_lo_u32 v4, s50, v12
	v_sub_nc_u32_e32 v5, v19, v9
	v_sub_nc_u32_e32 v9, v21, v11
	v_mul_lo_u32 v7, s14, v7
	s_cmp_eq_u32 s16, -8
	v_add3_u32 v3, v8, v3, v10
	v_mul_lo_u32 v5, s17, v5
	s_waitcnt lgkmcnt(0)
	v_mul_lo_u32 v8, s0, v9
	s_delay_alu instid0(VALU_DEP_3) | instskip(NEXT) | instid1(VALU_DEP_1)
	v_add3_u32 v3, v4, v3, v7
	v_add3_u32 v4, v5, v3, v8
	s_cbranch_scc1 .LBB16_58
; %bb.57:                               ;   in Loop: Header=BB16_24 Depth=2
	v_dual_mov_b32 v7, v23 :: v_dual_mov_b32 v8, v24
	s_branch .LBB16_24
.LBB16_58:                              ;   in Loop: Header=BB16_3 Depth=1
	s_load_b32 s0, s[12:13], 0x0
	s_waitcnt lgkmcnt(0)
	v_cmp_gt_i32_e32 vcc_lo, s0, v27
	s_and_b32 exec_lo, exec_lo, vcc_lo
	s_cbranch_execz .LBB16_2
; %bb.59:                               ;   in Loop: Header=BB16_3 Depth=1
	v_ashrrev_i32_e32 v7, 31, v6
	s_mov_b32 s14, exec_lo
	s_delay_alu instid0(VALU_DEP_1)
	v_cmpx_lt_i64_e64 s[4:5], v[6:7]
	s_cbranch_execz .LBB16_61
; %bb.60:                               ;   in Loop: Header=BB16_3 Depth=1
	v_ashrrev_i32_e32 v5, 31, v4
	s_delay_alu instid0(VALU_DEP_1) | instskip(NEXT) | instid1(VALU_DEP_1)
	v_lshlrev_b64 v[5:6], 1, v[4:5]
	v_add_co_u32 v5, vcc_lo, s2, v5
	s_delay_alu instid0(VALU_DEP_2)
	v_add_co_ci_u32_e32 v6, vcc_lo, s3, v6, vcc_lo
	global_store_b16 v[5:6], v2, off
.LBB16_61:                              ;   in Loop: Header=BB16_3 Depth=1
	s_or_b32 exec_lo, exec_lo, s14
	v_add_nc_u32_e32 v3, 1, v27
	s_delay_alu instid0(VALU_DEP_1)
	v_cmp_gt_i32_e32 vcc_lo, s0, v3
	s_and_b32 exec_lo, exec_lo, vcc_lo
	s_cbranch_execz .LBB16_2
; %bb.62:                               ;   in Loop: Header=BB16_3 Depth=1
	v_sub_nc_u32_e32 v5, v3, v26
	s_mov_b32 s14, exec_lo
	s_delay_alu instid0(VALU_DEP_1) | instskip(NEXT) | instid1(VALU_DEP_1)
	v_ashrrev_i32_e32 v6, 31, v5
	v_cmpx_lt_i64_e64 s[4:5], v[5:6]
	s_cbranch_execz .LBB16_64
; %bb.63:                               ;   in Loop: Header=BB16_3 Depth=1
	v_add_nc_u32_e32 v5, s40, v4
	s_delay_alu instid0(VALU_DEP_1) | instskip(NEXT) | instid1(VALU_DEP_1)
	v_ashrrev_i32_e32 v6, 31, v5
	v_lshlrev_b64 v[5:6], 1, v[5:6]
	s_delay_alu instid0(VALU_DEP_1) | instskip(NEXT) | instid1(VALU_DEP_2)
	v_add_co_u32 v5, vcc_lo, s2, v5
	v_add_co_ci_u32_e32 v6, vcc_lo, s3, v6, vcc_lo
	global_store_b16 v[5:6], v2, off
.LBB16_64:                              ;   in Loop: Header=BB16_3 Depth=1
	s_or_b32 exec_lo, exec_lo, s14
	v_add_nc_u32_e32 v3, 2, v27
	s_delay_alu instid0(VALU_DEP_1)
	v_cmp_gt_i32_e32 vcc_lo, s0, v3
	s_and_b32 exec_lo, exec_lo, vcc_lo
	s_cbranch_execz .LBB16_2
; %bb.65:                               ;   in Loop: Header=BB16_3 Depth=1
	v_sub_nc_u32_e32 v5, v3, v26
	s_mov_b32 s14, exec_lo
	s_delay_alu instid0(VALU_DEP_1) | instskip(NEXT) | instid1(VALU_DEP_1)
	v_ashrrev_i32_e32 v6, 31, v5
	v_cmpx_lt_i64_e64 s[4:5], v[5:6]
	s_cbranch_execz .LBB16_67
; %bb.66:                               ;   in Loop: Header=BB16_3 Depth=1
	v_lshl_add_u32 v5, s40, 1, v4
	s_delay_alu instid0(VALU_DEP_1) | instskip(NEXT) | instid1(VALU_DEP_1)
	v_ashrrev_i32_e32 v6, 31, v5
	v_lshlrev_b64 v[5:6], 1, v[5:6]
	s_delay_alu instid0(VALU_DEP_1) | instskip(NEXT) | instid1(VALU_DEP_2)
	v_add_co_u32 v5, vcc_lo, s2, v5
	v_add_co_ci_u32_e32 v6, vcc_lo, s3, v6, vcc_lo
	global_store_b16 v[5:6], v2, off
.LBB16_67:                              ;   in Loop: Header=BB16_3 Depth=1
	s_or_b32 exec_lo, exec_lo, s14
	v_add_nc_u32_e32 v3, 3, v27
	s_delay_alu instid0(VALU_DEP_1)
	v_cmp_gt_i32_e32 vcc_lo, s0, v3
	s_and_b32 exec_lo, exec_lo, vcc_lo
	s_cbranch_execz .LBB16_2
; %bb.68:                               ;   in Loop: Header=BB16_3 Depth=1
	v_sub_nc_u32_e32 v5, v3, v26
	s_delay_alu instid0(VALU_DEP_1) | instskip(NEXT) | instid1(VALU_DEP_1)
	v_ashrrev_i32_e32 v6, 31, v5
	v_cmp_lt_i64_e32 vcc_lo, s[4:5], v[5:6]
	s_and_b32 exec_lo, exec_lo, vcc_lo
	s_cbranch_execz .LBB16_2
; %bb.69:                               ;   in Loop: Header=BB16_3 Depth=1
	v_mad_u64_u32 v[5:6], null, s40, 3, v[4:5]
	s_delay_alu instid0(VALU_DEP_1) | instskip(NEXT) | instid1(VALU_DEP_1)
	v_ashrrev_i32_e32 v6, 31, v5
	v_lshlrev_b64 v[3:4], 1, v[5:6]
	s_delay_alu instid0(VALU_DEP_1) | instskip(NEXT) | instid1(VALU_DEP_2)
	v_add_co_u32 v3, vcc_lo, s2, v3
	v_add_co_ci_u32_e32 v4, vcc_lo, s3, v4, vcc_lo
	global_store_b16 v[3:4], v2, off
	s_branch .LBB16_2
.LBB16_70:
	s_nop 0
	s_sendmsg sendmsg(MSG_DEALLOC_VGPRS)
	s_endpgm
	.section	.rodata,"a",@progbits
	.p2align	6, 0x0
	.amdhsa_kernel _ZN2at6native16triu_tril_kernelIsiLb0ELi4ELb1EEEvNS_4cuda6detail10TensorInfoIT_T0_EENS4_IKS5_S6_EEllS6_
		.amdhsa_group_segment_fixed_size 0
		.amdhsa_private_segment_fixed_size 0
		.amdhsa_kernarg_size 712
		.amdhsa_user_sgpr_count 15
		.amdhsa_user_sgpr_dispatch_ptr 0
		.amdhsa_user_sgpr_queue_ptr 0
		.amdhsa_user_sgpr_kernarg_segment_ptr 1
		.amdhsa_user_sgpr_dispatch_id 0
		.amdhsa_user_sgpr_private_segment_size 0
		.amdhsa_wavefront_size32 1
		.amdhsa_uses_dynamic_stack 0
		.amdhsa_enable_private_segment 0
		.amdhsa_system_sgpr_workgroup_id_x 1
		.amdhsa_system_sgpr_workgroup_id_y 0
		.amdhsa_system_sgpr_workgroup_id_z 0
		.amdhsa_system_sgpr_workgroup_info 0
		.amdhsa_system_vgpr_workitem_id 0
		.amdhsa_next_free_vgpr 32
		.amdhsa_next_free_sgpr 56
		.amdhsa_reserve_vcc 1
		.amdhsa_float_round_mode_32 0
		.amdhsa_float_round_mode_16_64 0
		.amdhsa_float_denorm_mode_32 3
		.amdhsa_float_denorm_mode_16_64 3
		.amdhsa_dx10_clamp 1
		.amdhsa_ieee_mode 1
		.amdhsa_fp16_overflow 0
		.amdhsa_workgroup_processor_mode 1
		.amdhsa_memory_ordered 1
		.amdhsa_forward_progress 0
		.amdhsa_shared_vgpr_count 0
		.amdhsa_exception_fp_ieee_invalid_op 0
		.amdhsa_exception_fp_denorm_src 0
		.amdhsa_exception_fp_ieee_div_zero 0
		.amdhsa_exception_fp_ieee_overflow 0
		.amdhsa_exception_fp_ieee_underflow 0
		.amdhsa_exception_fp_ieee_inexact 0
		.amdhsa_exception_int_div_zero 0
	.end_amdhsa_kernel
	.section	.text._ZN2at6native16triu_tril_kernelIsiLb0ELi4ELb1EEEvNS_4cuda6detail10TensorInfoIT_T0_EENS4_IKS5_S6_EEllS6_,"axG",@progbits,_ZN2at6native16triu_tril_kernelIsiLb0ELi4ELb1EEEvNS_4cuda6detail10TensorInfoIT_T0_EENS4_IKS5_S6_EEllS6_,comdat
.Lfunc_end16:
	.size	_ZN2at6native16triu_tril_kernelIsiLb0ELi4ELb1EEEvNS_4cuda6detail10TensorInfoIT_T0_EENS4_IKS5_S6_EEllS6_, .Lfunc_end16-_ZN2at6native16triu_tril_kernelIsiLb0ELi4ELb1EEEvNS_4cuda6detail10TensorInfoIT_T0_EENS4_IKS5_S6_EEllS6_
                                        ; -- End function
	.section	.AMDGPU.csdata,"",@progbits
; Kernel info:
; codeLenInByte = 12616
; NumSgprs: 58
; NumVgprs: 32
; ScratchSize: 0
; MemoryBound: 0
; FloatMode: 240
; IeeeMode: 1
; LDSByteSize: 0 bytes/workgroup (compile time only)
; SGPRBlocks: 7
; VGPRBlocks: 3
; NumSGPRsForWavesPerEU: 58
; NumVGPRsForWavesPerEU: 32
; Occupancy: 16
; WaveLimiterHint : 0
; COMPUTE_PGM_RSRC2:SCRATCH_EN: 0
; COMPUTE_PGM_RSRC2:USER_SGPR: 15
; COMPUTE_PGM_RSRC2:TRAP_HANDLER: 0
; COMPUTE_PGM_RSRC2:TGID_X_EN: 1
; COMPUTE_PGM_RSRC2:TGID_Y_EN: 0
; COMPUTE_PGM_RSRC2:TGID_Z_EN: 0
; COMPUTE_PGM_RSRC2:TIDIG_COMP_CNT: 0
	.section	.text._ZN2at6native16triu_tril_kernelIsiLb0ELi4ELb0EEEvNS_4cuda6detail10TensorInfoIT_T0_EENS4_IKS5_S6_EEllS6_,"axG",@progbits,_ZN2at6native16triu_tril_kernelIsiLb0ELi4ELb0EEEvNS_4cuda6detail10TensorInfoIT_T0_EENS4_IKS5_S6_EEllS6_,comdat
	.protected	_ZN2at6native16triu_tril_kernelIsiLb0ELi4ELb0EEEvNS_4cuda6detail10TensorInfoIT_T0_EENS4_IKS5_S6_EEllS6_ ; -- Begin function _ZN2at6native16triu_tril_kernelIsiLb0ELi4ELb0EEEvNS_4cuda6detail10TensorInfoIT_T0_EENS4_IKS5_S6_EEllS6_
	.globl	_ZN2at6native16triu_tril_kernelIsiLb0ELi4ELb0EEEvNS_4cuda6detail10TensorInfoIT_T0_EENS4_IKS5_S6_EEllS6_
	.p2align	8
	.type	_ZN2at6native16triu_tril_kernelIsiLb0ELi4ELb0EEEvNS_4cuda6detail10TensorInfoIT_T0_EENS4_IKS5_S6_EEllS6_,@function
_ZN2at6native16triu_tril_kernelIsiLb0ELi4ELb0EEEvNS_4cuda6detail10TensorInfoIT_T0_EENS4_IKS5_S6_EEllS6_: ; @_ZN2at6native16triu_tril_kernelIsiLb0ELi4ELb0EEEvNS_4cuda6detail10TensorInfoIT_T0_EENS4_IKS5_S6_EEllS6_
; %bb.0:
	s_clause 0x1
	s_load_b32 s2, s[0:1], 0x1d4
	s_load_b128 s[4:7], s[0:1], 0x1b0
	v_mov_b32_e32 v2, 0
	s_add_u32 s10, s0, 0x1c8
	s_addc_u32 s11, s1, 0
	s_delay_alu instid0(VALU_DEP_1) | instskip(SKIP_3) | instid1(VALU_DEP_1)
	v_mov_b32_e32 v1, v2
	s_waitcnt lgkmcnt(0)
	s_and_b32 s12, s2, 0xffff
	s_mov_b32 s2, exec_lo
	v_mad_u64_u32 v[3:4], null, s12, s15, v[0:1]
	s_delay_alu instid0(VALU_DEP_1) | instskip(NEXT) | instid1(VALU_DEP_1)
	v_lshlrev_b64 v[0:1], 2, v[3:4]
	v_cmpx_gt_i64_e64 s[6:7], v[0:1]
	s_cbranch_execz .LBB17_55
; %bb.1:
	s_clause 0x1
	s_load_b32 s26, s[0:1], 0x1a8
	s_load_b32 s33, s[0:1], 0x1c0
	s_add_u32 s40, s0, 0xd8
	s_addc_u32 s41, s1, 0
	s_load_b64 s[2:3], s[0:1], 0xd8
	s_mov_b32 s13, 0
	s_mov_b32 s14, s4
	;; [unrolled: 1-line block ×7, first 2 shown]
	s_waitcnt lgkmcnt(0)
	s_ashr_i32 s27, s26, 31
	s_ashr_i32 s42, s33, 31
	s_lshl_b64 s[8:9], s[26:27], 2
	v_cvt_f32_u32_e32 v3, s33
	s_add_u32 s18, s8, -8
	s_addc_u32 s19, s9, -1
	s_add_u32 s16, s40, s18
	s_addc_u32 s17, s41, s19
	v_rcp_iflag_f32_e32 v3, v3
	s_load_b64 s[8:9], s[16:17], 0x8
	s_load_b32 s28, s[10:11], 0x0
	s_clause 0x1
	s_load_b64 s[16:17], s[16:17], 0x6c
	s_load_b64 s[10:11], s[0:1], 0x0
	v_cmp_gt_i64_e64 s45, s[26:27], 2
	s_waitcnt_depctr 0xfff
	v_mul_f32_e32 v3, 0x4f7ffffe, v3
	s_delay_alu instid0(VALU_DEP_1)
	v_cvt_u32_f32_e32 v18, v3
	s_waitcnt lgkmcnt(0)
	s_ashr_i32 s43, s8, 31
	s_add_u32 s44, s0, 0x6c
	s_addc_u32 s1, s1, 0
	s_add_u32 s20, s44, s18
	s_addc_u32 s21, s1, s19
	s_mul_i32 s28, s28, s12
	s_load_b64 s[20:21], s[20:21], 0x0
	s_and_b32 s47, s26, 3
	s_add_i32 s46, s26, -3
	s_lshl_b32 s48, s28, 2
	s_cmp_lg_u32 s47, 2
	s_mov_b32 s18, s4
	s_cselect_b32 s49, -1, 0
	s_cmp_gt_u32 s46, 2
	s_mov_b32 s19, s5
	s_mov_b32 s26, s17
	s_cselect_b32 s50, -1, 0
	s_ashr_i32 s27, s17, 31
	s_mov_b32 s17, 0
	s_waitcnt lgkmcnt(0)
	s_ashr_i32 s29, s21, 31
	s_mov_b32 s28, s21
	s_branch .LBB17_3
.LBB17_2:                               ;   in Loop: Header=BB17_3 Depth=1
	s_or_b32 exec_lo, exec_lo, s0
	v_add_co_u32 v0, vcc_lo, v0, s48
	v_add_co_ci_u32_e32 v1, vcc_lo, 0, v1, vcc_lo
	s_delay_alu instid0(VALU_DEP_1) | instskip(SKIP_1) | instid1(SALU_CYCLE_1)
	v_cmp_le_i64_e32 vcc_lo, s[6:7], v[0:1]
	s_or_b32 s17, vcc_lo, s17
	s_and_not1_b32 exec_lo, exec_lo, s17
	s_cbranch_execz .LBB17_55
.LBB17_3:                               ; =>This Loop Header: Depth=1
                                        ;     Child Loop BB17_14 Depth 2
                                        ;     Child Loop BB17_22 Depth 2
	v_or_b32_e32 v3, s42, v1
                                        ; implicit-def: $vgpr4_vgpr5
	s_mov_b32 s0, exec_lo
	s_delay_alu instid0(VALU_DEP_1)
	v_cmpx_ne_u64_e32 0, v[2:3]
	s_xor_b32 s12, exec_lo, s0
	s_cbranch_execz .LBB17_5
; %bb.4:                                ;   in Loop: Header=BB17_3 Depth=1
	s_add_u32 s34, s33, s42
	s_mov_b32 s30, s42
	s_mov_b32 s31, s42
	s_addc_u32 s35, s42, s42
	s_delay_alu instid0(SALU_CYCLE_1) | instskip(NEXT) | instid1(SALU_CYCLE_1)
	s_xor_b64 s[34:35], s[34:35], s[30:31]
	v_cvt_f32_u32_e32 v3, s34
	v_cvt_f32_u32_e32 v4, s35
	s_sub_u32 s0, 0, s34
	s_subb_u32 s21, 0, s35
	s_delay_alu instid0(VALU_DEP_1) | instskip(NEXT) | instid1(VALU_DEP_1)
	v_fmac_f32_e32 v3, 0x4f800000, v4
	v_rcp_f32_e32 v3, v3
	s_waitcnt_depctr 0xfff
	v_mul_f32_e32 v3, 0x5f7ffffc, v3
	s_delay_alu instid0(VALU_DEP_1) | instskip(NEXT) | instid1(VALU_DEP_1)
	v_mul_f32_e32 v4, 0x2f800000, v3
	v_trunc_f32_e32 v4, v4
	s_delay_alu instid0(VALU_DEP_1) | instskip(SKIP_1) | instid1(VALU_DEP_2)
	v_fmac_f32_e32 v3, 0xcf800000, v4
	v_cvt_u32_f32_e32 v4, v4
	v_cvt_u32_f32_e32 v3, v3
	s_delay_alu instid0(VALU_DEP_2) | instskip(NEXT) | instid1(VALU_DEP_2)
	v_mul_lo_u32 v5, s0, v4
	v_mul_hi_u32 v6, s0, v3
	v_mul_lo_u32 v7, s21, v3
	s_delay_alu instid0(VALU_DEP_2) | instskip(SKIP_1) | instid1(VALU_DEP_2)
	v_add_nc_u32_e32 v5, v6, v5
	v_mul_lo_u32 v6, s0, v3
	v_add_nc_u32_e32 v5, v5, v7
	s_delay_alu instid0(VALU_DEP_2) | instskip(NEXT) | instid1(VALU_DEP_2)
	v_mul_hi_u32 v7, v3, v6
	v_mul_lo_u32 v8, v3, v5
	v_mul_hi_u32 v9, v3, v5
	v_mul_hi_u32 v10, v4, v6
	v_mul_lo_u32 v6, v4, v6
	v_mul_hi_u32 v11, v4, v5
	v_mul_lo_u32 v5, v4, v5
	v_add_co_u32 v7, vcc_lo, v7, v8
	v_add_co_ci_u32_e32 v8, vcc_lo, 0, v9, vcc_lo
	s_delay_alu instid0(VALU_DEP_2) | instskip(NEXT) | instid1(VALU_DEP_2)
	v_add_co_u32 v6, vcc_lo, v7, v6
	v_add_co_ci_u32_e32 v6, vcc_lo, v8, v10, vcc_lo
	v_add_co_ci_u32_e32 v7, vcc_lo, 0, v11, vcc_lo
	v_ashrrev_i32_e32 v10, 31, v1
	s_delay_alu instid0(VALU_DEP_3) | instskip(NEXT) | instid1(VALU_DEP_3)
	v_add_co_u32 v5, vcc_lo, v6, v5
	v_add_co_ci_u32_e32 v6, vcc_lo, 0, v7, vcc_lo
	s_delay_alu instid0(VALU_DEP_2) | instskip(NEXT) | instid1(VALU_DEP_2)
	v_add_co_u32 v3, vcc_lo, v3, v5
	v_add_co_ci_u32_e32 v4, vcc_lo, v4, v6, vcc_lo
	s_delay_alu instid0(VALU_DEP_2) | instskip(SKIP_1) | instid1(VALU_DEP_3)
	v_mul_hi_u32 v5, s0, v3
	v_mul_lo_u32 v7, s21, v3
	v_mul_lo_u32 v6, s0, v4
	s_delay_alu instid0(VALU_DEP_1) | instskip(SKIP_1) | instid1(VALU_DEP_2)
	v_add_nc_u32_e32 v5, v5, v6
	v_mul_lo_u32 v6, s0, v3
	v_add_nc_u32_e32 v5, v5, v7
	s_delay_alu instid0(VALU_DEP_2) | instskip(NEXT) | instid1(VALU_DEP_2)
	v_mul_hi_u32 v7, v3, v6
	v_mul_lo_u32 v8, v3, v5
	v_mul_hi_u32 v9, v3, v5
	v_mul_hi_u32 v11, v4, v6
	v_mul_lo_u32 v6, v4, v6
	v_mul_hi_u32 v12, v4, v5
	v_mul_lo_u32 v5, v4, v5
	v_add_co_u32 v7, vcc_lo, v7, v8
	v_add_co_ci_u32_e32 v8, vcc_lo, 0, v9, vcc_lo
	s_delay_alu instid0(VALU_DEP_2) | instskip(NEXT) | instid1(VALU_DEP_2)
	v_add_co_u32 v6, vcc_lo, v7, v6
	v_add_co_ci_u32_e32 v6, vcc_lo, v8, v11, vcc_lo
	v_add_co_ci_u32_e32 v7, vcc_lo, 0, v12, vcc_lo
	v_add_co_u32 v8, vcc_lo, v0, v10
	v_add_co_ci_u32_e32 v9, vcc_lo, v1, v10, vcc_lo
	s_delay_alu instid0(VALU_DEP_4) | instskip(NEXT) | instid1(VALU_DEP_4)
	v_add_co_u32 v5, vcc_lo, v6, v5
	v_add_co_ci_u32_e32 v6, vcc_lo, 0, v7, vcc_lo
	s_delay_alu instid0(VALU_DEP_4) | instskip(NEXT) | instid1(VALU_DEP_3)
	v_xor_b32_e32 v11, v8, v10
	v_add_co_u32 v7, vcc_lo, v3, v5
	s_delay_alu instid0(VALU_DEP_3) | instskip(SKIP_1) | instid1(VALU_DEP_3)
	v_add_co_ci_u32_e32 v12, vcc_lo, v4, v6, vcc_lo
	v_xor_b32_e32 v9, v9, v10
	v_mul_hi_u32 v13, v11, v7
	s_delay_alu instid0(VALU_DEP_3) | instskip(NEXT) | instid1(VALU_DEP_3)
	v_mad_u64_u32 v[3:4], null, v11, v12, 0
	v_mad_u64_u32 v[5:6], null, v9, v7, 0
	;; [unrolled: 1-line block ×3, first 2 shown]
	s_delay_alu instid0(VALU_DEP_3) | instskip(NEXT) | instid1(VALU_DEP_4)
	v_add_co_u32 v3, vcc_lo, v13, v3
	v_add_co_ci_u32_e32 v4, vcc_lo, 0, v4, vcc_lo
	s_delay_alu instid0(VALU_DEP_2) | instskip(NEXT) | instid1(VALU_DEP_2)
	v_add_co_u32 v3, vcc_lo, v3, v5
	v_add_co_ci_u32_e32 v3, vcc_lo, v4, v6, vcc_lo
	v_add_co_ci_u32_e32 v4, vcc_lo, 0, v8, vcc_lo
	s_delay_alu instid0(VALU_DEP_2) | instskip(NEXT) | instid1(VALU_DEP_2)
	v_add_co_u32 v5, vcc_lo, v3, v7
	v_add_co_ci_u32_e32 v6, vcc_lo, 0, v4, vcc_lo
	s_delay_alu instid0(VALU_DEP_2) | instskip(SKIP_1) | instid1(VALU_DEP_3)
	v_mul_lo_u32 v7, s35, v5
	v_mad_u64_u32 v[3:4], null, s34, v5, 0
	v_mul_lo_u32 v8, s34, v6
	s_delay_alu instid0(VALU_DEP_2) | instskip(NEXT) | instid1(VALU_DEP_2)
	v_sub_co_u32 v3, vcc_lo, v11, v3
	v_add3_u32 v4, v4, v8, v7
	s_delay_alu instid0(VALU_DEP_1) | instskip(NEXT) | instid1(VALU_DEP_1)
	v_sub_nc_u32_e32 v7, v9, v4
	v_subrev_co_ci_u32_e64 v7, s0, s35, v7, vcc_lo
	v_add_co_u32 v8, s0, v5, 2
	s_delay_alu instid0(VALU_DEP_1) | instskip(SKIP_3) | instid1(VALU_DEP_3)
	v_add_co_ci_u32_e64 v11, s0, 0, v6, s0
	v_sub_co_u32 v12, s0, v3, s34
	v_sub_co_ci_u32_e32 v4, vcc_lo, v9, v4, vcc_lo
	v_subrev_co_ci_u32_e64 v7, s0, 0, v7, s0
	v_cmp_le_u32_e32 vcc_lo, s34, v12
	s_delay_alu instid0(VALU_DEP_3) | instskip(SKIP_1) | instid1(VALU_DEP_4)
	v_cmp_eq_u32_e64 s0, s35, v4
	v_cndmask_b32_e64 v9, 0, -1, vcc_lo
	v_cmp_le_u32_e32 vcc_lo, s35, v7
	v_cndmask_b32_e64 v12, 0, -1, vcc_lo
	v_cmp_le_u32_e32 vcc_lo, s34, v3
	v_cndmask_b32_e64 v3, 0, -1, vcc_lo
	v_cmp_le_u32_e32 vcc_lo, s35, v4
	v_cndmask_b32_e64 v13, 0, -1, vcc_lo
	v_cmp_eq_u32_e32 vcc_lo, s35, v7
	s_delay_alu instid0(VALU_DEP_2) | instskip(SKIP_3) | instid1(VALU_DEP_3)
	v_cndmask_b32_e64 v3, v13, v3, s0
	v_cndmask_b32_e32 v7, v12, v9, vcc_lo
	v_add_co_u32 v9, vcc_lo, v5, 1
	v_add_co_ci_u32_e32 v12, vcc_lo, 0, v6, vcc_lo
	v_cmp_ne_u32_e32 vcc_lo, 0, v7
	s_delay_alu instid0(VALU_DEP_2) | instskip(SKIP_2) | instid1(VALU_DEP_3)
	v_dual_cndmask_b32 v4, v12, v11 :: v_dual_cndmask_b32 v7, v9, v8
	v_cmp_ne_u32_e32 vcc_lo, 0, v3
	v_xor_b32_e32 v3, s30, v10
	v_dual_cndmask_b32 v5, v5, v7 :: v_dual_cndmask_b32 v4, v6, v4
	v_xor_b32_e32 v6, s31, v10
	s_delay_alu instid0(VALU_DEP_2) | instskip(NEXT) | instid1(VALU_DEP_2)
	v_xor_b32_e32 v5, v5, v3
	v_xor_b32_e32 v7, v4, v6
	s_delay_alu instid0(VALU_DEP_2) | instskip(NEXT) | instid1(VALU_DEP_2)
	v_sub_co_u32 v4, vcc_lo, v5, v3
	v_sub_co_ci_u32_e32 v5, vcc_lo, v7, v6, vcc_lo
.LBB17_5:                               ;   in Loop: Header=BB17_3 Depth=1
	s_and_not1_saveexec_b32 s0, s12
	s_cbranch_execz .LBB17_7
; %bb.6:                                ;   in Loop: Header=BB17_3 Depth=1
	s_sub_i32 s12, 0, s33
	s_delay_alu instid0(SALU_CYCLE_1) | instskip(NEXT) | instid1(VALU_DEP_1)
	v_mul_lo_u32 v3, s12, v18
	v_mul_hi_u32 v3, v18, v3
	s_delay_alu instid0(VALU_DEP_1) | instskip(NEXT) | instid1(VALU_DEP_1)
	v_add_nc_u32_e32 v3, v18, v3
	v_mul_hi_u32 v3, v0, v3
	s_delay_alu instid0(VALU_DEP_1) | instskip(SKIP_1) | instid1(VALU_DEP_2)
	v_mul_lo_u32 v4, v3, s33
	v_add_nc_u32_e32 v5, 1, v3
	v_sub_nc_u32_e32 v4, v0, v4
	s_delay_alu instid0(VALU_DEP_1) | instskip(SKIP_1) | instid1(VALU_DEP_2)
	v_subrev_nc_u32_e32 v6, s33, v4
	v_cmp_le_u32_e32 vcc_lo, s33, v4
	v_dual_cndmask_b32 v4, v4, v6 :: v_dual_cndmask_b32 v3, v3, v5
	s_delay_alu instid0(VALU_DEP_1) | instskip(NEXT) | instid1(VALU_DEP_2)
	v_cmp_le_u32_e32 vcc_lo, s33, v4
	v_add_nc_u32_e32 v5, 1, v3
	s_delay_alu instid0(VALU_DEP_1)
	v_dual_cndmask_b32 v4, v3, v5 :: v_dual_mov_b32 v5, v2
.LBB17_7:                               ;   in Loop: Header=BB17_3 Depth=1
	s_or_b32 exec_lo, exec_lo, s0
	s_delay_alu instid0(VALU_DEP_1) | instskip(SKIP_1) | instid1(VALU_DEP_1)
	v_or_b32_e32 v3, s43, v5
                                        ; implicit-def: $vgpr8_vgpr9
	s_mov_b32 s0, exec_lo
	v_cmpx_ne_u64_e32 0, v[2:3]
	s_xor_b32 s12, exec_lo, s0
	s_cbranch_execz .LBB17_9
; %bb.8:                                ;   in Loop: Header=BB17_3 Depth=1
	s_add_u32 s34, s8, s43
	s_mov_b32 s30, s43
	s_mov_b32 s31, s43
	s_addc_u32 s35, s43, s43
	s_delay_alu instid0(SALU_CYCLE_1) | instskip(NEXT) | instid1(SALU_CYCLE_1)
	s_xor_b64 s[34:35], s[34:35], s[30:31]
	v_cvt_f32_u32_e32 v3, s34
	v_cvt_f32_u32_e32 v6, s35
	s_sub_u32 s0, 0, s34
	s_subb_u32 s21, 0, s35
	s_delay_alu instid0(VALU_DEP_1) | instskip(NEXT) | instid1(VALU_DEP_1)
	v_fmac_f32_e32 v3, 0x4f800000, v6
	v_rcp_f32_e32 v3, v3
	s_waitcnt_depctr 0xfff
	v_mul_f32_e32 v3, 0x5f7ffffc, v3
	s_delay_alu instid0(VALU_DEP_1) | instskip(NEXT) | instid1(VALU_DEP_1)
	v_mul_f32_e32 v6, 0x2f800000, v3
	v_trunc_f32_e32 v6, v6
	s_delay_alu instid0(VALU_DEP_1) | instskip(SKIP_1) | instid1(VALU_DEP_2)
	v_fmac_f32_e32 v3, 0xcf800000, v6
	v_cvt_u32_f32_e32 v6, v6
	v_cvt_u32_f32_e32 v3, v3
	s_delay_alu instid0(VALU_DEP_2) | instskip(NEXT) | instid1(VALU_DEP_2)
	v_mul_lo_u32 v7, s0, v6
	v_mul_hi_u32 v8, s0, v3
	v_mul_lo_u32 v9, s21, v3
	s_delay_alu instid0(VALU_DEP_2) | instskip(SKIP_1) | instid1(VALU_DEP_2)
	v_add_nc_u32_e32 v7, v8, v7
	v_mul_lo_u32 v8, s0, v3
	v_add_nc_u32_e32 v7, v7, v9
	s_delay_alu instid0(VALU_DEP_2) | instskip(NEXT) | instid1(VALU_DEP_2)
	v_mul_hi_u32 v9, v3, v8
	v_mul_lo_u32 v10, v3, v7
	v_mul_hi_u32 v11, v3, v7
	v_mul_hi_u32 v12, v6, v8
	v_mul_lo_u32 v8, v6, v8
	v_mul_hi_u32 v13, v6, v7
	v_mul_lo_u32 v7, v6, v7
	v_add_co_u32 v9, vcc_lo, v9, v10
	v_add_co_ci_u32_e32 v10, vcc_lo, 0, v11, vcc_lo
	s_delay_alu instid0(VALU_DEP_2) | instskip(NEXT) | instid1(VALU_DEP_2)
	v_add_co_u32 v8, vcc_lo, v9, v8
	v_add_co_ci_u32_e32 v8, vcc_lo, v10, v12, vcc_lo
	v_add_co_ci_u32_e32 v9, vcc_lo, 0, v13, vcc_lo
	v_ashrrev_i32_e32 v12, 31, v5
	s_delay_alu instid0(VALU_DEP_3) | instskip(NEXT) | instid1(VALU_DEP_3)
	v_add_co_u32 v7, vcc_lo, v8, v7
	v_add_co_ci_u32_e32 v8, vcc_lo, 0, v9, vcc_lo
	s_delay_alu instid0(VALU_DEP_2) | instskip(NEXT) | instid1(VALU_DEP_2)
	v_add_co_u32 v3, vcc_lo, v3, v7
	v_add_co_ci_u32_e32 v6, vcc_lo, v6, v8, vcc_lo
	s_delay_alu instid0(VALU_DEP_2) | instskip(SKIP_1) | instid1(VALU_DEP_3)
	v_mul_hi_u32 v7, s0, v3
	v_mul_lo_u32 v9, s21, v3
	v_mul_lo_u32 v8, s0, v6
	s_delay_alu instid0(VALU_DEP_1) | instskip(SKIP_1) | instid1(VALU_DEP_2)
	v_add_nc_u32_e32 v7, v7, v8
	v_mul_lo_u32 v8, s0, v3
	v_add_nc_u32_e32 v7, v7, v9
	s_delay_alu instid0(VALU_DEP_2) | instskip(NEXT) | instid1(VALU_DEP_2)
	v_mul_hi_u32 v9, v3, v8
	v_mul_lo_u32 v10, v3, v7
	v_mul_hi_u32 v11, v3, v7
	v_mul_hi_u32 v13, v6, v8
	v_mul_lo_u32 v8, v6, v8
	v_mul_hi_u32 v14, v6, v7
	v_mul_lo_u32 v7, v6, v7
	v_add_co_u32 v9, vcc_lo, v9, v10
	v_add_co_ci_u32_e32 v10, vcc_lo, 0, v11, vcc_lo
	s_delay_alu instid0(VALU_DEP_2) | instskip(NEXT) | instid1(VALU_DEP_2)
	v_add_co_u32 v8, vcc_lo, v9, v8
	v_add_co_ci_u32_e32 v8, vcc_lo, v10, v13, vcc_lo
	v_add_co_ci_u32_e32 v9, vcc_lo, 0, v14, vcc_lo
	v_add_co_u32 v10, vcc_lo, v4, v12
	v_add_co_ci_u32_e32 v5, vcc_lo, v5, v12, vcc_lo
	s_delay_alu instid0(VALU_DEP_4) | instskip(NEXT) | instid1(VALU_DEP_4)
	v_add_co_u32 v7, vcc_lo, v8, v7
	v_add_co_ci_u32_e32 v8, vcc_lo, 0, v9, vcc_lo
	s_delay_alu instid0(VALU_DEP_4) | instskip(NEXT) | instid1(VALU_DEP_3)
	v_xor_b32_e32 v11, v10, v12
	v_add_co_u32 v3, vcc_lo, v3, v7
	s_delay_alu instid0(VALU_DEP_3) | instskip(SKIP_1) | instid1(VALU_DEP_3)
	v_add_co_ci_u32_e32 v13, vcc_lo, v6, v8, vcc_lo
	v_xor_b32_e32 v14, v5, v12
	v_mul_hi_u32 v15, v11, v3
	s_delay_alu instid0(VALU_DEP_3) | instskip(NEXT) | instid1(VALU_DEP_3)
	v_mad_u64_u32 v[5:6], null, v11, v13, 0
	v_mad_u64_u32 v[7:8], null, v14, v3, 0
	;; [unrolled: 1-line block ×3, first 2 shown]
	s_delay_alu instid0(VALU_DEP_3) | instskip(NEXT) | instid1(VALU_DEP_4)
	v_add_co_u32 v3, vcc_lo, v15, v5
	v_add_co_ci_u32_e32 v5, vcc_lo, 0, v6, vcc_lo
	s_delay_alu instid0(VALU_DEP_2) | instskip(NEXT) | instid1(VALU_DEP_2)
	v_add_co_u32 v3, vcc_lo, v3, v7
	v_add_co_ci_u32_e32 v3, vcc_lo, v5, v8, vcc_lo
	v_add_co_ci_u32_e32 v5, vcc_lo, 0, v10, vcc_lo
	s_delay_alu instid0(VALU_DEP_2) | instskip(NEXT) | instid1(VALU_DEP_2)
	v_add_co_u32 v3, vcc_lo, v3, v9
	v_add_co_ci_u32_e32 v7, vcc_lo, 0, v5, vcc_lo
	s_delay_alu instid0(VALU_DEP_2) | instskip(SKIP_1) | instid1(VALU_DEP_3)
	v_mul_lo_u32 v8, s35, v3
	v_mad_u64_u32 v[5:6], null, s34, v3, 0
	v_mul_lo_u32 v9, s34, v7
	s_delay_alu instid0(VALU_DEP_2) | instskip(NEXT) | instid1(VALU_DEP_2)
	v_sub_co_u32 v5, vcc_lo, v11, v5
	v_add3_u32 v6, v6, v9, v8
	s_delay_alu instid0(VALU_DEP_1) | instskip(NEXT) | instid1(VALU_DEP_1)
	v_sub_nc_u32_e32 v8, v14, v6
	v_subrev_co_ci_u32_e64 v8, s0, s35, v8, vcc_lo
	v_add_co_u32 v9, s0, v3, 2
	s_delay_alu instid0(VALU_DEP_1) | instskip(SKIP_3) | instid1(VALU_DEP_3)
	v_add_co_ci_u32_e64 v10, s0, 0, v7, s0
	v_sub_co_u32 v11, s0, v5, s34
	v_sub_co_ci_u32_e32 v6, vcc_lo, v14, v6, vcc_lo
	v_subrev_co_ci_u32_e64 v8, s0, 0, v8, s0
	v_cmp_le_u32_e32 vcc_lo, s34, v11
	s_delay_alu instid0(VALU_DEP_3) | instskip(SKIP_1) | instid1(VALU_DEP_4)
	v_cmp_eq_u32_e64 s0, s35, v6
	v_cndmask_b32_e64 v11, 0, -1, vcc_lo
	v_cmp_le_u32_e32 vcc_lo, s35, v8
	v_cndmask_b32_e64 v13, 0, -1, vcc_lo
	v_cmp_le_u32_e32 vcc_lo, s34, v5
	;; [unrolled: 2-line block ×3, first 2 shown]
	v_cndmask_b32_e64 v14, 0, -1, vcc_lo
	v_cmp_eq_u32_e32 vcc_lo, s35, v8
	s_delay_alu instid0(VALU_DEP_2) | instskip(SKIP_3) | instid1(VALU_DEP_3)
	v_cndmask_b32_e64 v5, v14, v5, s0
	v_cndmask_b32_e32 v8, v13, v11, vcc_lo
	v_add_co_u32 v11, vcc_lo, v3, 1
	v_add_co_ci_u32_e32 v13, vcc_lo, 0, v7, vcc_lo
	v_cmp_ne_u32_e32 vcc_lo, 0, v8
	s_delay_alu instid0(VALU_DEP_3) | instskip(NEXT) | instid1(VALU_DEP_3)
	v_cndmask_b32_e32 v8, v11, v9, vcc_lo
	v_cndmask_b32_e32 v6, v13, v10, vcc_lo
	v_cmp_ne_u32_e32 vcc_lo, 0, v5
	v_xor_b32_e32 v5, s30, v12
	s_delay_alu instid0(VALU_DEP_4) | instskip(NEXT) | instid1(VALU_DEP_4)
	v_cndmask_b32_e32 v3, v3, v8, vcc_lo
	v_cndmask_b32_e32 v6, v7, v6, vcc_lo
	v_xor_b32_e32 v7, s31, v12
	s_delay_alu instid0(VALU_DEP_3) | instskip(NEXT) | instid1(VALU_DEP_2)
	v_xor_b32_e32 v3, v3, v5
	v_xor_b32_e32 v6, v6, v7
	s_delay_alu instid0(VALU_DEP_2) | instskip(NEXT) | instid1(VALU_DEP_2)
	v_sub_co_u32 v8, vcc_lo, v3, v5
	v_sub_co_ci_u32_e32 v9, vcc_lo, v6, v7, vcc_lo
.LBB17_9:                               ;   in Loop: Header=BB17_3 Depth=1
	s_and_not1_saveexec_b32 s0, s12
	s_cbranch_execz .LBB17_11
; %bb.10:                               ;   in Loop: Header=BB17_3 Depth=1
	v_cvt_f32_u32_e32 v3, s8
	s_sub_i32 s12, 0, s8
	v_mov_b32_e32 v9, v2
	s_delay_alu instid0(VALU_DEP_2) | instskip(SKIP_2) | instid1(VALU_DEP_1)
	v_rcp_iflag_f32_e32 v3, v3
	s_waitcnt_depctr 0xfff
	v_mul_f32_e32 v3, 0x4f7ffffe, v3
	v_cvt_u32_f32_e32 v3, v3
	s_delay_alu instid0(VALU_DEP_1) | instskip(NEXT) | instid1(VALU_DEP_1)
	v_mul_lo_u32 v5, s12, v3
	v_mul_hi_u32 v5, v3, v5
	s_delay_alu instid0(VALU_DEP_1) | instskip(NEXT) | instid1(VALU_DEP_1)
	v_add_nc_u32_e32 v3, v3, v5
	v_mul_hi_u32 v3, v4, v3
	s_delay_alu instid0(VALU_DEP_1) | instskip(SKIP_1) | instid1(VALU_DEP_2)
	v_mul_lo_u32 v5, v3, s8
	v_add_nc_u32_e32 v6, 1, v3
	v_sub_nc_u32_e32 v5, v4, v5
	s_delay_alu instid0(VALU_DEP_1) | instskip(SKIP_1) | instid1(VALU_DEP_4)
	v_cmp_le_u32_e32 vcc_lo, s8, v5
	v_subrev_nc_u32_e32 v7, s8, v5
	v_cndmask_b32_e32 v3, v3, v6, vcc_lo
	s_delay_alu instid0(VALU_DEP_1) | instskip(NEXT) | instid1(VALU_DEP_3)
	v_add_nc_u32_e32 v6, 1, v3
	v_cndmask_b32_e32 v5, v5, v7, vcc_lo
	s_delay_alu instid0(VALU_DEP_1) | instskip(NEXT) | instid1(VALU_DEP_3)
	v_cmp_le_u32_e32 vcc_lo, s8, v5
	v_cndmask_b32_e32 v8, v3, v6, vcc_lo
.LBB17_11:                              ;   in Loop: Header=BB17_3 Depth=1
	s_or_b32 exec_lo, exec_lo, s0
	v_mad_u64_u32 v[5:6], null, v4, s33, 0
	s_delay_alu instid0(VALU_DEP_2) | instskip(SKIP_1) | instid1(VALU_DEP_2)
	v_mad_u64_u32 v[6:7], null, v8, s8, 0
	s_and_not1_b32 vcc_lo, exec_lo, s45
	v_sub_co_u32 v19, null, v0, v5
	s_delay_alu instid0(VALU_DEP_2) | instskip(NEXT) | instid1(VALU_DEP_2)
	v_sub_co_u32 v20, null, v4, v6
	v_mul_lo_u32 v3, s26, v19
	v_mul_lo_u32 v10, s28, v19
	s_delay_alu instid0(VALU_DEP_2) | instskip(NEXT) | instid1(VALU_DEP_2)
	v_mad_u64_u32 v[6:7], null, s16, v20, v[3:4]
	v_mad_u64_u32 v[4:5], null, s20, v20, v[10:11]
	s_cbranch_vccnz .LBB17_40
; %bb.12:                               ;   in Loop: Header=BB17_3 Depth=1
	s_and_not1_b32 vcc_lo, exec_lo, s49
	s_mov_b32 s21, 1
	s_cbranch_vccnz .LBB17_20
; %bb.13:                               ;   in Loop: Header=BB17_3 Depth=1
	v_dual_mov_b32 v11, v9 :: v_dual_mov_b32 v10, v8
	s_mov_b32 s12, s46
.LBB17_14:                              ;   Parent Loop BB17_3 Depth=1
                                        ; =>  This Inner Loop Header: Depth=2
	s_delay_alu instid0(SALU_CYCLE_1)
	s_lshl_b64 s[34:35], s[12:13], 2
                                        ; implicit-def: $vgpr8_vgpr9
	s_mov_b32 s36, exec_lo
	s_add_u32 s30, s40, s34
	s_addc_u32 s31, s41, s35
	s_load_b32 s51, s[30:31], 0x8
	s_waitcnt lgkmcnt(0)
	s_ashr_i32 s0, s51, 31
	s_delay_alu instid0(SALU_CYCLE_1) | instskip(NEXT) | instid1(VALU_DEP_1)
	v_or_b32_e32 v3, s0, v11
	v_cmpx_ne_u64_e32 0, v[2:3]
	s_xor_b32 s52, exec_lo, s36
	s_cbranch_execz .LBB17_16
; %bb.15:                               ;   in Loop: Header=BB17_14 Depth=2
	s_add_u32 s38, s51, s0
	s_mov_b32 s36, s0
	s_mov_b32 s37, s0
	s_addc_u32 s39, s0, s0
	s_delay_alu instid0(SALU_CYCLE_1) | instskip(NEXT) | instid1(SALU_CYCLE_1)
	s_xor_b64 s[38:39], s[38:39], s[36:37]
	v_cvt_f32_u32_e32 v3, s38
	v_cvt_f32_u32_e32 v5, s39
	s_sub_u32 s0, 0, s38
	s_subb_u32 s53, 0, s39
	s_delay_alu instid0(VALU_DEP_1) | instskip(NEXT) | instid1(VALU_DEP_1)
	v_fmac_f32_e32 v3, 0x4f800000, v5
	v_rcp_f32_e32 v3, v3
	s_waitcnt_depctr 0xfff
	v_mul_f32_e32 v3, 0x5f7ffffc, v3
	s_delay_alu instid0(VALU_DEP_1) | instskip(NEXT) | instid1(VALU_DEP_1)
	v_mul_f32_e32 v5, 0x2f800000, v3
	v_trunc_f32_e32 v5, v5
	s_delay_alu instid0(VALU_DEP_1) | instskip(SKIP_1) | instid1(VALU_DEP_2)
	v_fmac_f32_e32 v3, 0xcf800000, v5
	v_cvt_u32_f32_e32 v5, v5
	v_cvt_u32_f32_e32 v3, v3
	s_delay_alu instid0(VALU_DEP_2) | instskip(NEXT) | instid1(VALU_DEP_2)
	v_mul_lo_u32 v7, s0, v5
	v_mul_hi_u32 v8, s0, v3
	v_mul_lo_u32 v9, s53, v3
	s_delay_alu instid0(VALU_DEP_2) | instskip(SKIP_1) | instid1(VALU_DEP_2)
	v_add_nc_u32_e32 v7, v8, v7
	v_mul_lo_u32 v8, s0, v3
	v_add_nc_u32_e32 v7, v7, v9
	s_delay_alu instid0(VALU_DEP_2) | instskip(NEXT) | instid1(VALU_DEP_2)
	v_mul_hi_u32 v9, v3, v8
	v_mul_lo_u32 v12, v3, v7
	v_mul_hi_u32 v13, v3, v7
	v_mul_hi_u32 v14, v5, v8
	v_mul_lo_u32 v8, v5, v8
	v_mul_hi_u32 v15, v5, v7
	v_mul_lo_u32 v7, v5, v7
	v_add_co_u32 v9, vcc_lo, v9, v12
	v_add_co_ci_u32_e32 v12, vcc_lo, 0, v13, vcc_lo
	s_delay_alu instid0(VALU_DEP_2) | instskip(NEXT) | instid1(VALU_DEP_2)
	v_add_co_u32 v8, vcc_lo, v9, v8
	v_add_co_ci_u32_e32 v8, vcc_lo, v12, v14, vcc_lo
	v_add_co_ci_u32_e32 v9, vcc_lo, 0, v15, vcc_lo
	v_ashrrev_i32_e32 v15, 31, v11
	s_delay_alu instid0(VALU_DEP_3) | instskip(NEXT) | instid1(VALU_DEP_3)
	v_add_co_u32 v7, vcc_lo, v8, v7
	v_add_co_ci_u32_e32 v8, vcc_lo, 0, v9, vcc_lo
	s_delay_alu instid0(VALU_DEP_2) | instskip(NEXT) | instid1(VALU_DEP_2)
	v_add_co_u32 v3, vcc_lo, v3, v7
	v_add_co_ci_u32_e32 v5, vcc_lo, v5, v8, vcc_lo
	s_delay_alu instid0(VALU_DEP_2) | instskip(SKIP_1) | instid1(VALU_DEP_3)
	v_mul_hi_u32 v7, s0, v3
	v_mul_lo_u32 v9, s53, v3
	v_mul_lo_u32 v8, s0, v5
	s_delay_alu instid0(VALU_DEP_1) | instskip(SKIP_1) | instid1(VALU_DEP_2)
	v_add_nc_u32_e32 v7, v7, v8
	v_mul_lo_u32 v8, s0, v3
	v_add_nc_u32_e32 v7, v7, v9
	s_delay_alu instid0(VALU_DEP_2) | instskip(NEXT) | instid1(VALU_DEP_2)
	v_mul_hi_u32 v9, v3, v8
	v_mul_lo_u32 v12, v3, v7
	v_mul_hi_u32 v13, v3, v7
	v_mul_hi_u32 v14, v5, v8
	v_mul_lo_u32 v8, v5, v8
	v_mul_hi_u32 v16, v5, v7
	v_mul_lo_u32 v7, v5, v7
	v_add_co_u32 v9, vcc_lo, v9, v12
	v_add_co_ci_u32_e32 v12, vcc_lo, 0, v13, vcc_lo
	s_delay_alu instid0(VALU_DEP_2) | instskip(NEXT) | instid1(VALU_DEP_2)
	v_add_co_u32 v8, vcc_lo, v9, v8
	v_add_co_ci_u32_e32 v8, vcc_lo, v12, v14, vcc_lo
	v_add_co_ci_u32_e32 v9, vcc_lo, 0, v16, vcc_lo
	v_add_co_u32 v12, vcc_lo, v10, v15
	v_add_co_ci_u32_e32 v11, vcc_lo, v11, v15, vcc_lo
	s_delay_alu instid0(VALU_DEP_4) | instskip(NEXT) | instid1(VALU_DEP_4)
	v_add_co_u32 v7, vcc_lo, v8, v7
	v_add_co_ci_u32_e32 v8, vcc_lo, 0, v9, vcc_lo
	s_delay_alu instid0(VALU_DEP_4) | instskip(NEXT) | instid1(VALU_DEP_3)
	v_xor_b32_e32 v9, v12, v15
	v_add_co_u32 v3, vcc_lo, v3, v7
	s_delay_alu instid0(VALU_DEP_3) | instskip(SKIP_1) | instid1(VALU_DEP_3)
	v_add_co_ci_u32_e32 v5, vcc_lo, v5, v8, vcc_lo
	v_xor_b32_e32 v16, v11, v15
	v_mul_hi_u32 v17, v9, v3
	s_delay_alu instid0(VALU_DEP_3) | instskip(NEXT) | instid1(VALU_DEP_3)
	v_mad_u64_u32 v[7:8], null, v9, v5, 0
	v_mad_u64_u32 v[11:12], null, v16, v3, 0
	;; [unrolled: 1-line block ×3, first 2 shown]
	s_delay_alu instid0(VALU_DEP_3) | instskip(NEXT) | instid1(VALU_DEP_4)
	v_add_co_u32 v3, vcc_lo, v17, v7
	v_add_co_ci_u32_e32 v5, vcc_lo, 0, v8, vcc_lo
	s_delay_alu instid0(VALU_DEP_2) | instskip(NEXT) | instid1(VALU_DEP_2)
	v_add_co_u32 v3, vcc_lo, v3, v11
	v_add_co_ci_u32_e32 v3, vcc_lo, v5, v12, vcc_lo
	v_add_co_ci_u32_e32 v5, vcc_lo, 0, v14, vcc_lo
	s_delay_alu instid0(VALU_DEP_2) | instskip(NEXT) | instid1(VALU_DEP_2)
	v_add_co_u32 v3, vcc_lo, v3, v13
	v_add_co_ci_u32_e32 v5, vcc_lo, 0, v5, vcc_lo
	s_delay_alu instid0(VALU_DEP_2) | instskip(SKIP_1) | instid1(VALU_DEP_3)
	v_mul_lo_u32 v11, s39, v3
	v_mad_u64_u32 v[7:8], null, s38, v3, 0
	v_mul_lo_u32 v12, s38, v5
	s_delay_alu instid0(VALU_DEP_2) | instskip(NEXT) | instid1(VALU_DEP_2)
	v_sub_co_u32 v7, vcc_lo, v9, v7
	v_add3_u32 v8, v8, v12, v11
	s_delay_alu instid0(VALU_DEP_1) | instskip(NEXT) | instid1(VALU_DEP_1)
	v_sub_nc_u32_e32 v11, v16, v8
	v_subrev_co_ci_u32_e64 v9, s0, s39, v11, vcc_lo
	v_add_co_u32 v11, s0, v3, 2
	s_delay_alu instid0(VALU_DEP_1) | instskip(SKIP_3) | instid1(VALU_DEP_3)
	v_add_co_ci_u32_e64 v12, s0, 0, v5, s0
	v_sub_co_u32 v13, s0, v7, s38
	v_sub_co_ci_u32_e32 v8, vcc_lo, v16, v8, vcc_lo
	v_subrev_co_ci_u32_e64 v9, s0, 0, v9, s0
	v_cmp_le_u32_e32 vcc_lo, s38, v13
	s_delay_alu instid0(VALU_DEP_3) | instskip(SKIP_1) | instid1(VALU_DEP_4)
	v_cmp_eq_u32_e64 s0, s39, v8
	v_cndmask_b32_e64 v13, 0, -1, vcc_lo
	v_cmp_le_u32_e32 vcc_lo, s39, v9
	v_cndmask_b32_e64 v14, 0, -1, vcc_lo
	v_cmp_le_u32_e32 vcc_lo, s38, v7
	;; [unrolled: 2-line block ×3, first 2 shown]
	v_cndmask_b32_e64 v16, 0, -1, vcc_lo
	v_cmp_eq_u32_e32 vcc_lo, s39, v9
	s_delay_alu instid0(VALU_DEP_2) | instskip(SKIP_3) | instid1(VALU_DEP_3)
	v_cndmask_b32_e64 v7, v16, v7, s0
	v_cndmask_b32_e32 v9, v14, v13, vcc_lo
	v_add_co_u32 v13, vcc_lo, v3, 1
	v_add_co_ci_u32_e32 v14, vcc_lo, 0, v5, vcc_lo
	v_cmp_ne_u32_e32 vcc_lo, 0, v9
	s_delay_alu instid0(VALU_DEP_2) | instskip(SKIP_2) | instid1(VALU_DEP_3)
	v_dual_cndmask_b32 v8, v14, v12 :: v_dual_cndmask_b32 v9, v13, v11
	v_cmp_ne_u32_e32 vcc_lo, 0, v7
	v_xor_b32_e32 v7, s36, v15
	v_cndmask_b32_e32 v3, v3, v9, vcc_lo
	s_delay_alu instid0(VALU_DEP_4) | instskip(SKIP_1) | instid1(VALU_DEP_3)
	v_cndmask_b32_e32 v5, v5, v8, vcc_lo
	v_xor_b32_e32 v9, s37, v15
	v_xor_b32_e32 v3, v3, v7
	s_delay_alu instid0(VALU_DEP_2) | instskip(NEXT) | instid1(VALU_DEP_2)
	v_xor_b32_e32 v5, v5, v9
	v_sub_co_u32 v8, vcc_lo, v3, v7
	s_delay_alu instid0(VALU_DEP_2)
	v_sub_co_ci_u32_e32 v9, vcc_lo, v5, v9, vcc_lo
.LBB17_16:                              ;   in Loop: Header=BB17_14 Depth=2
	s_and_not1_saveexec_b32 s0, s52
	s_cbranch_execz .LBB17_18
; %bb.17:                               ;   in Loop: Header=BB17_14 Depth=2
	v_cvt_f32_u32_e32 v3, s51
	s_sub_i32 s36, 0, s51
	v_mov_b32_e32 v9, v2
	s_delay_alu instid0(VALU_DEP_2) | instskip(SKIP_2) | instid1(VALU_DEP_1)
	v_rcp_iflag_f32_e32 v3, v3
	s_waitcnt_depctr 0xfff
	v_mul_f32_e32 v3, 0x4f7ffffe, v3
	v_cvt_u32_f32_e32 v3, v3
	s_delay_alu instid0(VALU_DEP_1) | instskip(NEXT) | instid1(VALU_DEP_1)
	v_mul_lo_u32 v5, s36, v3
	v_mul_hi_u32 v5, v3, v5
	s_delay_alu instid0(VALU_DEP_1) | instskip(NEXT) | instid1(VALU_DEP_1)
	v_add_nc_u32_e32 v3, v3, v5
	v_mul_hi_u32 v3, v10, v3
	s_delay_alu instid0(VALU_DEP_1) | instskip(SKIP_1) | instid1(VALU_DEP_2)
	v_mul_lo_u32 v5, v3, s51
	v_add_nc_u32_e32 v7, 1, v3
	v_sub_nc_u32_e32 v5, v10, v5
	s_delay_alu instid0(VALU_DEP_1) | instskip(SKIP_1) | instid1(VALU_DEP_4)
	v_cmp_le_u32_e32 vcc_lo, s51, v5
	v_subrev_nc_u32_e32 v8, s51, v5
	v_cndmask_b32_e32 v3, v3, v7, vcc_lo
	s_delay_alu instid0(VALU_DEP_1) | instskip(NEXT) | instid1(VALU_DEP_3)
	v_add_nc_u32_e32 v7, 1, v3
	v_cndmask_b32_e32 v5, v5, v8, vcc_lo
	s_delay_alu instid0(VALU_DEP_1) | instskip(NEXT) | instid1(VALU_DEP_3)
	v_cmp_le_u32_e32 vcc_lo, s51, v5
	v_cndmask_b32_e32 v8, v3, v7, vcc_lo
.LBB17_18:                              ;   in Loop: Header=BB17_14 Depth=2
	s_or_b32 exec_lo, exec_lo, s0
	s_add_u32 s34, s44, s34
	s_addc_u32 s35, s1, s35
	s_clause 0x1
	s_load_b32 s0, s[30:31], 0x6c
	s_load_b32 s30, s[34:35], 0x0
	v_mul_lo_u32 v3, v8, s51
	s_add_i32 s12, s12, -1
	s_delay_alu instid0(VALU_DEP_1) | instskip(SKIP_1) | instid1(VALU_DEP_1)
	v_sub_nc_u32_e32 v3, v10, v3
	s_waitcnt lgkmcnt(0)
	v_mad_u64_u32 v[10:11], null, s0, v3, v[6:7]
	v_mad_u64_u32 v[5:6], null, s30, v3, v[4:5]
	s_xor_b32 s0, s47, s21
	s_add_i32 s21, s21, 1
	s_cmp_lg_u32 s0, 2
	s_delay_alu instid0(VALU_DEP_2) | instskip(NEXT) | instid1(VALU_DEP_2)
	v_mov_b32_e32 v6, v10
	v_mov_b32_e32 v4, v5
	s_cbranch_scc0 .LBB17_21
; %bb.19:                               ;   in Loop: Header=BB17_14 Depth=2
	v_dual_mov_b32 v11, v9 :: v_dual_mov_b32 v10, v8
	s_branch .LBB17_14
.LBB17_20:                              ;   in Loop: Header=BB17_3 Depth=1
	s_mov_b32 s12, s46
.LBB17_21:                              ;   in Loop: Header=BB17_3 Depth=1
	s_and_b32 vcc_lo, exec_lo, s50
	s_cbranch_vccz .LBB17_40
.LBB17_22:                              ;   Parent Loop BB17_3 Depth=1
                                        ; =>  This Inner Loop Header: Depth=2
	s_lshl_b64 s[30:31], s[12:13], 2
                                        ; implicit-def: $vgpr10_vgpr11
	s_mov_b32 s36, exec_lo
	s_add_u32 s34, s40, s30
	s_addc_u32 s35, s41, s31
	s_load_b32 s21, s[34:35], 0x8
	s_waitcnt lgkmcnt(0)
	s_ashr_i32 s0, s21, 31
	s_delay_alu instid0(SALU_CYCLE_1) | instskip(NEXT) | instid1(VALU_DEP_1)
	v_or_b32_e32 v3, s0, v9
	v_cmpx_ne_u64_e32 0, v[2:3]
	s_xor_b32 s51, exec_lo, s36
	s_cbranch_execz .LBB17_24
; %bb.23:                               ;   in Loop: Header=BB17_22 Depth=2
	s_add_u32 s38, s21, s0
	s_mov_b32 s36, s0
	s_mov_b32 s37, s0
	s_addc_u32 s39, s0, s0
	s_delay_alu instid0(SALU_CYCLE_1) | instskip(NEXT) | instid1(SALU_CYCLE_1)
	s_xor_b64 s[38:39], s[38:39], s[36:37]
	v_cvt_f32_u32_e32 v3, s38
	v_cvt_f32_u32_e32 v5, s39
	s_sub_u32 s0, 0, s38
	s_subb_u32 s52, 0, s39
	s_delay_alu instid0(VALU_DEP_1) | instskip(NEXT) | instid1(VALU_DEP_1)
	v_fmac_f32_e32 v3, 0x4f800000, v5
	v_rcp_f32_e32 v3, v3
	s_waitcnt_depctr 0xfff
	v_mul_f32_e32 v3, 0x5f7ffffc, v3
	s_delay_alu instid0(VALU_DEP_1) | instskip(NEXT) | instid1(VALU_DEP_1)
	v_mul_f32_e32 v5, 0x2f800000, v3
	v_trunc_f32_e32 v5, v5
	s_delay_alu instid0(VALU_DEP_1) | instskip(SKIP_1) | instid1(VALU_DEP_2)
	v_fmac_f32_e32 v3, 0xcf800000, v5
	v_cvt_u32_f32_e32 v5, v5
	v_cvt_u32_f32_e32 v3, v3
	s_delay_alu instid0(VALU_DEP_2) | instskip(NEXT) | instid1(VALU_DEP_2)
	v_mul_lo_u32 v7, s0, v5
	v_mul_hi_u32 v10, s0, v3
	v_mul_lo_u32 v11, s52, v3
	s_delay_alu instid0(VALU_DEP_2) | instskip(SKIP_1) | instid1(VALU_DEP_2)
	v_add_nc_u32_e32 v7, v10, v7
	v_mul_lo_u32 v10, s0, v3
	v_add_nc_u32_e32 v7, v7, v11
	s_delay_alu instid0(VALU_DEP_2) | instskip(NEXT) | instid1(VALU_DEP_2)
	v_mul_hi_u32 v11, v3, v10
	v_mul_lo_u32 v12, v3, v7
	v_mul_hi_u32 v13, v3, v7
	v_mul_hi_u32 v14, v5, v10
	v_mul_lo_u32 v10, v5, v10
	v_mul_hi_u32 v15, v5, v7
	v_mul_lo_u32 v7, v5, v7
	v_add_co_u32 v11, vcc_lo, v11, v12
	v_add_co_ci_u32_e32 v12, vcc_lo, 0, v13, vcc_lo
	s_delay_alu instid0(VALU_DEP_2) | instskip(NEXT) | instid1(VALU_DEP_2)
	v_add_co_u32 v10, vcc_lo, v11, v10
	v_add_co_ci_u32_e32 v10, vcc_lo, v12, v14, vcc_lo
	v_add_co_ci_u32_e32 v11, vcc_lo, 0, v15, vcc_lo
	v_ashrrev_i32_e32 v15, 31, v9
	s_delay_alu instid0(VALU_DEP_3) | instskip(NEXT) | instid1(VALU_DEP_3)
	v_add_co_u32 v7, vcc_lo, v10, v7
	v_add_co_ci_u32_e32 v10, vcc_lo, 0, v11, vcc_lo
	s_delay_alu instid0(VALU_DEP_2) | instskip(NEXT) | instid1(VALU_DEP_2)
	v_add_co_u32 v3, vcc_lo, v3, v7
	v_add_co_ci_u32_e32 v5, vcc_lo, v5, v10, vcc_lo
	s_delay_alu instid0(VALU_DEP_2) | instskip(SKIP_1) | instid1(VALU_DEP_3)
	v_mul_hi_u32 v7, s0, v3
	v_mul_lo_u32 v11, s52, v3
	v_mul_lo_u32 v10, s0, v5
	s_delay_alu instid0(VALU_DEP_1) | instskip(SKIP_1) | instid1(VALU_DEP_2)
	v_add_nc_u32_e32 v7, v7, v10
	v_mul_lo_u32 v10, s0, v3
	v_add_nc_u32_e32 v7, v7, v11
	s_delay_alu instid0(VALU_DEP_2) | instskip(NEXT) | instid1(VALU_DEP_2)
	v_mul_hi_u32 v11, v3, v10
	v_mul_lo_u32 v12, v3, v7
	v_mul_hi_u32 v13, v3, v7
	v_mul_hi_u32 v14, v5, v10
	v_mul_lo_u32 v10, v5, v10
	v_mul_hi_u32 v16, v5, v7
	v_mul_lo_u32 v7, v5, v7
	v_add_co_u32 v11, vcc_lo, v11, v12
	v_add_co_ci_u32_e32 v12, vcc_lo, 0, v13, vcc_lo
	s_delay_alu instid0(VALU_DEP_2) | instskip(NEXT) | instid1(VALU_DEP_2)
	v_add_co_u32 v10, vcc_lo, v11, v10
	v_add_co_ci_u32_e32 v10, vcc_lo, v12, v14, vcc_lo
	v_add_co_ci_u32_e32 v11, vcc_lo, 0, v16, vcc_lo
	v_add_co_u32 v12, vcc_lo, v8, v15
	v_add_co_ci_u32_e32 v9, vcc_lo, v9, v15, vcc_lo
	s_delay_alu instid0(VALU_DEP_4) | instskip(NEXT) | instid1(VALU_DEP_4)
	v_add_co_u32 v7, vcc_lo, v10, v7
	v_add_co_ci_u32_e32 v10, vcc_lo, 0, v11, vcc_lo
	s_delay_alu instid0(VALU_DEP_4) | instskip(NEXT) | instid1(VALU_DEP_3)
	v_xor_b32_e32 v16, v12, v15
	v_add_co_u32 v3, vcc_lo, v3, v7
	s_delay_alu instid0(VALU_DEP_3) | instskip(SKIP_1) | instid1(VALU_DEP_3)
	v_add_co_ci_u32_e32 v5, vcc_lo, v5, v10, vcc_lo
	v_xor_b32_e32 v7, v9, v15
	v_mul_hi_u32 v17, v16, v3
	s_delay_alu instid0(VALU_DEP_3) | instskip(NEXT) | instid1(VALU_DEP_3)
	v_mad_u64_u32 v[9:10], null, v16, v5, 0
	v_mad_u64_u32 v[11:12], null, v7, v3, 0
	;; [unrolled: 1-line block ×3, first 2 shown]
	s_delay_alu instid0(VALU_DEP_3) | instskip(NEXT) | instid1(VALU_DEP_4)
	v_add_co_u32 v3, vcc_lo, v17, v9
	v_add_co_ci_u32_e32 v5, vcc_lo, 0, v10, vcc_lo
	s_delay_alu instid0(VALU_DEP_2) | instskip(NEXT) | instid1(VALU_DEP_2)
	v_add_co_u32 v3, vcc_lo, v3, v11
	v_add_co_ci_u32_e32 v3, vcc_lo, v5, v12, vcc_lo
	v_add_co_ci_u32_e32 v5, vcc_lo, 0, v14, vcc_lo
	s_delay_alu instid0(VALU_DEP_2) | instskip(NEXT) | instid1(VALU_DEP_2)
	v_add_co_u32 v3, vcc_lo, v3, v13
	v_add_co_ci_u32_e32 v5, vcc_lo, 0, v5, vcc_lo
	s_delay_alu instid0(VALU_DEP_2) | instskip(SKIP_1) | instid1(VALU_DEP_3)
	v_mul_lo_u32 v11, s39, v3
	v_mad_u64_u32 v[9:10], null, s38, v3, 0
	v_mul_lo_u32 v12, s38, v5
	s_delay_alu instid0(VALU_DEP_2) | instskip(NEXT) | instid1(VALU_DEP_2)
	v_sub_co_u32 v9, vcc_lo, v16, v9
	v_add3_u32 v10, v10, v12, v11
	s_delay_alu instid0(VALU_DEP_1) | instskip(NEXT) | instid1(VALU_DEP_1)
	v_sub_nc_u32_e32 v11, v7, v10
	v_subrev_co_ci_u32_e64 v11, s0, s39, v11, vcc_lo
	v_add_co_u32 v12, s0, v3, 2
	s_delay_alu instid0(VALU_DEP_1) | instskip(SKIP_3) | instid1(VALU_DEP_3)
	v_add_co_ci_u32_e64 v13, s0, 0, v5, s0
	v_sub_co_u32 v14, s0, v9, s38
	v_sub_co_ci_u32_e32 v7, vcc_lo, v7, v10, vcc_lo
	v_subrev_co_ci_u32_e64 v11, s0, 0, v11, s0
	v_cmp_le_u32_e32 vcc_lo, s38, v14
	s_delay_alu instid0(VALU_DEP_3) | instskip(SKIP_1) | instid1(VALU_DEP_4)
	v_cmp_eq_u32_e64 s0, s39, v7
	v_cndmask_b32_e64 v10, 0, -1, vcc_lo
	v_cmp_le_u32_e32 vcc_lo, s39, v11
	v_cndmask_b32_e64 v14, 0, -1, vcc_lo
	v_cmp_le_u32_e32 vcc_lo, s38, v9
	;; [unrolled: 2-line block ×3, first 2 shown]
	v_cndmask_b32_e64 v16, 0, -1, vcc_lo
	v_cmp_eq_u32_e32 vcc_lo, s39, v11
	s_delay_alu instid0(VALU_DEP_2) | instskip(SKIP_3) | instid1(VALU_DEP_3)
	v_cndmask_b32_e64 v7, v16, v9, s0
	v_cndmask_b32_e32 v10, v14, v10, vcc_lo
	v_add_co_u32 v11, vcc_lo, v3, 1
	v_add_co_ci_u32_e32 v14, vcc_lo, 0, v5, vcc_lo
	v_cmp_ne_u32_e32 vcc_lo, 0, v10
	s_delay_alu instid0(VALU_DEP_2) | instskip(SKIP_2) | instid1(VALU_DEP_3)
	v_dual_cndmask_b32 v10, v11, v12 :: v_dual_cndmask_b32 v9, v14, v13
	v_cmp_ne_u32_e32 vcc_lo, 0, v7
	v_xor_b32_e32 v7, s36, v15
	v_cndmask_b32_e32 v3, v3, v10, vcc_lo
	s_delay_alu instid0(VALU_DEP_4) | instskip(SKIP_1) | instid1(VALU_DEP_3)
	v_cndmask_b32_e32 v5, v5, v9, vcc_lo
	v_xor_b32_e32 v9, s37, v15
	v_xor_b32_e32 v3, v3, v7
	s_delay_alu instid0(VALU_DEP_2) | instskip(NEXT) | instid1(VALU_DEP_2)
	v_xor_b32_e32 v5, v5, v9
	v_sub_co_u32 v10, vcc_lo, v3, v7
	s_delay_alu instid0(VALU_DEP_2)
	v_sub_co_ci_u32_e32 v11, vcc_lo, v5, v9, vcc_lo
.LBB17_24:                              ;   in Loop: Header=BB17_22 Depth=2
	s_and_not1_saveexec_b32 s0, s51
	s_cbranch_execz .LBB17_26
; %bb.25:                               ;   in Loop: Header=BB17_22 Depth=2
	v_cvt_f32_u32_e32 v3, s21
	s_sub_i32 s36, 0, s21
	v_mov_b32_e32 v11, v2
	s_delay_alu instid0(VALU_DEP_2) | instskip(SKIP_2) | instid1(VALU_DEP_1)
	v_rcp_iflag_f32_e32 v3, v3
	s_waitcnt_depctr 0xfff
	v_mul_f32_e32 v3, 0x4f7ffffe, v3
	v_cvt_u32_f32_e32 v3, v3
	s_delay_alu instid0(VALU_DEP_1) | instskip(NEXT) | instid1(VALU_DEP_1)
	v_mul_lo_u32 v5, s36, v3
	v_mul_hi_u32 v5, v3, v5
	s_delay_alu instid0(VALU_DEP_1) | instskip(NEXT) | instid1(VALU_DEP_1)
	v_add_nc_u32_e32 v3, v3, v5
	v_mul_hi_u32 v3, v8, v3
	s_delay_alu instid0(VALU_DEP_1) | instskip(SKIP_1) | instid1(VALU_DEP_2)
	v_mul_lo_u32 v5, v3, s21
	v_add_nc_u32_e32 v7, 1, v3
	v_sub_nc_u32_e32 v5, v8, v5
	s_delay_alu instid0(VALU_DEP_1) | instskip(SKIP_1) | instid1(VALU_DEP_4)
	v_cmp_le_u32_e32 vcc_lo, s21, v5
	v_subrev_nc_u32_e32 v9, s21, v5
	v_cndmask_b32_e32 v3, v3, v7, vcc_lo
	s_delay_alu instid0(VALU_DEP_1) | instskip(NEXT) | instid1(VALU_DEP_3)
	v_add_nc_u32_e32 v7, 1, v3
	v_cndmask_b32_e32 v5, v5, v9, vcc_lo
	s_delay_alu instid0(VALU_DEP_1) | instskip(NEXT) | instid1(VALU_DEP_3)
	v_cmp_le_u32_e32 vcc_lo, s21, v5
	v_cndmask_b32_e32 v10, v3, v7, vcc_lo
.LBB17_26:                              ;   in Loop: Header=BB17_22 Depth=2
	s_or_b32 exec_lo, exec_lo, s0
	s_add_u32 s38, s44, s30
	s_addc_u32 s39, s1, s31
	s_add_i32 s30, s12, -1
	s_mov_b32 s31, s13
                                        ; implicit-def: $vgpr12_vgpr13
	s_delay_alu instid0(SALU_CYCLE_1) | instskip(NEXT) | instid1(SALU_CYCLE_1)
	s_lshl_b64 s[36:37], s[30:31], 2
	s_add_u32 s30, s40, s36
	s_addc_u32 s31, s41, s37
	s_clause 0x2
	s_load_b32 s53, s[30:31], 0x8
	s_load_b32 s51, s[34:35], 0x6c
	;; [unrolled: 1-line block ×3, first 2 shown]
	s_mov_b32 s34, exec_lo
	s_waitcnt lgkmcnt(0)
	s_ashr_i32 s0, s53, 31
	s_delay_alu instid0(SALU_CYCLE_1) | instskip(NEXT) | instid1(VALU_DEP_1)
	v_or_b32_e32 v3, s0, v11
	v_cmpx_ne_u64_e32 0, v[2:3]
	s_xor_b32 s54, exec_lo, s34
	s_cbranch_execz .LBB17_28
; %bb.27:                               ;   in Loop: Header=BB17_22 Depth=2
	s_add_u32 s38, s53, s0
	s_mov_b32 s34, s0
	s_mov_b32 s35, s0
	s_addc_u32 s39, s0, s0
	v_ashrrev_i32_e32 v17, 31, v11
	s_xor_b64 s[38:39], s[38:39], s[34:35]
	s_delay_alu instid0(SALU_CYCLE_1) | instskip(SKIP_3) | instid1(VALU_DEP_1)
	v_cvt_f32_u32_e32 v3, s38
	v_cvt_f32_u32_e32 v5, s39
	s_sub_u32 s0, 0, s38
	s_subb_u32 s55, 0, s39
	v_fmac_f32_e32 v3, 0x4f800000, v5
	s_delay_alu instid0(VALU_DEP_1) | instskip(SKIP_2) | instid1(VALU_DEP_1)
	v_rcp_f32_e32 v3, v3
	s_waitcnt_depctr 0xfff
	v_mul_f32_e32 v3, 0x5f7ffffc, v3
	v_mul_f32_e32 v5, 0x2f800000, v3
	s_delay_alu instid0(VALU_DEP_1) | instskip(NEXT) | instid1(VALU_DEP_1)
	v_trunc_f32_e32 v5, v5
	v_fmac_f32_e32 v3, 0xcf800000, v5
	v_cvt_u32_f32_e32 v5, v5
	s_delay_alu instid0(VALU_DEP_2) | instskip(NEXT) | instid1(VALU_DEP_2)
	v_cvt_u32_f32_e32 v3, v3
	v_mul_lo_u32 v7, s0, v5
	s_delay_alu instid0(VALU_DEP_2) | instskip(SKIP_1) | instid1(VALU_DEP_2)
	v_mul_hi_u32 v9, s0, v3
	v_mul_lo_u32 v12, s55, v3
	v_add_nc_u32_e32 v7, v9, v7
	v_mul_lo_u32 v9, s0, v3
	s_delay_alu instid0(VALU_DEP_2) | instskip(NEXT) | instid1(VALU_DEP_2)
	v_add_nc_u32_e32 v7, v7, v12
	v_mul_hi_u32 v12, v3, v9
	s_delay_alu instid0(VALU_DEP_2)
	v_mul_lo_u32 v13, v3, v7
	v_mul_hi_u32 v14, v3, v7
	v_mul_hi_u32 v15, v5, v9
	v_mul_lo_u32 v9, v5, v9
	v_mul_hi_u32 v16, v5, v7
	v_mul_lo_u32 v7, v5, v7
	v_add_co_u32 v12, vcc_lo, v12, v13
	v_add_co_ci_u32_e32 v13, vcc_lo, 0, v14, vcc_lo
	s_delay_alu instid0(VALU_DEP_2) | instskip(NEXT) | instid1(VALU_DEP_2)
	v_add_co_u32 v9, vcc_lo, v12, v9
	v_add_co_ci_u32_e32 v9, vcc_lo, v13, v15, vcc_lo
	v_add_co_ci_u32_e32 v12, vcc_lo, 0, v16, vcc_lo
	s_delay_alu instid0(VALU_DEP_2) | instskip(NEXT) | instid1(VALU_DEP_2)
	v_add_co_u32 v7, vcc_lo, v9, v7
	v_add_co_ci_u32_e32 v9, vcc_lo, 0, v12, vcc_lo
	s_delay_alu instid0(VALU_DEP_2) | instskip(NEXT) | instid1(VALU_DEP_2)
	v_add_co_u32 v3, vcc_lo, v3, v7
	v_add_co_ci_u32_e32 v5, vcc_lo, v5, v9, vcc_lo
	s_delay_alu instid0(VALU_DEP_2) | instskip(SKIP_1) | instid1(VALU_DEP_3)
	v_mul_hi_u32 v7, s0, v3
	v_mul_lo_u32 v12, s55, v3
	v_mul_lo_u32 v9, s0, v5
	s_delay_alu instid0(VALU_DEP_1) | instskip(SKIP_1) | instid1(VALU_DEP_2)
	v_add_nc_u32_e32 v7, v7, v9
	v_mul_lo_u32 v9, s0, v3
	v_add_nc_u32_e32 v7, v7, v12
	s_delay_alu instid0(VALU_DEP_2) | instskip(NEXT) | instid1(VALU_DEP_2)
	v_mul_hi_u32 v12, v3, v9
	v_mul_lo_u32 v13, v3, v7
	v_mul_hi_u32 v14, v3, v7
	v_mul_hi_u32 v15, v5, v9
	v_mul_lo_u32 v9, v5, v9
	v_mul_hi_u32 v16, v5, v7
	v_mul_lo_u32 v7, v5, v7
	v_add_co_u32 v12, vcc_lo, v12, v13
	v_add_co_ci_u32_e32 v13, vcc_lo, 0, v14, vcc_lo
	s_delay_alu instid0(VALU_DEP_2) | instskip(NEXT) | instid1(VALU_DEP_2)
	v_add_co_u32 v9, vcc_lo, v12, v9
	v_add_co_ci_u32_e32 v9, vcc_lo, v13, v15, vcc_lo
	v_add_co_ci_u32_e32 v12, vcc_lo, 0, v16, vcc_lo
	v_add_co_u32 v13, vcc_lo, v10, v17
	v_add_co_ci_u32_e32 v11, vcc_lo, v11, v17, vcc_lo
	s_delay_alu instid0(VALU_DEP_4) | instskip(NEXT) | instid1(VALU_DEP_4)
	v_add_co_u32 v7, vcc_lo, v9, v7
	v_add_co_ci_u32_e32 v9, vcc_lo, 0, v12, vcc_lo
	s_delay_alu instid0(VALU_DEP_4) | instskip(NEXT) | instid1(VALU_DEP_3)
	v_xor_b32_e32 v21, v13, v17
	v_add_co_u32 v3, vcc_lo, v3, v7
	s_delay_alu instid0(VALU_DEP_3) | instskip(SKIP_1) | instid1(VALU_DEP_3)
	v_add_co_ci_u32_e32 v5, vcc_lo, v5, v9, vcc_lo
	v_xor_b32_e32 v7, v11, v17
	v_mul_hi_u32 v9, v21, v3
	s_delay_alu instid0(VALU_DEP_3) | instskip(NEXT) | instid1(VALU_DEP_3)
	v_mad_u64_u32 v[11:12], null, v21, v5, 0
	v_mad_u64_u32 v[13:14], null, v7, v3, 0
	;; [unrolled: 1-line block ×3, first 2 shown]
	s_delay_alu instid0(VALU_DEP_3) | instskip(NEXT) | instid1(VALU_DEP_4)
	v_add_co_u32 v3, vcc_lo, v9, v11
	v_add_co_ci_u32_e32 v5, vcc_lo, 0, v12, vcc_lo
	s_delay_alu instid0(VALU_DEP_2) | instskip(NEXT) | instid1(VALU_DEP_2)
	v_add_co_u32 v3, vcc_lo, v3, v13
	v_add_co_ci_u32_e32 v3, vcc_lo, v5, v14, vcc_lo
	v_add_co_ci_u32_e32 v5, vcc_lo, 0, v16, vcc_lo
	s_delay_alu instid0(VALU_DEP_2) | instskip(NEXT) | instid1(VALU_DEP_2)
	v_add_co_u32 v3, vcc_lo, v3, v15
	v_add_co_ci_u32_e32 v5, vcc_lo, 0, v5, vcc_lo
	s_delay_alu instid0(VALU_DEP_2) | instskip(SKIP_1) | instid1(VALU_DEP_3)
	v_mul_lo_u32 v9, s39, v3
	v_mad_u64_u32 v[11:12], null, s38, v3, 0
	v_mul_lo_u32 v13, s38, v5
	s_delay_alu instid0(VALU_DEP_2) | instskip(NEXT) | instid1(VALU_DEP_2)
	v_sub_co_u32 v11, vcc_lo, v21, v11
	v_add3_u32 v9, v12, v13, v9
	s_delay_alu instid0(VALU_DEP_1) | instskip(NEXT) | instid1(VALU_DEP_1)
	v_sub_nc_u32_e32 v12, v7, v9
	v_subrev_co_ci_u32_e64 v12, s0, s39, v12, vcc_lo
	v_add_co_u32 v13, s0, v3, 2
	s_delay_alu instid0(VALU_DEP_1) | instskip(SKIP_3) | instid1(VALU_DEP_3)
	v_add_co_ci_u32_e64 v14, s0, 0, v5, s0
	v_sub_co_u32 v15, s0, v11, s38
	v_sub_co_ci_u32_e32 v7, vcc_lo, v7, v9, vcc_lo
	v_subrev_co_ci_u32_e64 v12, s0, 0, v12, s0
	v_cmp_le_u32_e32 vcc_lo, s38, v15
	s_delay_alu instid0(VALU_DEP_3) | instskip(SKIP_1) | instid1(VALU_DEP_4)
	v_cmp_eq_u32_e64 s0, s39, v7
	v_cndmask_b32_e64 v9, 0, -1, vcc_lo
	v_cmp_le_u32_e32 vcc_lo, s39, v12
	v_cndmask_b32_e64 v15, 0, -1, vcc_lo
	v_cmp_le_u32_e32 vcc_lo, s38, v11
	;; [unrolled: 2-line block ×3, first 2 shown]
	v_cndmask_b32_e64 v16, 0, -1, vcc_lo
	v_cmp_eq_u32_e32 vcc_lo, s39, v12
	s_delay_alu instid0(VALU_DEP_2) | instskip(SKIP_3) | instid1(VALU_DEP_3)
	v_cndmask_b32_e64 v7, v16, v11, s0
	v_cndmask_b32_e32 v9, v15, v9, vcc_lo
	v_add_co_u32 v12, vcc_lo, v3, 1
	v_add_co_ci_u32_e32 v15, vcc_lo, 0, v5, vcc_lo
	v_cmp_ne_u32_e32 vcc_lo, 0, v9
	s_delay_alu instid0(VALU_DEP_2) | instskip(NEXT) | instid1(VALU_DEP_4)
	v_cndmask_b32_e32 v9, v15, v14, vcc_lo
	v_cndmask_b32_e32 v11, v12, v13, vcc_lo
	v_cmp_ne_u32_e32 vcc_lo, 0, v7
	v_xor_b32_e32 v7, s34, v17
	s_delay_alu instid0(VALU_DEP_3) | instskip(SKIP_2) | instid1(VALU_DEP_3)
	v_cndmask_b32_e32 v3, v3, v11, vcc_lo
	v_cndmask_b32_e32 v5, v5, v9, vcc_lo
	v_xor_b32_e32 v9, s35, v17
	v_xor_b32_e32 v3, v3, v7
	s_delay_alu instid0(VALU_DEP_2) | instskip(NEXT) | instid1(VALU_DEP_2)
	v_xor_b32_e32 v5, v5, v9
	v_sub_co_u32 v12, vcc_lo, v3, v7
	s_delay_alu instid0(VALU_DEP_2)
	v_sub_co_ci_u32_e32 v13, vcc_lo, v5, v9, vcc_lo
.LBB17_28:                              ;   in Loop: Header=BB17_22 Depth=2
	s_and_not1_saveexec_b32 s0, s54
	s_cbranch_execz .LBB17_30
; %bb.29:                               ;   in Loop: Header=BB17_22 Depth=2
	v_cvt_f32_u32_e32 v3, s53
	s_sub_i32 s34, 0, s53
	v_mov_b32_e32 v13, v2
	s_delay_alu instid0(VALU_DEP_2) | instskip(SKIP_2) | instid1(VALU_DEP_1)
	v_rcp_iflag_f32_e32 v3, v3
	s_waitcnt_depctr 0xfff
	v_mul_f32_e32 v3, 0x4f7ffffe, v3
	v_cvt_u32_f32_e32 v3, v3
	s_delay_alu instid0(VALU_DEP_1) | instskip(NEXT) | instid1(VALU_DEP_1)
	v_mul_lo_u32 v5, s34, v3
	v_mul_hi_u32 v5, v3, v5
	s_delay_alu instid0(VALU_DEP_1) | instskip(NEXT) | instid1(VALU_DEP_1)
	v_add_nc_u32_e32 v3, v3, v5
	v_mul_hi_u32 v3, v10, v3
	s_delay_alu instid0(VALU_DEP_1) | instskip(SKIP_1) | instid1(VALU_DEP_2)
	v_mul_lo_u32 v5, v3, s53
	v_add_nc_u32_e32 v7, 1, v3
	v_sub_nc_u32_e32 v5, v10, v5
	s_delay_alu instid0(VALU_DEP_1) | instskip(SKIP_1) | instid1(VALU_DEP_4)
	v_cmp_le_u32_e32 vcc_lo, s53, v5
	v_subrev_nc_u32_e32 v9, s53, v5
	v_cndmask_b32_e32 v3, v3, v7, vcc_lo
	s_delay_alu instid0(VALU_DEP_1) | instskip(NEXT) | instid1(VALU_DEP_3)
	v_add_nc_u32_e32 v7, 1, v3
	v_cndmask_b32_e32 v5, v5, v9, vcc_lo
	s_delay_alu instid0(VALU_DEP_1) | instskip(NEXT) | instid1(VALU_DEP_3)
	v_cmp_le_u32_e32 vcc_lo, s53, v5
	v_cndmask_b32_e32 v12, v3, v7, vcc_lo
.LBB17_30:                              ;   in Loop: Header=BB17_22 Depth=2
	s_or_b32 exec_lo, exec_lo, s0
	s_add_u32 s38, s44, s36
	s_addc_u32 s39, s1, s37
	s_add_i32 s34, s12, -2
	s_mov_b32 s35, s13
                                        ; implicit-def: $vgpr14_vgpr15
	s_delay_alu instid0(SALU_CYCLE_1) | instskip(NEXT) | instid1(SALU_CYCLE_1)
	s_lshl_b64 s[34:35], s[34:35], 2
	s_add_u32 s36, s40, s34
	s_addc_u32 s37, s41, s35
	s_clause 0x2
	s_load_b32 s56, s[36:37], 0x8
	s_load_b32 s54, s[30:31], 0x6c
	;; [unrolled: 1-line block ×3, first 2 shown]
	s_mov_b32 s30, exec_lo
	s_waitcnt lgkmcnt(0)
	s_ashr_i32 s0, s56, 31
	s_delay_alu instid0(SALU_CYCLE_1) | instskip(NEXT) | instid1(VALU_DEP_1)
	v_or_b32_e32 v3, s0, v13
	v_cmpx_ne_u64_e32 0, v[2:3]
	s_xor_b32 s57, exec_lo, s30
	s_cbranch_execz .LBB17_32
; %bb.31:                               ;   in Loop: Header=BB17_22 Depth=2
	s_add_u32 s38, s56, s0
	s_mov_b32 s30, s0
	s_mov_b32 s31, s0
	s_addc_u32 s39, s0, s0
	s_delay_alu instid0(SALU_CYCLE_1) | instskip(NEXT) | instid1(SALU_CYCLE_1)
	s_xor_b64 s[38:39], s[38:39], s[30:31]
	v_cvt_f32_u32_e32 v3, s38
	v_cvt_f32_u32_e32 v5, s39
	s_sub_u32 s0, 0, s38
	s_subb_u32 s58, 0, s39
	s_delay_alu instid0(VALU_DEP_1) | instskip(NEXT) | instid1(VALU_DEP_1)
	v_fmac_f32_e32 v3, 0x4f800000, v5
	v_rcp_f32_e32 v3, v3
	s_waitcnt_depctr 0xfff
	v_mul_f32_e32 v3, 0x5f7ffffc, v3
	s_delay_alu instid0(VALU_DEP_1) | instskip(NEXT) | instid1(VALU_DEP_1)
	v_mul_f32_e32 v5, 0x2f800000, v3
	v_trunc_f32_e32 v5, v5
	s_delay_alu instid0(VALU_DEP_1) | instskip(SKIP_1) | instid1(VALU_DEP_2)
	v_fmac_f32_e32 v3, 0xcf800000, v5
	v_cvt_u32_f32_e32 v5, v5
	v_cvt_u32_f32_e32 v3, v3
	s_delay_alu instid0(VALU_DEP_2) | instskip(NEXT) | instid1(VALU_DEP_2)
	v_mul_lo_u32 v7, s0, v5
	v_mul_hi_u32 v9, s0, v3
	v_mul_lo_u32 v11, s58, v3
	s_delay_alu instid0(VALU_DEP_2) | instskip(SKIP_1) | instid1(VALU_DEP_2)
	v_add_nc_u32_e32 v7, v9, v7
	v_mul_lo_u32 v9, s0, v3
	v_add_nc_u32_e32 v7, v7, v11
	s_delay_alu instid0(VALU_DEP_2) | instskip(NEXT) | instid1(VALU_DEP_2)
	v_mul_hi_u32 v11, v3, v9
	v_mul_lo_u32 v14, v3, v7
	v_mul_hi_u32 v15, v3, v7
	v_mul_hi_u32 v16, v5, v9
	v_mul_lo_u32 v9, v5, v9
	v_mul_hi_u32 v17, v5, v7
	v_mul_lo_u32 v7, v5, v7
	v_add_co_u32 v11, vcc_lo, v11, v14
	v_add_co_ci_u32_e32 v14, vcc_lo, 0, v15, vcc_lo
	s_delay_alu instid0(VALU_DEP_2) | instskip(NEXT) | instid1(VALU_DEP_2)
	v_add_co_u32 v9, vcc_lo, v11, v9
	v_add_co_ci_u32_e32 v9, vcc_lo, v14, v16, vcc_lo
	v_add_co_ci_u32_e32 v11, vcc_lo, 0, v17, vcc_lo
	v_ashrrev_i32_e32 v17, 31, v13
	s_delay_alu instid0(VALU_DEP_3) | instskip(NEXT) | instid1(VALU_DEP_3)
	v_add_co_u32 v7, vcc_lo, v9, v7
	v_add_co_ci_u32_e32 v9, vcc_lo, 0, v11, vcc_lo
	s_delay_alu instid0(VALU_DEP_2) | instskip(NEXT) | instid1(VALU_DEP_2)
	v_add_co_u32 v3, vcc_lo, v3, v7
	v_add_co_ci_u32_e32 v5, vcc_lo, v5, v9, vcc_lo
	s_delay_alu instid0(VALU_DEP_2) | instskip(SKIP_1) | instid1(VALU_DEP_3)
	v_mul_hi_u32 v7, s0, v3
	v_mul_lo_u32 v11, s58, v3
	v_mul_lo_u32 v9, s0, v5
	s_delay_alu instid0(VALU_DEP_1) | instskip(SKIP_1) | instid1(VALU_DEP_2)
	v_add_nc_u32_e32 v7, v7, v9
	v_mul_lo_u32 v9, s0, v3
	v_add_nc_u32_e32 v7, v7, v11
	s_delay_alu instid0(VALU_DEP_2) | instskip(NEXT) | instid1(VALU_DEP_2)
	v_mul_hi_u32 v11, v3, v9
	v_mul_lo_u32 v14, v3, v7
	v_mul_hi_u32 v15, v3, v7
	v_mul_hi_u32 v16, v5, v9
	v_mul_lo_u32 v9, v5, v9
	v_mul_hi_u32 v21, v5, v7
	v_mul_lo_u32 v7, v5, v7
	v_add_co_u32 v11, vcc_lo, v11, v14
	v_add_co_ci_u32_e32 v14, vcc_lo, 0, v15, vcc_lo
	s_delay_alu instid0(VALU_DEP_2) | instskip(NEXT) | instid1(VALU_DEP_2)
	v_add_co_u32 v9, vcc_lo, v11, v9
	v_add_co_ci_u32_e32 v9, vcc_lo, v14, v16, vcc_lo
	v_add_co_ci_u32_e32 v11, vcc_lo, 0, v21, vcc_lo
	v_add_co_u32 v14, vcc_lo, v12, v17
	v_add_co_ci_u32_e32 v13, vcc_lo, v13, v17, vcc_lo
	s_delay_alu instid0(VALU_DEP_4) | instskip(NEXT) | instid1(VALU_DEP_4)
	v_add_co_u32 v7, vcc_lo, v9, v7
	v_add_co_ci_u32_e32 v9, vcc_lo, 0, v11, vcc_lo
	s_delay_alu instid0(VALU_DEP_4) | instskip(NEXT) | instid1(VALU_DEP_3)
	v_xor_b32_e32 v11, v14, v17
	v_add_co_u32 v3, vcc_lo, v3, v7
	s_delay_alu instid0(VALU_DEP_3) | instskip(SKIP_1) | instid1(VALU_DEP_3)
	v_add_co_ci_u32_e32 v5, vcc_lo, v5, v9, vcc_lo
	v_xor_b32_e32 v7, v13, v17
	v_mul_hi_u32 v9, v11, v3
	s_delay_alu instid0(VALU_DEP_3) | instskip(NEXT) | instid1(VALU_DEP_3)
	v_mad_u64_u32 v[13:14], null, v11, v5, 0
	v_mad_u64_u32 v[15:16], null, v7, v3, 0
	;; [unrolled: 1-line block ×3, first 2 shown]
	s_delay_alu instid0(VALU_DEP_3) | instskip(NEXT) | instid1(VALU_DEP_4)
	v_add_co_u32 v3, vcc_lo, v9, v13
	v_add_co_ci_u32_e32 v5, vcc_lo, 0, v14, vcc_lo
	s_delay_alu instid0(VALU_DEP_2) | instskip(NEXT) | instid1(VALU_DEP_2)
	v_add_co_u32 v3, vcc_lo, v3, v15
	v_add_co_ci_u32_e32 v3, vcc_lo, v5, v16, vcc_lo
	v_add_co_ci_u32_e32 v5, vcc_lo, 0, v22, vcc_lo
	s_delay_alu instid0(VALU_DEP_2) | instskip(NEXT) | instid1(VALU_DEP_2)
	v_add_co_u32 v3, vcc_lo, v3, v21
	v_add_co_ci_u32_e32 v5, vcc_lo, 0, v5, vcc_lo
	s_delay_alu instid0(VALU_DEP_2) | instskip(SKIP_1) | instid1(VALU_DEP_3)
	v_mul_lo_u32 v9, s39, v3
	v_mad_u64_u32 v[13:14], null, s38, v3, 0
	v_mul_lo_u32 v15, s38, v5
	s_delay_alu instid0(VALU_DEP_2) | instskip(NEXT) | instid1(VALU_DEP_2)
	v_sub_co_u32 v11, vcc_lo, v11, v13
	v_add3_u32 v9, v14, v15, v9
	s_delay_alu instid0(VALU_DEP_1) | instskip(NEXT) | instid1(VALU_DEP_1)
	v_sub_nc_u32_e32 v14, v7, v9
	v_subrev_co_ci_u32_e64 v13, s0, s39, v14, vcc_lo
	v_add_co_u32 v14, s0, v3, 2
	s_delay_alu instid0(VALU_DEP_1) | instskip(SKIP_3) | instid1(VALU_DEP_3)
	v_add_co_ci_u32_e64 v15, s0, 0, v5, s0
	v_sub_co_u32 v16, s0, v11, s38
	v_sub_co_ci_u32_e32 v7, vcc_lo, v7, v9, vcc_lo
	v_subrev_co_ci_u32_e64 v13, s0, 0, v13, s0
	v_cmp_le_u32_e32 vcc_lo, s38, v16
	s_delay_alu instid0(VALU_DEP_3) | instskip(SKIP_1) | instid1(VALU_DEP_4)
	v_cmp_eq_u32_e64 s0, s39, v7
	v_cndmask_b32_e64 v9, 0, -1, vcc_lo
	v_cmp_le_u32_e32 vcc_lo, s39, v13
	v_cndmask_b32_e64 v16, 0, -1, vcc_lo
	v_cmp_le_u32_e32 vcc_lo, s38, v11
	;; [unrolled: 2-line block ×3, first 2 shown]
	v_cndmask_b32_e64 v21, 0, -1, vcc_lo
	v_cmp_eq_u32_e32 vcc_lo, s39, v13
	s_delay_alu instid0(VALU_DEP_2) | instskip(SKIP_3) | instid1(VALU_DEP_3)
	v_cndmask_b32_e64 v7, v21, v11, s0
	v_cndmask_b32_e32 v9, v16, v9, vcc_lo
	v_add_co_u32 v13, vcc_lo, v3, 1
	v_add_co_ci_u32_e32 v16, vcc_lo, 0, v5, vcc_lo
	v_cmp_ne_u32_e32 vcc_lo, 0, v9
	s_delay_alu instid0(VALU_DEP_2) | instskip(NEXT) | instid1(VALU_DEP_4)
	v_cndmask_b32_e32 v9, v16, v15, vcc_lo
	v_cndmask_b32_e32 v11, v13, v14, vcc_lo
	v_cmp_ne_u32_e32 vcc_lo, 0, v7
	v_xor_b32_e32 v7, s30, v17
	s_delay_alu instid0(VALU_DEP_3) | instskip(SKIP_2) | instid1(VALU_DEP_3)
	v_cndmask_b32_e32 v3, v3, v11, vcc_lo
	v_cndmask_b32_e32 v5, v5, v9, vcc_lo
	v_xor_b32_e32 v9, s31, v17
	v_xor_b32_e32 v3, v3, v7
	s_delay_alu instid0(VALU_DEP_2) | instskip(NEXT) | instid1(VALU_DEP_2)
	v_xor_b32_e32 v5, v5, v9
	v_sub_co_u32 v14, vcc_lo, v3, v7
	s_delay_alu instid0(VALU_DEP_2)
	v_sub_co_ci_u32_e32 v15, vcc_lo, v5, v9, vcc_lo
.LBB17_32:                              ;   in Loop: Header=BB17_22 Depth=2
	s_and_not1_saveexec_b32 s0, s57
	s_cbranch_execz .LBB17_34
; %bb.33:                               ;   in Loop: Header=BB17_22 Depth=2
	v_cvt_f32_u32_e32 v3, s56
	s_sub_i32 s30, 0, s56
	v_mov_b32_e32 v15, v2
	s_delay_alu instid0(VALU_DEP_2) | instskip(SKIP_2) | instid1(VALU_DEP_1)
	v_rcp_iflag_f32_e32 v3, v3
	s_waitcnt_depctr 0xfff
	v_mul_f32_e32 v3, 0x4f7ffffe, v3
	v_cvt_u32_f32_e32 v3, v3
	s_delay_alu instid0(VALU_DEP_1) | instskip(NEXT) | instid1(VALU_DEP_1)
	v_mul_lo_u32 v5, s30, v3
	v_mul_hi_u32 v5, v3, v5
	s_delay_alu instid0(VALU_DEP_1) | instskip(NEXT) | instid1(VALU_DEP_1)
	v_add_nc_u32_e32 v3, v3, v5
	v_mul_hi_u32 v3, v12, v3
	s_delay_alu instid0(VALU_DEP_1) | instskip(SKIP_1) | instid1(VALU_DEP_2)
	v_mul_lo_u32 v5, v3, s56
	v_add_nc_u32_e32 v7, 1, v3
	v_sub_nc_u32_e32 v5, v12, v5
	s_delay_alu instid0(VALU_DEP_1) | instskip(SKIP_1) | instid1(VALU_DEP_4)
	v_cmp_le_u32_e32 vcc_lo, s56, v5
	v_subrev_nc_u32_e32 v9, s56, v5
	v_cndmask_b32_e32 v3, v3, v7, vcc_lo
	s_delay_alu instid0(VALU_DEP_1) | instskip(NEXT) | instid1(VALU_DEP_3)
	v_add_nc_u32_e32 v7, 1, v3
	v_cndmask_b32_e32 v5, v5, v9, vcc_lo
	s_delay_alu instid0(VALU_DEP_1) | instskip(NEXT) | instid1(VALU_DEP_3)
	v_cmp_le_u32_e32 vcc_lo, s56, v5
	v_cndmask_b32_e32 v14, v3, v7, vcc_lo
.LBB17_34:                              ;   in Loop: Header=BB17_22 Depth=2
	s_or_b32 exec_lo, exec_lo, s0
	s_add_u32 s38, s44, s34
	s_addc_u32 s39, s1, s35
	s_add_i32 s30, s12, -3
	s_mov_b32 s31, s13
                                        ; implicit-def: $vgpr16_vgpr17
	s_delay_alu instid0(SALU_CYCLE_1) | instskip(NEXT) | instid1(SALU_CYCLE_1)
	s_lshl_b64 s[34:35], s[30:31], 2
	s_add_u32 s30, s40, s34
	s_addc_u32 s31, s41, s35
	s_clause 0x2
	s_load_b32 s59, s[30:31], 0x8
	s_load_b32 s57, s[36:37], 0x6c
	;; [unrolled: 1-line block ×3, first 2 shown]
	s_mov_b32 s36, exec_lo
	s_waitcnt lgkmcnt(0)
	s_ashr_i32 s0, s59, 31
	s_delay_alu instid0(SALU_CYCLE_1) | instskip(NEXT) | instid1(VALU_DEP_1)
	v_or_b32_e32 v3, s0, v15
	v_cmpx_ne_u64_e32 0, v[2:3]
	s_xor_b32 s60, exec_lo, s36
	s_cbranch_execz .LBB17_36
; %bb.35:                               ;   in Loop: Header=BB17_22 Depth=2
	s_add_u32 s38, s59, s0
	s_mov_b32 s36, s0
	s_mov_b32 s37, s0
	s_addc_u32 s39, s0, s0
	s_delay_alu instid0(SALU_CYCLE_1) | instskip(NEXT) | instid1(SALU_CYCLE_1)
	s_xor_b64 s[38:39], s[38:39], s[36:37]
	v_cvt_f32_u32_e32 v3, s38
	v_cvt_f32_u32_e32 v5, s39
	s_sub_u32 s0, 0, s38
	s_subb_u32 s61, 0, s39
	s_delay_alu instid0(VALU_DEP_1) | instskip(NEXT) | instid1(VALU_DEP_1)
	v_fmac_f32_e32 v3, 0x4f800000, v5
	v_rcp_f32_e32 v3, v3
	s_waitcnt_depctr 0xfff
	v_mul_f32_e32 v3, 0x5f7ffffc, v3
	s_delay_alu instid0(VALU_DEP_1) | instskip(NEXT) | instid1(VALU_DEP_1)
	v_mul_f32_e32 v5, 0x2f800000, v3
	v_trunc_f32_e32 v5, v5
	s_delay_alu instid0(VALU_DEP_1) | instskip(SKIP_1) | instid1(VALU_DEP_2)
	v_fmac_f32_e32 v3, 0xcf800000, v5
	v_cvt_u32_f32_e32 v5, v5
	v_cvt_u32_f32_e32 v3, v3
	s_delay_alu instid0(VALU_DEP_2) | instskip(NEXT) | instid1(VALU_DEP_2)
	v_mul_lo_u32 v7, s0, v5
	v_mul_hi_u32 v9, s0, v3
	v_mul_lo_u32 v11, s61, v3
	s_delay_alu instid0(VALU_DEP_2) | instskip(SKIP_1) | instid1(VALU_DEP_2)
	v_add_nc_u32_e32 v7, v9, v7
	v_mul_lo_u32 v9, s0, v3
	v_add_nc_u32_e32 v7, v7, v11
	s_delay_alu instid0(VALU_DEP_2) | instskip(NEXT) | instid1(VALU_DEP_2)
	v_mul_hi_u32 v11, v3, v9
	v_mul_lo_u32 v13, v3, v7
	v_mul_hi_u32 v16, v3, v7
	v_mul_hi_u32 v17, v5, v9
	v_mul_lo_u32 v9, v5, v9
	v_mul_hi_u32 v21, v5, v7
	v_mul_lo_u32 v7, v5, v7
	v_add_co_u32 v11, vcc_lo, v11, v13
	v_add_co_ci_u32_e32 v13, vcc_lo, 0, v16, vcc_lo
	s_delay_alu instid0(VALU_DEP_2) | instskip(NEXT) | instid1(VALU_DEP_2)
	v_add_co_u32 v9, vcc_lo, v11, v9
	v_add_co_ci_u32_e32 v9, vcc_lo, v13, v17, vcc_lo
	v_add_co_ci_u32_e32 v11, vcc_lo, 0, v21, vcc_lo
	v_ashrrev_i32_e32 v17, 31, v15
	s_delay_alu instid0(VALU_DEP_3) | instskip(NEXT) | instid1(VALU_DEP_3)
	v_add_co_u32 v7, vcc_lo, v9, v7
	v_add_co_ci_u32_e32 v9, vcc_lo, 0, v11, vcc_lo
	s_delay_alu instid0(VALU_DEP_2) | instskip(NEXT) | instid1(VALU_DEP_2)
	v_add_co_u32 v3, vcc_lo, v3, v7
	v_add_co_ci_u32_e32 v5, vcc_lo, v5, v9, vcc_lo
	s_delay_alu instid0(VALU_DEP_2) | instskip(SKIP_1) | instid1(VALU_DEP_3)
	v_mul_hi_u32 v7, s0, v3
	v_mul_lo_u32 v11, s61, v3
	v_mul_lo_u32 v9, s0, v5
	s_delay_alu instid0(VALU_DEP_1) | instskip(SKIP_1) | instid1(VALU_DEP_2)
	v_add_nc_u32_e32 v7, v7, v9
	v_mul_lo_u32 v9, s0, v3
	v_add_nc_u32_e32 v7, v7, v11
	s_delay_alu instid0(VALU_DEP_2) | instskip(NEXT) | instid1(VALU_DEP_2)
	v_mul_hi_u32 v11, v3, v9
	v_mul_lo_u32 v13, v3, v7
	v_mul_hi_u32 v16, v3, v7
	v_mul_hi_u32 v21, v5, v9
	v_mul_lo_u32 v9, v5, v9
	v_mul_hi_u32 v22, v5, v7
	v_mul_lo_u32 v7, v5, v7
	v_add_co_u32 v11, vcc_lo, v11, v13
	v_add_co_ci_u32_e32 v13, vcc_lo, 0, v16, vcc_lo
	s_delay_alu instid0(VALU_DEP_2) | instskip(NEXT) | instid1(VALU_DEP_2)
	v_add_co_u32 v9, vcc_lo, v11, v9
	v_add_co_ci_u32_e32 v9, vcc_lo, v13, v21, vcc_lo
	v_add_co_ci_u32_e32 v11, vcc_lo, 0, v22, vcc_lo
	v_add_co_u32 v13, vcc_lo, v14, v17
	v_add_co_ci_u32_e32 v15, vcc_lo, v15, v17, vcc_lo
	s_delay_alu instid0(VALU_DEP_4) | instskip(NEXT) | instid1(VALU_DEP_4)
	v_add_co_u32 v7, vcc_lo, v9, v7
	v_add_co_ci_u32_e32 v9, vcc_lo, 0, v11, vcc_lo
	s_delay_alu instid0(VALU_DEP_4) | instskip(NEXT) | instid1(VALU_DEP_3)
	v_xor_b32_e32 v11, v13, v17
	v_add_co_u32 v3, vcc_lo, v3, v7
	s_delay_alu instid0(VALU_DEP_3) | instskip(SKIP_1) | instid1(VALU_DEP_3)
	v_add_co_ci_u32_e32 v5, vcc_lo, v5, v9, vcc_lo
	v_xor_b32_e32 v7, v15, v17
	v_mul_hi_u32 v9, v11, v3
	s_delay_alu instid0(VALU_DEP_3) | instskip(NEXT) | instid1(VALU_DEP_3)
	v_mad_u64_u32 v[15:16], null, v11, v5, 0
	v_mad_u64_u32 v[21:22], null, v7, v3, 0
	;; [unrolled: 1-line block ×3, first 2 shown]
	s_delay_alu instid0(VALU_DEP_3) | instskip(NEXT) | instid1(VALU_DEP_4)
	v_add_co_u32 v3, vcc_lo, v9, v15
	v_add_co_ci_u32_e32 v5, vcc_lo, 0, v16, vcc_lo
	s_delay_alu instid0(VALU_DEP_2) | instskip(NEXT) | instid1(VALU_DEP_2)
	v_add_co_u32 v3, vcc_lo, v3, v21
	v_add_co_ci_u32_e32 v3, vcc_lo, v5, v22, vcc_lo
	v_add_co_ci_u32_e32 v5, vcc_lo, 0, v24, vcc_lo
	s_delay_alu instid0(VALU_DEP_2) | instskip(NEXT) | instid1(VALU_DEP_2)
	v_add_co_u32 v3, vcc_lo, v3, v23
	v_add_co_ci_u32_e32 v5, vcc_lo, 0, v5, vcc_lo
	s_delay_alu instid0(VALU_DEP_2) | instskip(SKIP_1) | instid1(VALU_DEP_3)
	v_mul_lo_u32 v9, s39, v3
	v_mad_u64_u32 v[15:16], null, s38, v3, 0
	v_mul_lo_u32 v13, s38, v5
	s_delay_alu instid0(VALU_DEP_2) | instskip(NEXT) | instid1(VALU_DEP_2)
	v_sub_co_u32 v11, vcc_lo, v11, v15
	v_add3_u32 v9, v16, v13, v9
	s_delay_alu instid0(VALU_DEP_1) | instskip(NEXT) | instid1(VALU_DEP_1)
	v_sub_nc_u32_e32 v13, v7, v9
	v_subrev_co_ci_u32_e64 v13, s0, s39, v13, vcc_lo
	v_add_co_u32 v15, s0, v3, 2
	s_delay_alu instid0(VALU_DEP_1) | instskip(SKIP_3) | instid1(VALU_DEP_3)
	v_add_co_ci_u32_e64 v16, s0, 0, v5, s0
	v_sub_co_u32 v21, s0, v11, s38
	v_sub_co_ci_u32_e32 v7, vcc_lo, v7, v9, vcc_lo
	v_subrev_co_ci_u32_e64 v13, s0, 0, v13, s0
	v_cmp_le_u32_e32 vcc_lo, s38, v21
	s_delay_alu instid0(VALU_DEP_3) | instskip(SKIP_1) | instid1(VALU_DEP_4)
	v_cmp_eq_u32_e64 s0, s39, v7
	v_cndmask_b32_e64 v9, 0, -1, vcc_lo
	v_cmp_le_u32_e32 vcc_lo, s39, v13
	v_cndmask_b32_e64 v21, 0, -1, vcc_lo
	v_cmp_le_u32_e32 vcc_lo, s38, v11
	;; [unrolled: 2-line block ×3, first 2 shown]
	v_cndmask_b32_e64 v22, 0, -1, vcc_lo
	v_cmp_eq_u32_e32 vcc_lo, s39, v13
	s_delay_alu instid0(VALU_DEP_2) | instskip(SKIP_3) | instid1(VALU_DEP_3)
	v_cndmask_b32_e64 v7, v22, v11, s0
	v_cndmask_b32_e32 v9, v21, v9, vcc_lo
	v_add_co_u32 v13, vcc_lo, v3, 1
	v_add_co_ci_u32_e32 v21, vcc_lo, 0, v5, vcc_lo
	v_cmp_ne_u32_e32 vcc_lo, 0, v9
	s_delay_alu instid0(VALU_DEP_2) | instskip(NEXT) | instid1(VALU_DEP_4)
	v_cndmask_b32_e32 v9, v21, v16, vcc_lo
	v_cndmask_b32_e32 v11, v13, v15, vcc_lo
	v_cmp_ne_u32_e32 vcc_lo, 0, v7
	v_xor_b32_e32 v7, s36, v17
	s_delay_alu instid0(VALU_DEP_3) | instskip(SKIP_2) | instid1(VALU_DEP_3)
	v_cndmask_b32_e32 v3, v3, v11, vcc_lo
	v_cndmask_b32_e32 v5, v5, v9, vcc_lo
	v_xor_b32_e32 v9, s37, v17
	v_xor_b32_e32 v3, v3, v7
	s_delay_alu instid0(VALU_DEP_2) | instskip(NEXT) | instid1(VALU_DEP_2)
	v_xor_b32_e32 v5, v5, v9
	v_sub_co_u32 v16, vcc_lo, v3, v7
	s_delay_alu instid0(VALU_DEP_2)
	v_sub_co_ci_u32_e32 v17, vcc_lo, v5, v9, vcc_lo
.LBB17_36:                              ;   in Loop: Header=BB17_22 Depth=2
	s_and_not1_saveexec_b32 s0, s60
	s_cbranch_execz .LBB17_38
; %bb.37:                               ;   in Loop: Header=BB17_22 Depth=2
	v_cvt_f32_u32_e32 v3, s59
	s_sub_i32 s36, 0, s59
	v_mov_b32_e32 v17, v2
	s_delay_alu instid0(VALU_DEP_2) | instskip(SKIP_2) | instid1(VALU_DEP_1)
	v_rcp_iflag_f32_e32 v3, v3
	s_waitcnt_depctr 0xfff
	v_mul_f32_e32 v3, 0x4f7ffffe, v3
	v_cvt_u32_f32_e32 v3, v3
	s_delay_alu instid0(VALU_DEP_1) | instskip(NEXT) | instid1(VALU_DEP_1)
	v_mul_lo_u32 v5, s36, v3
	v_mul_hi_u32 v5, v3, v5
	s_delay_alu instid0(VALU_DEP_1) | instskip(NEXT) | instid1(VALU_DEP_1)
	v_add_nc_u32_e32 v3, v3, v5
	v_mul_hi_u32 v3, v14, v3
	s_delay_alu instid0(VALU_DEP_1) | instskip(SKIP_1) | instid1(VALU_DEP_2)
	v_mul_lo_u32 v5, v3, s59
	v_add_nc_u32_e32 v7, 1, v3
	v_sub_nc_u32_e32 v5, v14, v5
	s_delay_alu instid0(VALU_DEP_1) | instskip(SKIP_1) | instid1(VALU_DEP_4)
	v_cmp_le_u32_e32 vcc_lo, s59, v5
	v_subrev_nc_u32_e32 v9, s59, v5
	v_cndmask_b32_e32 v3, v3, v7, vcc_lo
	s_delay_alu instid0(VALU_DEP_1) | instskip(NEXT) | instid1(VALU_DEP_3)
	v_add_nc_u32_e32 v7, 1, v3
	v_cndmask_b32_e32 v5, v5, v9, vcc_lo
	s_delay_alu instid0(VALU_DEP_1) | instskip(NEXT) | instid1(VALU_DEP_3)
	v_cmp_le_u32_e32 vcc_lo, s59, v5
	v_cndmask_b32_e32 v16, v3, v7, vcc_lo
.LBB17_38:                              ;   in Loop: Header=BB17_22 Depth=2
	s_or_b32 exec_lo, exec_lo, s0
	s_add_u32 s34, s44, s34
	s_addc_u32 s35, s1, s35
	v_mul_lo_u32 v3, v10, s21
	s_clause 0x1
	s_load_b32 s0, s[30:31], 0x6c
	s_load_b32 s21, s[34:35], 0x0
	v_mul_lo_u32 v5, v12, s53
	v_mul_lo_u32 v7, v14, s56
	;; [unrolled: 1-line block ×3, first 2 shown]
	s_add_i32 s12, s12, -4
	s_delay_alu instid0(SALU_CYCLE_1) | instskip(SKIP_1) | instid1(VALU_DEP_4)
	s_cmp_eq_u32 s12, -1
	v_sub_nc_u32_e32 v3, v8, v3
	v_sub_nc_u32_e32 v5, v10, v5
	s_delay_alu instid0(VALU_DEP_4) | instskip(NEXT) | instid1(VALU_DEP_4)
	v_sub_nc_u32_e32 v7, v12, v7
	v_sub_nc_u32_e32 v8, v14, v9
	s_delay_alu instid0(VALU_DEP_4)
	v_mul_lo_u32 v9, s51, v3
	v_mul_lo_u32 v3, s52, v3
	;; [unrolled: 1-line block ×6, first 2 shown]
	s_waitcnt lgkmcnt(0)
	v_mul_lo_u32 v12, s0, v8
	v_mul_lo_u32 v8, s21, v8
	v_add3_u32 v6, v9, v6, v10
	v_add3_u32 v3, v3, v4, v5
	s_delay_alu instid0(VALU_DEP_2) | instskip(NEXT) | instid1(VALU_DEP_2)
	v_add3_u32 v6, v11, v6, v12
	v_add3_u32 v4, v7, v3, v8
	s_cbranch_scc1 .LBB17_40
; %bb.39:                               ;   in Loop: Header=BB17_22 Depth=2
	v_dual_mov_b32 v8, v16 :: v_dual_mov_b32 v9, v17
	s_branch .LBB17_22
.LBB17_40:                              ;   in Loop: Header=BB17_3 Depth=1
	v_sub_nc_u32_e32 v8, v19, v20
	v_mov_b32_e32 v7, 0
	v_mov_b32_e32 v3, 0
	s_mov_b32 s0, exec_lo
	s_delay_alu instid0(VALU_DEP_3) | instskip(NEXT) | instid1(VALU_DEP_1)
	v_ashrrev_i32_e32 v9, 31, v8
	v_cmpx_ge_i64_e64 s[4:5], v[8:9]
	s_cbranch_execz .LBB17_50
; %bb.41:                               ;   in Loop: Header=BB17_3 Depth=1
	v_mov_b32_e32 v3, 0
	v_mov_b32_e32 v7, 0
	s_mov_b32 s12, exec_lo
	v_cmpx_gt_i32_e64 s9, v19
	s_cbranch_execz .LBB17_49
; %bb.42:                               ;   in Loop: Header=BB17_3 Depth=1
	v_ashrrev_i32_e32 v7, 31, v6
	v_mov_b32_e32 v3, v2
	v_add_nc_u32_e32 v5, 1, v19
	s_mov_b32 s21, exec_lo
	s_delay_alu instid0(VALU_DEP_3) | instskip(SKIP_1) | instid1(VALU_DEP_2)
	v_lshlrev_b64 v[10:11], 1, v[6:7]
	v_mov_b32_e32 v7, 0
	v_add_co_u32 v10, vcc_lo, s2, v10
	s_delay_alu instid0(VALU_DEP_3)
	v_add_co_ci_u32_e32 v11, vcc_lo, s3, v11, vcc_lo
	global_load_d16_b16 v3, v[10:11], off
	v_cmpx_gt_i32_e64 s9, v5
	s_xor_b32 s21, exec_lo, s21
	s_cbranch_execz .LBB17_48
; %bb.43:                               ;   in Loop: Header=BB17_3 Depth=1
	s_lshl_b64 s[30:31], s[26:27], 1
	v_add_nc_u32_e32 v5, 2, v19
	v_add_co_u32 v10, vcc_lo, v10, s30
	v_add_co_ci_u32_e32 v11, vcc_lo, s31, v11, vcc_lo
	v_mov_b32_e32 v7, 0
	s_mov_b32 s30, exec_lo
	global_load_d16_hi_b16 v3, v[10:11], off
	v_cmpx_gt_i32_e64 s9, v5
	s_xor_b32 s30, exec_lo, s30
	s_cbranch_execz .LBB17_47
; %bb.44:                               ;   in Loop: Header=BB17_3 Depth=1
	v_add3_u32 v5, s26, s26, v6
	s_mov_b32 s31, exec_lo
	s_delay_alu instid0(VALU_DEP_1) | instskip(NEXT) | instid1(VALU_DEP_1)
	v_ashrrev_i32_e32 v6, 31, v5
	v_lshlrev_b64 v[6:7], 1, v[5:6]
	s_delay_alu instid0(VALU_DEP_1) | instskip(NEXT) | instid1(VALU_DEP_2)
	v_add_co_u32 v10, vcc_lo, s2, v6
	v_add_co_ci_u32_e32 v11, vcc_lo, s3, v7, vcc_lo
	v_dual_mov_b32 v7, v2 :: v_dual_add_nc_u32 v6, 3, v19
	global_load_d16_b16 v7, v[10:11], off
	v_cmpx_gt_i32_e64 s9, v6
	s_xor_b32 s31, exec_lo, s31
	s_cbranch_execz .LBB17_46
; %bb.45:                               ;   in Loop: Header=BB17_3 Depth=1
	v_add_nc_u32_e32 v5, s26, v5
	s_delay_alu instid0(VALU_DEP_1) | instskip(NEXT) | instid1(VALU_DEP_1)
	v_ashrrev_i32_e32 v6, 31, v5
	v_lshlrev_b64 v[5:6], 1, v[5:6]
	s_delay_alu instid0(VALU_DEP_1) | instskip(NEXT) | instid1(VALU_DEP_2)
	v_add_co_u32 v5, vcc_lo, s2, v5
	v_add_co_ci_u32_e32 v6, vcc_lo, s3, v6, vcc_lo
	global_load_d16_hi_b16 v7, v[5:6], off
.LBB17_46:                              ;   in Loop: Header=BB17_3 Depth=1
	s_or_b32 exec_lo, exec_lo, s31
.LBB17_47:                              ;   in Loop: Header=BB17_3 Depth=1
	s_delay_alu instid0(SALU_CYCLE_1)
	s_or_b32 exec_lo, exec_lo, s30
.LBB17_48:                              ;   in Loop: Header=BB17_3 Depth=1
	s_delay_alu instid0(SALU_CYCLE_1)
	s_or_b32 exec_lo, exec_lo, s21
.LBB17_49:                              ;   in Loop: Header=BB17_3 Depth=1
	s_delay_alu instid0(SALU_CYCLE_1) | instskip(SKIP_4) | instid1(VALU_DEP_2)
	s_or_b32 exec_lo, exec_lo, s12
	s_waitcnt vmcnt(0)
	v_lshrrev_b32_e32 v15, 16, v3
	v_add_nc_u32_e32 v5, 2, v8
	v_lshrrev_b32_e32 v14, 16, v7
	v_ashrrev_i32_e32 v6, 31, v5
	s_delay_alu instid0(VALU_DEP_1) | instskip(SKIP_2) | instid1(VALU_DEP_2)
	v_cmp_ge_i64_e32 vcc_lo, s[22:23], v[5:6]
	v_dual_cndmask_b32 v5, 0, v7 :: v_dual_add_nc_u32 v10, 1, v8
	v_cmp_ge_i64_e32 vcc_lo, s[14:15], v[8:9]
	v_ashrrev_i32_e32 v11, 31, v10
	v_dual_cndmask_b32 v3, 0, v3 :: v_dual_add_nc_u32 v12, 3, v8
	s_delay_alu instid0(VALU_DEP_2) | instskip(NEXT) | instid1(VALU_DEP_2)
	v_cmp_ge_i64_e32 vcc_lo, s[18:19], v[10:11]
	v_ashrrev_i32_e32 v13, 31, v12
	v_cndmask_b32_e32 v6, 0, v15, vcc_lo
	s_delay_alu instid0(VALU_DEP_2) | instskip(NEXT) | instid1(VALU_DEP_2)
	v_cmp_ge_i64_e32 vcc_lo, s[24:25], v[12:13]
	v_perm_b32 v3, v6, v3, 0x5040100
	v_cndmask_b32_e32 v7, 0, v14, vcc_lo
	s_delay_alu instid0(VALU_DEP_1)
	v_perm_b32 v7, v7, v5, 0x5040100
.LBB17_50:                              ;   in Loop: Header=BB17_3 Depth=1
	s_or_b32 exec_lo, exec_lo, s0
	s_delay_alu instid0(SALU_CYCLE_1)
	s_mov_b32 s0, exec_lo
	v_cmpx_gt_i32_e64 s9, v19
	s_cbranch_execz .LBB17_2
; %bb.51:                               ;   in Loop: Header=BB17_3 Depth=1
	v_ashrrev_i32_e32 v5, 31, v4
	v_add_nc_u32_e32 v8, 1, v19
	s_mov_b32 s12, exec_lo
	s_delay_alu instid0(VALU_DEP_2) | instskip(NEXT) | instid1(VALU_DEP_1)
	v_lshlrev_b64 v[5:6], 1, v[4:5]
	v_add_co_u32 v5, vcc_lo, s10, v5
	s_delay_alu instid0(VALU_DEP_2)
	v_add_co_ci_u32_e32 v6, vcc_lo, s11, v6, vcc_lo
	global_store_b16 v[5:6], v3, off
	v_cmpx_gt_i32_e64 s9, v8
	s_xor_b32 s12, exec_lo, s12
	s_cbranch_execz .LBB17_2
; %bb.52:                               ;   in Loop: Header=BB17_3 Depth=1
	s_lshl_b64 s[30:31], s[28:29], 1
	v_add_nc_u32_e32 v8, 2, v19
	v_add_co_u32 v5, vcc_lo, v5, s30
	v_add_co_ci_u32_e32 v6, vcc_lo, s31, v6, vcc_lo
	s_mov_b32 s12, exec_lo
	global_store_d16_hi_b16 v[5:6], v3, off
	v_cmpx_gt_i32_e64 s9, v8
	s_xor_b32 s12, exec_lo, s12
	s_cbranch_execz .LBB17_2
; %bb.53:                               ;   in Loop: Header=BB17_3 Depth=1
	v_add3_u32 v3, s28, s28, v4
	v_add_nc_u32_e32 v6, 3, v19
	s_mov_b32 s12, exec_lo
	s_delay_alu instid0(VALU_DEP_2) | instskip(NEXT) | instid1(VALU_DEP_1)
	v_ashrrev_i32_e32 v4, 31, v3
	v_lshlrev_b64 v[4:5], 1, v[3:4]
	s_delay_alu instid0(VALU_DEP_1) | instskip(NEXT) | instid1(VALU_DEP_2)
	v_add_co_u32 v4, vcc_lo, s10, v4
	v_add_co_ci_u32_e32 v5, vcc_lo, s11, v5, vcc_lo
	global_store_b16 v[4:5], v7, off
	v_cmpx_gt_i32_e64 s9, v6
	s_xor_b32 s12, exec_lo, s12
	s_cbranch_execz .LBB17_2
; %bb.54:                               ;   in Loop: Header=BB17_3 Depth=1
	v_add_nc_u32_e32 v3, s28, v3
	s_delay_alu instid0(VALU_DEP_1) | instskip(NEXT) | instid1(VALU_DEP_1)
	v_ashrrev_i32_e32 v4, 31, v3
	v_lshlrev_b64 v[3:4], 1, v[3:4]
	s_delay_alu instid0(VALU_DEP_1) | instskip(NEXT) | instid1(VALU_DEP_2)
	v_add_co_u32 v3, vcc_lo, s10, v3
	v_add_co_ci_u32_e32 v4, vcc_lo, s11, v4, vcc_lo
	global_store_d16_hi_b16 v[3:4], v7, off
	s_branch .LBB17_2
.LBB17_55:
	s_nop 0
	s_sendmsg sendmsg(MSG_DEALLOC_VGPRS)
	s_endpgm
	.section	.rodata,"a",@progbits
	.p2align	6, 0x0
	.amdhsa_kernel _ZN2at6native16triu_tril_kernelIsiLb0ELi4ELb0EEEvNS_4cuda6detail10TensorInfoIT_T0_EENS4_IKS5_S6_EEllS6_
		.amdhsa_group_segment_fixed_size 0
		.amdhsa_private_segment_fixed_size 0
		.amdhsa_kernarg_size 712
		.amdhsa_user_sgpr_count 15
		.amdhsa_user_sgpr_dispatch_ptr 0
		.amdhsa_user_sgpr_queue_ptr 0
		.amdhsa_user_sgpr_kernarg_segment_ptr 1
		.amdhsa_user_sgpr_dispatch_id 0
		.amdhsa_user_sgpr_private_segment_size 0
		.amdhsa_wavefront_size32 1
		.amdhsa_uses_dynamic_stack 0
		.amdhsa_enable_private_segment 0
		.amdhsa_system_sgpr_workgroup_id_x 1
		.amdhsa_system_sgpr_workgroup_id_y 0
		.amdhsa_system_sgpr_workgroup_id_z 0
		.amdhsa_system_sgpr_workgroup_info 0
		.amdhsa_system_vgpr_workitem_id 0
		.amdhsa_next_free_vgpr 25
		.amdhsa_next_free_sgpr 62
		.amdhsa_reserve_vcc 1
		.amdhsa_float_round_mode_32 0
		.amdhsa_float_round_mode_16_64 0
		.amdhsa_float_denorm_mode_32 3
		.amdhsa_float_denorm_mode_16_64 3
		.amdhsa_dx10_clamp 1
		.amdhsa_ieee_mode 1
		.amdhsa_fp16_overflow 0
		.amdhsa_workgroup_processor_mode 1
		.amdhsa_memory_ordered 1
		.amdhsa_forward_progress 0
		.amdhsa_shared_vgpr_count 0
		.amdhsa_exception_fp_ieee_invalid_op 0
		.amdhsa_exception_fp_denorm_src 0
		.amdhsa_exception_fp_ieee_div_zero 0
		.amdhsa_exception_fp_ieee_overflow 0
		.amdhsa_exception_fp_ieee_underflow 0
		.amdhsa_exception_fp_ieee_inexact 0
		.amdhsa_exception_int_div_zero 0
	.end_amdhsa_kernel
	.section	.text._ZN2at6native16triu_tril_kernelIsiLb0ELi4ELb0EEEvNS_4cuda6detail10TensorInfoIT_T0_EENS4_IKS5_S6_EEllS6_,"axG",@progbits,_ZN2at6native16triu_tril_kernelIsiLb0ELi4ELb0EEEvNS_4cuda6detail10TensorInfoIT_T0_EENS4_IKS5_S6_EEllS6_,comdat
.Lfunc_end17:
	.size	_ZN2at6native16triu_tril_kernelIsiLb0ELi4ELb0EEEvNS_4cuda6detail10TensorInfoIT_T0_EENS4_IKS5_S6_EEllS6_, .Lfunc_end17-_ZN2at6native16triu_tril_kernelIsiLb0ELi4ELb0EEEvNS_4cuda6detail10TensorInfoIT_T0_EENS4_IKS5_S6_EEllS6_
                                        ; -- End function
	.section	.AMDGPU.csdata,"",@progbits
; Kernel info:
; codeLenInByte = 8760
; NumSgprs: 64
; NumVgprs: 25
; ScratchSize: 0
; MemoryBound: 0
; FloatMode: 240
; IeeeMode: 1
; LDSByteSize: 0 bytes/workgroup (compile time only)
; SGPRBlocks: 7
; VGPRBlocks: 3
; NumSGPRsForWavesPerEU: 64
; NumVGPRsForWavesPerEU: 25
; Occupancy: 16
; WaveLimiterHint : 0
; COMPUTE_PGM_RSRC2:SCRATCH_EN: 0
; COMPUTE_PGM_RSRC2:USER_SGPR: 15
; COMPUTE_PGM_RSRC2:TRAP_HANDLER: 0
; COMPUTE_PGM_RSRC2:TGID_X_EN: 1
; COMPUTE_PGM_RSRC2:TGID_Y_EN: 0
; COMPUTE_PGM_RSRC2:TGID_Z_EN: 0
; COMPUTE_PGM_RSRC2:TIDIG_COMP_CNT: 0
	.section	.text._ZN2at6native16triu_tril_kernelIslLb0ELi4ELb1EEEvNS_4cuda6detail10TensorInfoIT_T0_EENS4_IKS5_S6_EEllS6_,"axG",@progbits,_ZN2at6native16triu_tril_kernelIslLb0ELi4ELb1EEEvNS_4cuda6detail10TensorInfoIT_T0_EENS4_IKS5_S6_EEllS6_,comdat
	.protected	_ZN2at6native16triu_tril_kernelIslLb0ELi4ELb1EEEvNS_4cuda6detail10TensorInfoIT_T0_EENS4_IKS5_S6_EEllS6_ ; -- Begin function _ZN2at6native16triu_tril_kernelIslLb0ELi4ELb1EEEvNS_4cuda6detail10TensorInfoIT_T0_EENS4_IKS5_S6_EEllS6_
	.globl	_ZN2at6native16triu_tril_kernelIslLb0ELi4ELb1EEEvNS_4cuda6detail10TensorInfoIT_T0_EENS4_IKS5_S6_EEllS6_
	.p2align	8
	.type	_ZN2at6native16triu_tril_kernelIslLb0ELi4ELb1EEEvNS_4cuda6detail10TensorInfoIT_T0_EENS4_IKS5_S6_EEllS6_,@function
_ZN2at6native16triu_tril_kernelIslLb0ELi4ELb1EEEvNS_4cuda6detail10TensorInfoIT_T0_EENS4_IKS5_S6_EEllS6_: ; @_ZN2at6native16triu_tril_kernelIslLb0ELi4ELb1EEEvNS_4cuda6detail10TensorInfoIT_T0_EENS4_IKS5_S6_EEllS6_
; %bb.0:
	s_clause 0x1
	s_load_b32 s2, s[0:1], 0x364
	s_load_b128 s[4:7], s[0:1], 0x340
	v_mov_b32_e32 v2, 0
	s_add_u32 s8, s0, 0x358
	s_addc_u32 s9, s1, 0
	s_delay_alu instid0(VALU_DEP_1) | instskip(SKIP_3) | instid1(VALU_DEP_1)
	v_mov_b32_e32 v1, v2
	s_waitcnt lgkmcnt(0)
	s_and_b32 s10, s2, 0xffff
	s_mov_b32 s2, exec_lo
	v_mad_u64_u32 v[3:4], null, s10, s15, v[0:1]
	s_delay_alu instid0(VALU_DEP_1) | instskip(NEXT) | instid1(VALU_DEP_1)
	v_lshlrev_b64 v[0:1], 2, v[3:4]
	v_cmpx_gt_i64_e64 s[6:7], v[0:1]
	s_cbranch_execz .LBB18_29
; %bb.1:
	s_clause 0x1
	s_load_b32 s24, s[0:1], 0x338
	s_load_b64 s[2:3], s[0:1], 0x350
	s_load_b32 s11, s[8:9], 0x0
	s_load_b64 s[8:9], s[0:1], 0x0
	s_mov_b32 s44, 0
	s_waitcnt lgkmcnt(0)
	s_ashr_i32 s25, s24, 31
	s_add_u32 s26, s0, 0x1a8
	s_addc_u32 s27, s1, 0
	s_lshl_b64 s[12:13], s[24:25], 3
	v_cvt_f32_u32_e32 v3, s2
	s_add_u32 s14, s12, -16
	s_addc_u32 s15, s13, -1
	s_add_u32 s22, s26, s14
	s_addc_u32 s23, s27, s15
	v_rcp_iflag_f32_e32 v3, v3
	s_add_u32 s17, s12, -8
	s_addc_u32 s18, s13, -1
	s_add_u32 s0, s0, 0xd0
	s_addc_u32 s28, s1, 0
	s_mul_i32 s16, s11, s10
	s_add_u32 s10, s0, s17
	s_addc_u32 s11, s28, s18
	s_add_u32 s12, s0, s14
	s_addc_u32 s13, s28, s15
	s_add_i32 s20, s24, -3
	s_waitcnt_depctr 0xfff
	v_mul_f32_e32 v3, 0x4f7ffffe, v3
	s_ashr_i32 s21, s20, 31
	s_add_u32 s14, s26, s17
	s_addc_u32 s15, s27, s18
	s_lshl_b64 s[18:19], s[20:21], 3
	s_lshl_b32 s1, s16, 2
	s_add_u32 s16, s0, s18
	s_addc_u32 s17, s28, s19
	v_cvt_u32_f32_e32 v3, v3
	s_add_u32 s18, s26, s18
	s_addc_u32 s19, s27, s19
	s_add_u32 s20, s20, 1
	s_addc_u32 s21, s21, 0
	s_sub_i32 s0, 0, s2
	s_load_b64 s[22:23], s[22:23], 0x0
	v_mul_lo_u32 v4, s0, v3
	v_cmp_gt_i64_e64 s33, s[24:25], 2
	s_ashr_i32 s24, s3, 31
	s_delay_alu instid0(VALU_DEP_2) | instskip(NEXT) | instid1(VALU_DEP_1)
	v_mul_hi_u32 v4, v3, v4
	v_add_nc_u32_e32 v16, v3, v4
	s_waitcnt lgkmcnt(0)
	s_ashr_i32 s26, s23, 31
	s_branch .LBB18_3
.LBB18_2:                               ;   in Loop: Header=BB18_3 Depth=1
	s_or_b32 exec_lo, exec_lo, s25
	v_add_co_u32 v0, vcc_lo, v0, s1
	v_add_co_ci_u32_e32 v1, vcc_lo, 0, v1, vcc_lo
	s_delay_alu instid0(VALU_DEP_1) | instskip(SKIP_1) | instid1(SALU_CYCLE_1)
	v_cmp_le_i64_e32 vcc_lo, s[6:7], v[0:1]
	s_or_b32 s44, vcc_lo, s44
	s_and_not1_b32 exec_lo, exec_lo, s44
	s_cbranch_execz .LBB18_29
.LBB18_3:                               ; =>This Loop Header: Depth=1
                                        ;     Child Loop BB18_25 Depth 2
	v_or_b32_e32 v3, s3, v1
                                        ; implicit-def: $vgpr6_vgpr7
	s_mov_b32 s0, exec_lo
	s_delay_alu instid0(VALU_DEP_1)
	v_cmpx_ne_u64_e32 0, v[2:3]
	s_xor_b32 s27, exec_lo, s0
	s_cbranch_execz .LBB18_5
; %bb.4:                                ;   in Loop: Header=BB18_3 Depth=1
	s_add_u32 s28, s2, s24
	s_mov_b32 s25, s24
	s_addc_u32 s29, s3, s24
	s_delay_alu instid0(SALU_CYCLE_1) | instskip(NEXT) | instid1(SALU_CYCLE_1)
	s_xor_b64 s[28:29], s[28:29], s[24:25]
	v_cvt_f32_u32_e32 v3, s28
	v_cvt_f32_u32_e32 v4, s29
	s_sub_u32 s0, 0, s28
	s_subb_u32 s25, 0, s29
	s_delay_alu instid0(VALU_DEP_1) | instskip(NEXT) | instid1(VALU_DEP_1)
	v_fmac_f32_e32 v3, 0x4f800000, v4
	v_rcp_f32_e32 v3, v3
	s_waitcnt_depctr 0xfff
	v_mul_f32_e32 v3, 0x5f7ffffc, v3
	s_delay_alu instid0(VALU_DEP_1) | instskip(NEXT) | instid1(VALU_DEP_1)
	v_mul_f32_e32 v4, 0x2f800000, v3
	v_trunc_f32_e32 v4, v4
	s_delay_alu instid0(VALU_DEP_1) | instskip(SKIP_1) | instid1(VALU_DEP_2)
	v_fmac_f32_e32 v3, 0xcf800000, v4
	v_cvt_u32_f32_e32 v4, v4
	v_cvt_u32_f32_e32 v3, v3
	s_delay_alu instid0(VALU_DEP_2) | instskip(NEXT) | instid1(VALU_DEP_2)
	v_mul_lo_u32 v5, s0, v4
	v_mul_hi_u32 v6, s0, v3
	v_mul_lo_u32 v7, s25, v3
	s_delay_alu instid0(VALU_DEP_2) | instskip(SKIP_1) | instid1(VALU_DEP_2)
	v_add_nc_u32_e32 v5, v6, v5
	v_mul_lo_u32 v6, s0, v3
	v_add_nc_u32_e32 v5, v5, v7
	s_delay_alu instid0(VALU_DEP_2) | instskip(NEXT) | instid1(VALU_DEP_2)
	v_mul_hi_u32 v7, v3, v6
	v_mul_lo_u32 v8, v3, v5
	v_mul_hi_u32 v9, v3, v5
	v_mul_hi_u32 v10, v4, v6
	v_mul_lo_u32 v6, v4, v6
	v_mul_hi_u32 v11, v4, v5
	v_mul_lo_u32 v5, v4, v5
	v_add_co_u32 v7, vcc_lo, v7, v8
	v_add_co_ci_u32_e32 v8, vcc_lo, 0, v9, vcc_lo
	s_delay_alu instid0(VALU_DEP_2) | instskip(NEXT) | instid1(VALU_DEP_2)
	v_add_co_u32 v6, vcc_lo, v7, v6
	v_add_co_ci_u32_e32 v6, vcc_lo, v8, v10, vcc_lo
	v_add_co_ci_u32_e32 v7, vcc_lo, 0, v11, vcc_lo
	v_ashrrev_i32_e32 v10, 31, v1
	s_delay_alu instid0(VALU_DEP_3) | instskip(NEXT) | instid1(VALU_DEP_3)
	v_add_co_u32 v5, vcc_lo, v6, v5
	v_add_co_ci_u32_e32 v6, vcc_lo, 0, v7, vcc_lo
	s_delay_alu instid0(VALU_DEP_2) | instskip(NEXT) | instid1(VALU_DEP_2)
	v_add_co_u32 v3, vcc_lo, v3, v5
	v_add_co_ci_u32_e32 v4, vcc_lo, v4, v6, vcc_lo
	s_delay_alu instid0(VALU_DEP_2) | instskip(SKIP_1) | instid1(VALU_DEP_3)
	v_mul_hi_u32 v5, s0, v3
	v_mul_lo_u32 v7, s25, v3
	v_mul_lo_u32 v6, s0, v4
	s_delay_alu instid0(VALU_DEP_1) | instskip(SKIP_1) | instid1(VALU_DEP_2)
	v_add_nc_u32_e32 v5, v5, v6
	v_mul_lo_u32 v6, s0, v3
	v_add_nc_u32_e32 v5, v5, v7
	s_delay_alu instid0(VALU_DEP_2) | instskip(NEXT) | instid1(VALU_DEP_2)
	v_mul_hi_u32 v7, v3, v6
	v_mul_lo_u32 v8, v3, v5
	v_mul_hi_u32 v9, v3, v5
	v_mul_hi_u32 v11, v4, v6
	v_mul_lo_u32 v6, v4, v6
	v_mul_hi_u32 v12, v4, v5
	v_mul_lo_u32 v5, v4, v5
	v_add_co_u32 v7, vcc_lo, v7, v8
	v_add_co_ci_u32_e32 v8, vcc_lo, 0, v9, vcc_lo
	s_delay_alu instid0(VALU_DEP_2) | instskip(NEXT) | instid1(VALU_DEP_2)
	v_add_co_u32 v6, vcc_lo, v7, v6
	v_add_co_ci_u32_e32 v6, vcc_lo, v8, v11, vcc_lo
	v_add_co_ci_u32_e32 v7, vcc_lo, 0, v12, vcc_lo
	v_add_co_u32 v8, vcc_lo, v0, v10
	v_add_co_ci_u32_e32 v9, vcc_lo, v1, v10, vcc_lo
	s_delay_alu instid0(VALU_DEP_4) | instskip(NEXT) | instid1(VALU_DEP_4)
	v_add_co_u32 v5, vcc_lo, v6, v5
	v_add_co_ci_u32_e32 v6, vcc_lo, 0, v7, vcc_lo
	s_delay_alu instid0(VALU_DEP_4) | instskip(NEXT) | instid1(VALU_DEP_3)
	v_xor_b32_e32 v11, v8, v10
	v_add_co_u32 v7, vcc_lo, v3, v5
	s_delay_alu instid0(VALU_DEP_3) | instskip(SKIP_1) | instid1(VALU_DEP_3)
	v_add_co_ci_u32_e32 v12, vcc_lo, v4, v6, vcc_lo
	v_xor_b32_e32 v9, v9, v10
	v_mul_hi_u32 v13, v11, v7
	s_delay_alu instid0(VALU_DEP_3) | instskip(NEXT) | instid1(VALU_DEP_3)
	v_mad_u64_u32 v[3:4], null, v11, v12, 0
	v_mad_u64_u32 v[5:6], null, v9, v7, 0
	;; [unrolled: 1-line block ×3, first 2 shown]
	s_delay_alu instid0(VALU_DEP_3) | instskip(NEXT) | instid1(VALU_DEP_4)
	v_add_co_u32 v3, vcc_lo, v13, v3
	v_add_co_ci_u32_e32 v4, vcc_lo, 0, v4, vcc_lo
	s_delay_alu instid0(VALU_DEP_2) | instskip(NEXT) | instid1(VALU_DEP_2)
	v_add_co_u32 v3, vcc_lo, v3, v5
	v_add_co_ci_u32_e32 v3, vcc_lo, v4, v6, vcc_lo
	v_add_co_ci_u32_e32 v4, vcc_lo, 0, v8, vcc_lo
	s_delay_alu instid0(VALU_DEP_2) | instskip(NEXT) | instid1(VALU_DEP_2)
	v_add_co_u32 v5, vcc_lo, v3, v7
	v_add_co_ci_u32_e32 v6, vcc_lo, 0, v4, vcc_lo
	s_delay_alu instid0(VALU_DEP_2) | instskip(SKIP_1) | instid1(VALU_DEP_3)
	v_mul_lo_u32 v7, s29, v5
	v_mad_u64_u32 v[3:4], null, s28, v5, 0
	v_mul_lo_u32 v8, s28, v6
	s_delay_alu instid0(VALU_DEP_2) | instskip(NEXT) | instid1(VALU_DEP_2)
	v_sub_co_u32 v3, vcc_lo, v11, v3
	v_add3_u32 v4, v4, v8, v7
	s_delay_alu instid0(VALU_DEP_1) | instskip(NEXT) | instid1(VALU_DEP_1)
	v_sub_nc_u32_e32 v7, v9, v4
	v_subrev_co_ci_u32_e64 v7, s0, s29, v7, vcc_lo
	v_add_co_u32 v8, s0, v5, 2
	s_delay_alu instid0(VALU_DEP_1) | instskip(SKIP_3) | instid1(VALU_DEP_3)
	v_add_co_ci_u32_e64 v11, s0, 0, v6, s0
	v_sub_co_u32 v12, s0, v3, s28
	v_sub_co_ci_u32_e32 v4, vcc_lo, v9, v4, vcc_lo
	v_subrev_co_ci_u32_e64 v7, s0, 0, v7, s0
	v_cmp_le_u32_e32 vcc_lo, s28, v12
	s_delay_alu instid0(VALU_DEP_3) | instskip(SKIP_1) | instid1(VALU_DEP_4)
	v_cmp_eq_u32_e64 s0, s29, v4
	v_cndmask_b32_e64 v9, 0, -1, vcc_lo
	v_cmp_le_u32_e32 vcc_lo, s29, v7
	v_cndmask_b32_e64 v12, 0, -1, vcc_lo
	v_cmp_le_u32_e32 vcc_lo, s28, v3
	;; [unrolled: 2-line block ×3, first 2 shown]
	v_cndmask_b32_e64 v13, 0, -1, vcc_lo
	v_cmp_eq_u32_e32 vcc_lo, s29, v7
	s_delay_alu instid0(VALU_DEP_2) | instskip(SKIP_3) | instid1(VALU_DEP_3)
	v_cndmask_b32_e64 v3, v13, v3, s0
	v_cndmask_b32_e32 v7, v12, v9, vcc_lo
	v_add_co_u32 v9, vcc_lo, v5, 1
	v_add_co_ci_u32_e32 v12, vcc_lo, 0, v6, vcc_lo
	v_cmp_ne_u32_e32 vcc_lo, 0, v7
	s_delay_alu instid0(VALU_DEP_2) | instskip(SKIP_2) | instid1(VALU_DEP_3)
	v_dual_cndmask_b32 v4, v12, v11 :: v_dual_cndmask_b32 v7, v9, v8
	v_cmp_ne_u32_e32 vcc_lo, 0, v3
	v_xor_b32_e32 v3, s24, v10
	v_dual_cndmask_b32 v5, v5, v7 :: v_dual_cndmask_b32 v4, v6, v4
	s_delay_alu instid0(VALU_DEP_1) | instskip(NEXT) | instid1(VALU_DEP_2)
	v_xor_b32_e32 v5, v5, v3
	v_xor_b32_e32 v4, v4, v3
	s_delay_alu instid0(VALU_DEP_2) | instskip(NEXT) | instid1(VALU_DEP_2)
	v_sub_co_u32 v6, vcc_lo, v5, v3
	v_sub_co_ci_u32_e32 v7, vcc_lo, v4, v3, vcc_lo
.LBB18_5:                               ;   in Loop: Header=BB18_3 Depth=1
	s_and_not1_saveexec_b32 s0, s27
; %bb.6:                                ;   in Loop: Header=BB18_3 Depth=1
	v_mul_hi_u32 v3, v0, v16
	v_mov_b32_e32 v7, v2
	s_delay_alu instid0(VALU_DEP_2) | instskip(NEXT) | instid1(VALU_DEP_1)
	v_mul_lo_u32 v4, v3, s2
	v_sub_nc_u32_e32 v4, v0, v4
	s_delay_alu instid0(VALU_DEP_1) | instskip(SKIP_1) | instid1(VALU_DEP_2)
	v_subrev_nc_u32_e32 v6, s2, v4
	v_cmp_le_u32_e32 vcc_lo, s2, v4
	v_dual_cndmask_b32 v4, v4, v6 :: v_dual_add_nc_u32 v5, 1, v3
	s_delay_alu instid0(VALU_DEP_1) | instskip(NEXT) | instid1(VALU_DEP_2)
	v_cndmask_b32_e32 v3, v3, v5, vcc_lo
	v_cmp_le_u32_e32 vcc_lo, s2, v4
	s_delay_alu instid0(VALU_DEP_2) | instskip(NEXT) | instid1(VALU_DEP_1)
	v_add_nc_u32_e32 v5, 1, v3
	v_cndmask_b32_e32 v6, v3, v5, vcc_lo
; %bb.7:                                ;   in Loop: Header=BB18_3 Depth=1
	s_or_b32 exec_lo, exec_lo, s0
	v_or_b32_e32 v3, s23, v7
                                        ; implicit-def: $vgpr8_vgpr9
	s_mov_b32 s0, exec_lo
	s_delay_alu instid0(VALU_DEP_1)
	v_cmpx_ne_u64_e32 0, v[2:3]
	s_xor_b32 s25, exec_lo, s0
	s_cbranch_execz .LBB18_9
; %bb.8:                                ;   in Loop: Header=BB18_3 Depth=1
	s_add_u32 s28, s22, s26
	s_mov_b32 s27, s26
	s_addc_u32 s29, s23, s26
	s_delay_alu instid0(SALU_CYCLE_1) | instskip(NEXT) | instid1(SALU_CYCLE_1)
	s_xor_b64 s[28:29], s[28:29], s[26:27]
	v_cvt_f32_u32_e32 v3, s28
	v_cvt_f32_u32_e32 v4, s29
	s_sub_u32 s0, 0, s28
	s_subb_u32 s27, 0, s29
	s_delay_alu instid0(VALU_DEP_1) | instskip(NEXT) | instid1(VALU_DEP_1)
	v_fmac_f32_e32 v3, 0x4f800000, v4
	v_rcp_f32_e32 v3, v3
	s_waitcnt_depctr 0xfff
	v_mul_f32_e32 v3, 0x5f7ffffc, v3
	s_delay_alu instid0(VALU_DEP_1) | instskip(NEXT) | instid1(VALU_DEP_1)
	v_mul_f32_e32 v4, 0x2f800000, v3
	v_trunc_f32_e32 v4, v4
	s_delay_alu instid0(VALU_DEP_1) | instskip(SKIP_1) | instid1(VALU_DEP_2)
	v_fmac_f32_e32 v3, 0xcf800000, v4
	v_cvt_u32_f32_e32 v4, v4
	v_cvt_u32_f32_e32 v3, v3
	s_delay_alu instid0(VALU_DEP_2) | instskip(NEXT) | instid1(VALU_DEP_2)
	v_mul_lo_u32 v5, s0, v4
	v_mul_hi_u32 v8, s0, v3
	v_mul_lo_u32 v9, s27, v3
	s_delay_alu instid0(VALU_DEP_2) | instskip(SKIP_1) | instid1(VALU_DEP_2)
	v_add_nc_u32_e32 v5, v8, v5
	v_mul_lo_u32 v8, s0, v3
	v_add_nc_u32_e32 v5, v5, v9
	s_delay_alu instid0(VALU_DEP_2) | instskip(NEXT) | instid1(VALU_DEP_2)
	v_mul_hi_u32 v9, v3, v8
	v_mul_lo_u32 v10, v3, v5
	v_mul_hi_u32 v11, v3, v5
	v_mul_hi_u32 v12, v4, v8
	v_mul_lo_u32 v8, v4, v8
	v_mul_hi_u32 v13, v4, v5
	v_mul_lo_u32 v5, v4, v5
	v_add_co_u32 v9, vcc_lo, v9, v10
	v_add_co_ci_u32_e32 v10, vcc_lo, 0, v11, vcc_lo
	s_delay_alu instid0(VALU_DEP_2) | instskip(NEXT) | instid1(VALU_DEP_2)
	v_add_co_u32 v8, vcc_lo, v9, v8
	v_add_co_ci_u32_e32 v8, vcc_lo, v10, v12, vcc_lo
	v_add_co_ci_u32_e32 v9, vcc_lo, 0, v13, vcc_lo
	v_ashrrev_i32_e32 v12, 31, v7
	s_delay_alu instid0(VALU_DEP_3) | instskip(NEXT) | instid1(VALU_DEP_3)
	v_add_co_u32 v5, vcc_lo, v8, v5
	v_add_co_ci_u32_e32 v8, vcc_lo, 0, v9, vcc_lo
	s_delay_alu instid0(VALU_DEP_2) | instskip(NEXT) | instid1(VALU_DEP_2)
	v_add_co_u32 v3, vcc_lo, v3, v5
	v_add_co_ci_u32_e32 v4, vcc_lo, v4, v8, vcc_lo
	s_delay_alu instid0(VALU_DEP_2) | instskip(SKIP_1) | instid1(VALU_DEP_3)
	v_mul_hi_u32 v5, s0, v3
	v_mul_lo_u32 v9, s27, v3
	v_mul_lo_u32 v8, s0, v4
	s_delay_alu instid0(VALU_DEP_1) | instskip(SKIP_1) | instid1(VALU_DEP_2)
	v_add_nc_u32_e32 v5, v5, v8
	v_mul_lo_u32 v8, s0, v3
	v_add_nc_u32_e32 v5, v5, v9
	s_delay_alu instid0(VALU_DEP_2) | instskip(NEXT) | instid1(VALU_DEP_2)
	v_mul_hi_u32 v9, v3, v8
	v_mul_lo_u32 v10, v3, v5
	v_mul_hi_u32 v11, v3, v5
	v_mul_hi_u32 v13, v4, v8
	v_mul_lo_u32 v8, v4, v8
	v_mul_hi_u32 v14, v4, v5
	v_mul_lo_u32 v5, v4, v5
	v_add_co_u32 v9, vcc_lo, v9, v10
	v_add_co_ci_u32_e32 v10, vcc_lo, 0, v11, vcc_lo
	s_delay_alu instid0(VALU_DEP_2) | instskip(NEXT) | instid1(VALU_DEP_2)
	v_add_co_u32 v8, vcc_lo, v9, v8
	v_add_co_ci_u32_e32 v8, vcc_lo, v10, v13, vcc_lo
	v_add_co_ci_u32_e32 v9, vcc_lo, 0, v14, vcc_lo
	v_add_co_u32 v10, vcc_lo, v6, v12
	v_add_co_ci_u32_e32 v11, vcc_lo, v7, v12, vcc_lo
	s_delay_alu instid0(VALU_DEP_4) | instskip(NEXT) | instid1(VALU_DEP_4)
	v_add_co_u32 v5, vcc_lo, v8, v5
	v_add_co_ci_u32_e32 v8, vcc_lo, 0, v9, vcc_lo
	s_delay_alu instid0(VALU_DEP_4) | instskip(NEXT) | instid1(VALU_DEP_3)
	v_xor_b32_e32 v13, v10, v12
	v_add_co_u32 v5, vcc_lo, v3, v5
	s_delay_alu instid0(VALU_DEP_3) | instskip(SKIP_1) | instid1(VALU_DEP_3)
	v_add_co_ci_u32_e32 v14, vcc_lo, v4, v8, vcc_lo
	v_xor_b32_e32 v15, v11, v12
	v_mul_hi_u32 v17, v13, v5
	s_delay_alu instid0(VALU_DEP_3) | instskip(NEXT) | instid1(VALU_DEP_3)
	v_mad_u64_u32 v[3:4], null, v13, v14, 0
	v_mad_u64_u32 v[8:9], null, v15, v5, 0
	v_mad_u64_u32 v[10:11], null, v15, v14, 0
	s_delay_alu instid0(VALU_DEP_3) | instskip(NEXT) | instid1(VALU_DEP_4)
	v_add_co_u32 v3, vcc_lo, v17, v3
	v_add_co_ci_u32_e32 v4, vcc_lo, 0, v4, vcc_lo
	s_delay_alu instid0(VALU_DEP_2) | instskip(NEXT) | instid1(VALU_DEP_2)
	v_add_co_u32 v3, vcc_lo, v3, v8
	v_add_co_ci_u32_e32 v3, vcc_lo, v4, v9, vcc_lo
	v_add_co_ci_u32_e32 v4, vcc_lo, 0, v11, vcc_lo
	s_delay_alu instid0(VALU_DEP_2) | instskip(NEXT) | instid1(VALU_DEP_2)
	v_add_co_u32 v5, vcc_lo, v3, v10
	v_add_co_ci_u32_e32 v8, vcc_lo, 0, v4, vcc_lo
	s_delay_alu instid0(VALU_DEP_2) | instskip(SKIP_1) | instid1(VALU_DEP_3)
	v_mul_lo_u32 v9, s29, v5
	v_mad_u64_u32 v[3:4], null, s28, v5, 0
	v_mul_lo_u32 v10, s28, v8
	s_delay_alu instid0(VALU_DEP_2) | instskip(NEXT) | instid1(VALU_DEP_2)
	v_sub_co_u32 v3, vcc_lo, v13, v3
	v_add3_u32 v4, v4, v10, v9
	s_delay_alu instid0(VALU_DEP_1) | instskip(NEXT) | instid1(VALU_DEP_1)
	v_sub_nc_u32_e32 v9, v15, v4
	v_subrev_co_ci_u32_e64 v9, s0, s29, v9, vcc_lo
	v_add_co_u32 v10, s0, v5, 2
	s_delay_alu instid0(VALU_DEP_1) | instskip(SKIP_3) | instid1(VALU_DEP_3)
	v_add_co_ci_u32_e64 v11, s0, 0, v8, s0
	v_sub_co_u32 v13, s0, v3, s28
	v_sub_co_ci_u32_e32 v4, vcc_lo, v15, v4, vcc_lo
	v_subrev_co_ci_u32_e64 v9, s0, 0, v9, s0
	v_cmp_le_u32_e32 vcc_lo, s28, v13
	s_delay_alu instid0(VALU_DEP_3) | instskip(SKIP_1) | instid1(VALU_DEP_4)
	v_cmp_eq_u32_e64 s0, s29, v4
	v_cndmask_b32_e64 v13, 0, -1, vcc_lo
	v_cmp_le_u32_e32 vcc_lo, s29, v9
	v_cndmask_b32_e64 v14, 0, -1, vcc_lo
	v_cmp_le_u32_e32 vcc_lo, s28, v3
	;; [unrolled: 2-line block ×3, first 2 shown]
	v_cndmask_b32_e64 v15, 0, -1, vcc_lo
	v_cmp_eq_u32_e32 vcc_lo, s29, v9
	s_delay_alu instid0(VALU_DEP_2) | instskip(SKIP_3) | instid1(VALU_DEP_3)
	v_cndmask_b32_e64 v3, v15, v3, s0
	v_cndmask_b32_e32 v9, v14, v13, vcc_lo
	v_add_co_u32 v13, vcc_lo, v5, 1
	v_add_co_ci_u32_e32 v14, vcc_lo, 0, v8, vcc_lo
	v_cmp_ne_u32_e32 vcc_lo, 0, v9
	s_delay_alu instid0(VALU_DEP_2) | instskip(SKIP_2) | instid1(VALU_DEP_3)
	v_dual_cndmask_b32 v4, v14, v11 :: v_dual_cndmask_b32 v9, v13, v10
	v_cmp_ne_u32_e32 vcc_lo, 0, v3
	v_xor_b32_e32 v3, s26, v12
	v_dual_cndmask_b32 v5, v5, v9 :: v_dual_cndmask_b32 v4, v8, v4
	s_delay_alu instid0(VALU_DEP_1) | instskip(NEXT) | instid1(VALU_DEP_2)
	v_xor_b32_e32 v5, v5, v3
	v_xor_b32_e32 v4, v4, v3
	s_delay_alu instid0(VALU_DEP_2) | instskip(NEXT) | instid1(VALU_DEP_2)
	v_sub_co_u32 v8, vcc_lo, v5, v3
	v_sub_co_ci_u32_e32 v9, vcc_lo, v4, v3, vcc_lo
.LBB18_9:                               ;   in Loop: Header=BB18_3 Depth=1
	s_and_not1_saveexec_b32 s0, s25
	s_cbranch_execz .LBB18_11
; %bb.10:                               ;   in Loop: Header=BB18_3 Depth=1
	v_cvt_f32_u32_e32 v3, s22
	s_sub_i32 s25, 0, s22
	v_mov_b32_e32 v9, v2
	s_delay_alu instid0(VALU_DEP_2) | instskip(SKIP_2) | instid1(VALU_DEP_1)
	v_rcp_iflag_f32_e32 v3, v3
	s_waitcnt_depctr 0xfff
	v_mul_f32_e32 v3, 0x4f7ffffe, v3
	v_cvt_u32_f32_e32 v3, v3
	s_delay_alu instid0(VALU_DEP_1) | instskip(NEXT) | instid1(VALU_DEP_1)
	v_mul_lo_u32 v4, s25, v3
	v_mul_hi_u32 v4, v3, v4
	s_delay_alu instid0(VALU_DEP_1) | instskip(NEXT) | instid1(VALU_DEP_1)
	v_add_nc_u32_e32 v3, v3, v4
	v_mul_hi_u32 v3, v6, v3
	s_delay_alu instid0(VALU_DEP_1) | instskip(SKIP_1) | instid1(VALU_DEP_2)
	v_mul_lo_u32 v4, v3, s22
	v_add_nc_u32_e32 v5, 1, v3
	v_sub_nc_u32_e32 v4, v6, v4
	s_delay_alu instid0(VALU_DEP_1) | instskip(SKIP_1) | instid1(VALU_DEP_2)
	v_subrev_nc_u32_e32 v8, s22, v4
	v_cmp_le_u32_e32 vcc_lo, s22, v4
	v_dual_cndmask_b32 v4, v4, v8 :: v_dual_cndmask_b32 v3, v3, v5
	s_delay_alu instid0(VALU_DEP_1) | instskip(NEXT) | instid1(VALU_DEP_2)
	v_cmp_le_u32_e32 vcc_lo, s22, v4
	v_add_nc_u32_e32 v5, 1, v3
	s_delay_alu instid0(VALU_DEP_1)
	v_cndmask_b32_e32 v8, v3, v5, vcc_lo
.LBB18_11:                              ;   in Loop: Header=BB18_3 Depth=1
	s_or_b32 exec_lo, exec_lo, s0
	v_mul_lo_u32 v5, v7, s2
	v_mul_lo_u32 v12, v6, s3
	v_mad_u64_u32 v[3:4], null, v6, s2, 0
	v_mul_lo_u32 v13, v9, s22
	v_mul_lo_u32 v14, v8, s23
	v_mad_u64_u32 v[10:11], null, v8, s22, 0
	s_mov_b32 s25, exec_lo
	s_delay_alu instid0(VALU_DEP_4) | instskip(SKIP_1) | instid1(VALU_DEP_3)
	v_add3_u32 v5, v4, v12, v5
	v_sub_co_u32 v4, vcc_lo, v0, v3
	v_add3_u32 v11, v11, v14, v13
	s_delay_alu instid0(VALU_DEP_3) | instskip(SKIP_1) | instid1(VALU_DEP_3)
	v_sub_co_ci_u32_e32 v5, vcc_lo, v1, v5, vcc_lo
	v_sub_co_u32 v17, vcc_lo, v6, v10
	v_sub_co_ci_u32_e32 v18, vcc_lo, v7, v11, vcc_lo
	s_delay_alu instid0(VALU_DEP_2) | instskip(NEXT) | instid1(VALU_DEP_2)
	v_sub_co_u32 v6, vcc_lo, v4, v17
	v_sub_co_ci_u32_e32 v7, vcc_lo, v5, v18, vcc_lo
	s_delay_alu instid0(VALU_DEP_2) | instskip(NEXT) | instid1(VALU_DEP_2)
	v_add_co_u32 v10, vcc_lo, v6, 4
	v_add_co_ci_u32_e32 v11, vcc_lo, 0, v7, vcc_lo
	s_delay_alu instid0(VALU_DEP_1)
	v_cmpx_lt_i64_e64 s[4:5], v[10:11]
	s_cbranch_execz .LBB18_2
; %bb.12:                               ;   in Loop: Header=BB18_3 Depth=1
	s_clause 0x1
	s_load_b64 s[28:29], s[10:11], 0x0
	s_load_b64 s[30:31], s[12:13], 0x0
	s_and_b32 vcc_lo, exec_lo, s33
	s_mov_b64 s[34:35], s[18:19]
	s_mov_b64 s[36:37], s[16:17]
	s_waitcnt lgkmcnt(0)
	v_mul_lo_u32 v3, s29, v4
	v_mul_lo_u32 v12, s28, v5
	v_mad_u64_u32 v[10:11], null, s28, v4, 0
	s_delay_alu instid0(VALU_DEP_1) | instskip(SKIP_1) | instid1(VALU_DEP_2)
	v_add3_u32 v11, v11, v12, v3
	v_mul_lo_u32 v3, s30, v18
	v_mad_u64_u32 v[14:15], null, s30, v17, v[10:11]
	v_mul_lo_u32 v10, s31, v17
	s_mov_b64 s[30:31], s[20:21]
	s_delay_alu instid0(VALU_DEP_1) | instskip(NEXT) | instid1(VALU_DEP_1)
	v_add3_u32 v15, v10, v15, v3
	v_dual_mov_b32 v10, v14 :: v_dual_mov_b32 v11, v15
	s_cbranch_vccnz .LBB18_25
.LBB18_13:                              ;   in Loop: Header=BB18_3 Depth=1
	s_load_b64 s[30:31], s[14:15], 0x0
	s_waitcnt lgkmcnt(0)
	v_cmp_gt_i64_e32 vcc_lo, s[30:31], v[4:5]
	s_and_b32 exec_lo, exec_lo, vcc_lo
	s_cbranch_execz .LBB18_2
; %bb.14:                               ;   in Loop: Header=BB18_3 Depth=1
	v_lshlrev_b64 v[8:9], 1, v[14:15]
	v_cmp_lt_i64_e32 vcc_lo, s[4:5], v[6:7]
	s_delay_alu instid0(VALU_DEP_2) | instskip(NEXT) | instid1(VALU_DEP_1)
	v_add_co_u32 v6, s0, s8, v8
	v_add_co_ci_u32_e64 v7, s0, s9, v9, s0
	s_and_saveexec_b32 s0, vcc_lo
	s_cbranch_execz .LBB18_16
; %bb.15:                               ;   in Loop: Header=BB18_3 Depth=1
	global_store_b16 v[6:7], v2, off
.LBB18_16:                              ;   in Loop: Header=BB18_3 Depth=1
	s_or_b32 exec_lo, exec_lo, s0
	v_add_co_u32 v8, vcc_lo, v4, 1
	v_add_co_ci_u32_e32 v9, vcc_lo, 0, v5, vcc_lo
	s_delay_alu instid0(VALU_DEP_1)
	v_cmp_gt_i64_e32 vcc_lo, s[30:31], v[8:9]
	s_and_b32 exec_lo, exec_lo, vcc_lo
	s_cbranch_execz .LBB18_2
; %bb.17:                               ;   in Loop: Header=BB18_3 Depth=1
	v_sub_co_u32 v8, vcc_lo, v8, v17
	v_sub_co_ci_u32_e32 v9, vcc_lo, v9, v18, vcc_lo
	s_mov_b32 s0, exec_lo
	s_delay_alu instid0(VALU_DEP_1)
	v_cmpx_lt_i64_e64 s[4:5], v[8:9]
	s_cbranch_execz .LBB18_19
; %bb.18:                               ;   in Loop: Header=BB18_3 Depth=1
	s_lshl_b64 s[34:35], s[28:29], 1
	s_delay_alu instid0(SALU_CYCLE_1)
	v_add_co_u32 v8, vcc_lo, v6, s34
	v_add_co_ci_u32_e32 v9, vcc_lo, s35, v7, vcc_lo
	global_store_b16 v[8:9], v2, off
.LBB18_19:                              ;   in Loop: Header=BB18_3 Depth=1
	s_or_b32 exec_lo, exec_lo, s0
	v_add_co_u32 v8, vcc_lo, v4, 2
	v_add_co_ci_u32_e32 v9, vcc_lo, 0, v5, vcc_lo
	s_delay_alu instid0(VALU_DEP_1)
	v_cmp_gt_i64_e32 vcc_lo, s[30:31], v[8:9]
	s_and_b32 exec_lo, exec_lo, vcc_lo
	s_cbranch_execz .LBB18_2
; %bb.20:                               ;   in Loop: Header=BB18_3 Depth=1
	v_sub_co_u32 v8, vcc_lo, v8, v17
	v_sub_co_ci_u32_e32 v9, vcc_lo, v9, v18, vcc_lo
	s_mov_b32 s0, exec_lo
	s_delay_alu instid0(VALU_DEP_1)
	v_cmpx_lt_i64_e64 s[4:5], v[8:9]
	s_cbranch_execz .LBB18_22
; %bb.21:                               ;   in Loop: Header=BB18_3 Depth=1
	s_lshl_b64 s[34:35], s[28:29], 2
	s_delay_alu instid0(SALU_CYCLE_1)
	v_add_co_u32 v8, vcc_lo, v6, s34
	v_add_co_ci_u32_e32 v9, vcc_lo, s35, v7, vcc_lo
	global_store_b16 v[8:9], v2, off
.LBB18_22:                              ;   in Loop: Header=BB18_3 Depth=1
	s_or_b32 exec_lo, exec_lo, s0
	v_add_co_u32 v3, vcc_lo, v4, 3
	v_add_co_ci_u32_e32 v4, vcc_lo, 0, v5, vcc_lo
	s_delay_alu instid0(VALU_DEP_2) | instskip(NEXT) | instid1(VALU_DEP_2)
	v_sub_co_u32 v8, vcc_lo, v3, v17
	v_sub_co_ci_u32_e32 v9, vcc_lo, v4, v18, vcc_lo
	v_cmp_gt_i64_e32 vcc_lo, s[30:31], v[3:4]
	s_delay_alu instid0(VALU_DEP_2) | instskip(NEXT) | instid1(VALU_DEP_1)
	v_cmp_lt_i64_e64 s0, s[4:5], v[8:9]
	s_and_b32 s0, vcc_lo, s0
	s_delay_alu instid0(SALU_CYCLE_1)
	s_and_b32 exec_lo, exec_lo, s0
	s_cbranch_execz .LBB18_2
; %bb.23:                               ;   in Loop: Header=BB18_3 Depth=1
	v_mad_u64_u32 v[3:4], null, s28, 6, v[6:7]
	s_delay_alu instid0(VALU_DEP_1) | instskip(NEXT) | instid1(VALU_DEP_1)
	v_mad_u64_u32 v[5:6], null, s29, 6, v[4:5]
	v_mov_b32_e32 v4, v5
	global_store_b16 v[3:4], v2, off
	s_branch .LBB18_2
.LBB18_24:                              ;   in Loop: Header=BB18_25 Depth=2
	s_or_b32 exec_lo, exec_lo, s0
	s_load_b64 s[40:41], s[36:37], 0x0
	s_delay_alu instid0(VALU_DEP_1)
	v_mul_lo_u32 v3, v13, s38
	v_mul_lo_u32 v19, v12, s39
	v_mad_u64_u32 v[14:15], null, v12, s38, 0
	s_add_u32 s36, s36, -8
	s_addc_u32 s37, s37, -1
	s_add_u32 s34, s34, -8
	s_addc_u32 s35, s35, -1
	s_add_u32 s30, s30, -1
	s_addc_u32 s31, s31, -1
	s_delay_alu instid0(VALU_DEP_1) | instskip(SKIP_2) | instid1(VALU_DEP_3)
	v_add3_u32 v3, v15, v19, v3
	v_sub_co_u32 v8, vcc_lo, v8, v14
	v_cmp_lt_i64_e64 s0, s[30:31], 1
	v_sub_co_ci_u32_e32 v3, vcc_lo, v9, v3, vcc_lo
	s_delay_alu instid0(VALU_DEP_2) | instskip(SKIP_1) | instid1(VALU_DEP_1)
	s_and_b32 vcc_lo, exec_lo, s0
	s_waitcnt lgkmcnt(0)
	v_mul_lo_u32 v3, s40, v3
	v_mul_lo_u32 v9, s41, v8
	v_mad_u64_u32 v[14:15], null, s40, v8, v[10:11]
	s_delay_alu instid0(VALU_DEP_1) | instskip(NEXT) | instid1(VALU_DEP_2)
	v_add3_u32 v15, v9, v15, v3
	v_mov_b32_e32 v10, v14
	v_dual_mov_b32 v8, v12 :: v_dual_mov_b32 v9, v13
	s_delay_alu instid0(VALU_DEP_3)
	v_mov_b32_e32 v11, v15
	s_cbranch_vccnz .LBB18_13
.LBB18_25:                              ;   Parent Loop BB18_3 Depth=1
                                        ; =>  This Inner Loop Header: Depth=2
	s_load_b64 s[38:39], s[34:35], 0x0
                                        ; implicit-def: $vgpr12_vgpr13
	s_mov_b32 s0, exec_lo
	s_waitcnt lgkmcnt(0)
	v_or_b32_e32 v3, s39, v9
	s_delay_alu instid0(VALU_DEP_1)
	v_cmpx_ne_u64_e32 0, v[2:3]
	s_xor_b32 s27, exec_lo, s0
	s_cbranch_execz .LBB18_27
; %bb.26:                               ;   in Loop: Header=BB18_25 Depth=2
	s_ashr_i32 s40, s39, 31
	s_delay_alu instid0(SALU_CYCLE_1) | instskip(SKIP_2) | instid1(SALU_CYCLE_1)
	s_add_u32 s42, s38, s40
	s_mov_b32 s41, s40
	s_addc_u32 s43, s39, s40
	s_xor_b64 s[42:43], s[42:43], s[40:41]
	s_delay_alu instid0(SALU_CYCLE_1) | instskip(SKIP_3) | instid1(VALU_DEP_1)
	v_cvt_f32_u32_e32 v3, s42
	v_cvt_f32_u32_e32 v12, s43
	s_sub_u32 s0, 0, s42
	s_subb_u32 s41, 0, s43
	v_fmac_f32_e32 v3, 0x4f800000, v12
	s_delay_alu instid0(VALU_DEP_1) | instskip(SKIP_2) | instid1(VALU_DEP_1)
	v_rcp_f32_e32 v3, v3
	s_waitcnt_depctr 0xfff
	v_mul_f32_e32 v3, 0x5f7ffffc, v3
	v_mul_f32_e32 v12, 0x2f800000, v3
	s_delay_alu instid0(VALU_DEP_1) | instskip(NEXT) | instid1(VALU_DEP_1)
	v_trunc_f32_e32 v12, v12
	v_fmac_f32_e32 v3, 0xcf800000, v12
	v_cvt_u32_f32_e32 v12, v12
	s_delay_alu instid0(VALU_DEP_2) | instskip(NEXT) | instid1(VALU_DEP_2)
	v_cvt_u32_f32_e32 v3, v3
	v_mul_lo_u32 v13, s0, v12
	s_delay_alu instid0(VALU_DEP_2) | instskip(SKIP_1) | instid1(VALU_DEP_2)
	v_mul_hi_u32 v14, s0, v3
	v_mul_lo_u32 v15, s41, v3
	v_add_nc_u32_e32 v13, v14, v13
	v_mul_lo_u32 v14, s0, v3
	s_delay_alu instid0(VALU_DEP_2) | instskip(NEXT) | instid1(VALU_DEP_2)
	v_add_nc_u32_e32 v13, v13, v15
	v_mul_hi_u32 v15, v3, v14
	s_delay_alu instid0(VALU_DEP_2)
	v_mul_lo_u32 v19, v3, v13
	v_mul_hi_u32 v20, v3, v13
	v_mul_hi_u32 v21, v12, v14
	v_mul_lo_u32 v14, v12, v14
	v_mul_hi_u32 v22, v12, v13
	v_mul_lo_u32 v13, v12, v13
	v_add_co_u32 v15, vcc_lo, v15, v19
	v_add_co_ci_u32_e32 v19, vcc_lo, 0, v20, vcc_lo
	s_delay_alu instid0(VALU_DEP_2) | instskip(NEXT) | instid1(VALU_DEP_2)
	v_add_co_u32 v14, vcc_lo, v15, v14
	v_add_co_ci_u32_e32 v14, vcc_lo, v19, v21, vcc_lo
	v_add_co_ci_u32_e32 v15, vcc_lo, 0, v22, vcc_lo
	v_ashrrev_i32_e32 v21, 31, v9
	s_delay_alu instid0(VALU_DEP_3) | instskip(NEXT) | instid1(VALU_DEP_3)
	v_add_co_u32 v13, vcc_lo, v14, v13
	v_add_co_ci_u32_e32 v14, vcc_lo, 0, v15, vcc_lo
	s_delay_alu instid0(VALU_DEP_2) | instskip(NEXT) | instid1(VALU_DEP_2)
	v_add_co_u32 v3, vcc_lo, v3, v13
	v_add_co_ci_u32_e32 v12, vcc_lo, v12, v14, vcc_lo
	s_delay_alu instid0(VALU_DEP_2) | instskip(SKIP_1) | instid1(VALU_DEP_3)
	v_mul_hi_u32 v13, s0, v3
	v_mul_lo_u32 v15, s41, v3
	v_mul_lo_u32 v14, s0, v12
	s_delay_alu instid0(VALU_DEP_1) | instskip(SKIP_1) | instid1(VALU_DEP_2)
	v_add_nc_u32_e32 v13, v13, v14
	v_mul_lo_u32 v14, s0, v3
	v_add_nc_u32_e32 v13, v13, v15
	s_delay_alu instid0(VALU_DEP_2) | instskip(NEXT) | instid1(VALU_DEP_2)
	v_mul_hi_u32 v15, v3, v14
	v_mul_lo_u32 v19, v3, v13
	v_mul_hi_u32 v20, v3, v13
	v_mul_hi_u32 v22, v12, v14
	v_mul_lo_u32 v14, v12, v14
	v_mul_hi_u32 v23, v12, v13
	v_mul_lo_u32 v13, v12, v13
	v_add_co_u32 v15, vcc_lo, v15, v19
	v_add_co_ci_u32_e32 v19, vcc_lo, 0, v20, vcc_lo
	s_delay_alu instid0(VALU_DEP_2) | instskip(NEXT) | instid1(VALU_DEP_2)
	v_add_co_u32 v14, vcc_lo, v15, v14
	v_add_co_ci_u32_e32 v14, vcc_lo, v19, v22, vcc_lo
	v_add_co_ci_u32_e32 v15, vcc_lo, 0, v23, vcc_lo
	v_add_co_u32 v19, vcc_lo, v8, v21
	v_add_co_ci_u32_e32 v20, vcc_lo, v9, v21, vcc_lo
	s_delay_alu instid0(VALU_DEP_4) | instskip(NEXT) | instid1(VALU_DEP_4)
	v_add_co_u32 v13, vcc_lo, v14, v13
	v_add_co_ci_u32_e32 v14, vcc_lo, 0, v15, vcc_lo
	s_delay_alu instid0(VALU_DEP_4) | instskip(NEXT) | instid1(VALU_DEP_3)
	v_xor_b32_e32 v22, v19, v21
	v_add_co_u32 v3, vcc_lo, v3, v13
	s_delay_alu instid0(VALU_DEP_3) | instskip(SKIP_1) | instid1(VALU_DEP_3)
	v_add_co_ci_u32_e32 v23, vcc_lo, v12, v14, vcc_lo
	v_xor_b32_e32 v24, v20, v21
	v_mul_hi_u32 v25, v22, v3
	s_delay_alu instid0(VALU_DEP_3) | instskip(NEXT) | instid1(VALU_DEP_3)
	v_mad_u64_u32 v[12:13], null, v22, v23, 0
	v_mad_u64_u32 v[14:15], null, v24, v3, 0
	;; [unrolled: 1-line block ×3, first 2 shown]
	s_delay_alu instid0(VALU_DEP_3) | instskip(NEXT) | instid1(VALU_DEP_4)
	v_add_co_u32 v3, vcc_lo, v25, v12
	v_add_co_ci_u32_e32 v12, vcc_lo, 0, v13, vcc_lo
	s_delay_alu instid0(VALU_DEP_2) | instskip(NEXT) | instid1(VALU_DEP_2)
	v_add_co_u32 v3, vcc_lo, v3, v14
	v_add_co_ci_u32_e32 v3, vcc_lo, v12, v15, vcc_lo
	v_add_co_ci_u32_e32 v12, vcc_lo, 0, v20, vcc_lo
	s_delay_alu instid0(VALU_DEP_2) | instskip(NEXT) | instid1(VALU_DEP_2)
	v_add_co_u32 v3, vcc_lo, v3, v19
	v_add_co_ci_u32_e32 v14, vcc_lo, 0, v12, vcc_lo
	s_delay_alu instid0(VALU_DEP_2) | instskip(SKIP_1) | instid1(VALU_DEP_3)
	v_mul_lo_u32 v15, s43, v3
	v_mad_u64_u32 v[12:13], null, s42, v3, 0
	v_mul_lo_u32 v19, s42, v14
	s_delay_alu instid0(VALU_DEP_2) | instskip(NEXT) | instid1(VALU_DEP_2)
	v_sub_co_u32 v12, vcc_lo, v22, v12
	v_add3_u32 v13, v13, v19, v15
	s_delay_alu instid0(VALU_DEP_1) | instskip(NEXT) | instid1(VALU_DEP_1)
	v_sub_nc_u32_e32 v15, v24, v13
	v_subrev_co_ci_u32_e64 v15, s0, s43, v15, vcc_lo
	v_add_co_u32 v19, s0, v3, 2
	s_delay_alu instid0(VALU_DEP_1) | instskip(SKIP_3) | instid1(VALU_DEP_3)
	v_add_co_ci_u32_e64 v20, s0, 0, v14, s0
	v_sub_co_u32 v22, s0, v12, s42
	v_sub_co_ci_u32_e32 v13, vcc_lo, v24, v13, vcc_lo
	v_subrev_co_ci_u32_e64 v15, s0, 0, v15, s0
	v_cmp_le_u32_e32 vcc_lo, s42, v22
	s_delay_alu instid0(VALU_DEP_3) | instskip(SKIP_1) | instid1(VALU_DEP_4)
	v_cmp_eq_u32_e64 s0, s43, v13
	v_cndmask_b32_e64 v22, 0, -1, vcc_lo
	v_cmp_le_u32_e32 vcc_lo, s43, v15
	v_cndmask_b32_e64 v23, 0, -1, vcc_lo
	v_cmp_le_u32_e32 vcc_lo, s42, v12
	v_cndmask_b32_e64 v12, 0, -1, vcc_lo
	v_cmp_le_u32_e32 vcc_lo, s43, v13
	v_cndmask_b32_e64 v24, 0, -1, vcc_lo
	v_cmp_eq_u32_e32 vcc_lo, s43, v15
	s_delay_alu instid0(VALU_DEP_2) | instskip(SKIP_3) | instid1(VALU_DEP_3)
	v_cndmask_b32_e64 v12, v24, v12, s0
	v_cndmask_b32_e32 v15, v23, v22, vcc_lo
	v_add_co_u32 v22, vcc_lo, v3, 1
	v_add_co_ci_u32_e32 v23, vcc_lo, 0, v14, vcc_lo
	v_cmp_ne_u32_e32 vcc_lo, 0, v15
	s_delay_alu instid0(VALU_DEP_2) | instskip(NEXT) | instid1(VALU_DEP_4)
	v_cndmask_b32_e32 v13, v23, v20, vcc_lo
	v_cndmask_b32_e32 v15, v22, v19, vcc_lo
	v_cmp_ne_u32_e32 vcc_lo, 0, v12
	v_xor_b32_e32 v19, s40, v21
	s_delay_alu instid0(VALU_DEP_3) | instskip(NEXT) | instid1(VALU_DEP_1)
	v_dual_cndmask_b32 v3, v3, v15 :: v_dual_cndmask_b32 v12, v14, v13
	v_xor_b32_e32 v3, v3, v19
	s_delay_alu instid0(VALU_DEP_2) | instskip(NEXT) | instid1(VALU_DEP_2)
	v_xor_b32_e32 v13, v12, v19
	v_sub_co_u32 v12, vcc_lo, v3, v19
	s_delay_alu instid0(VALU_DEP_2)
	v_sub_co_ci_u32_e32 v13, vcc_lo, v13, v19, vcc_lo
.LBB18_27:                              ;   in Loop: Header=BB18_25 Depth=2
	s_and_not1_saveexec_b32 s0, s27
	s_cbranch_execz .LBB18_24
; %bb.28:                               ;   in Loop: Header=BB18_25 Depth=2
	v_cvt_f32_u32_e32 v3, s38
	s_sub_i32 s27, 0, s38
	s_delay_alu instid0(VALU_DEP_1) | instskip(SKIP_2) | instid1(VALU_DEP_1)
	v_rcp_iflag_f32_e32 v3, v3
	s_waitcnt_depctr 0xfff
	v_mul_f32_e32 v3, 0x4f7ffffe, v3
	v_cvt_u32_f32_e32 v3, v3
	s_delay_alu instid0(VALU_DEP_1) | instskip(NEXT) | instid1(VALU_DEP_1)
	v_mul_lo_u32 v12, s27, v3
	v_mul_hi_u32 v12, v3, v12
	s_delay_alu instid0(VALU_DEP_1) | instskip(NEXT) | instid1(VALU_DEP_1)
	v_add_nc_u32_e32 v3, v3, v12
	v_mul_hi_u32 v3, v8, v3
	s_delay_alu instid0(VALU_DEP_1) | instskip(SKIP_1) | instid1(VALU_DEP_2)
	v_mul_lo_u32 v12, v3, s38
	v_add_nc_u32_e32 v13, 1, v3
	v_sub_nc_u32_e32 v12, v8, v12
	s_delay_alu instid0(VALU_DEP_1) | instskip(SKIP_1) | instid1(VALU_DEP_2)
	v_subrev_nc_u32_e32 v14, s38, v12
	v_cmp_le_u32_e32 vcc_lo, s38, v12
	v_dual_cndmask_b32 v12, v12, v14 :: v_dual_cndmask_b32 v3, v3, v13
	s_delay_alu instid0(VALU_DEP_1) | instskip(NEXT) | instid1(VALU_DEP_2)
	v_cmp_le_u32_e32 vcc_lo, s38, v12
	v_add_nc_u32_e32 v13, 1, v3
	s_delay_alu instid0(VALU_DEP_1)
	v_dual_cndmask_b32 v12, v3, v13 :: v_dual_mov_b32 v13, v2
	s_branch .LBB18_24
.LBB18_29:
	s_nop 0
	s_sendmsg sendmsg(MSG_DEALLOC_VGPRS)
	s_endpgm
	.section	.rodata,"a",@progbits
	.p2align	6, 0x0
	.amdhsa_kernel _ZN2at6native16triu_tril_kernelIslLb0ELi4ELb1EEEvNS_4cuda6detail10TensorInfoIT_T0_EENS4_IKS5_S6_EEllS6_
		.amdhsa_group_segment_fixed_size 0
		.amdhsa_private_segment_fixed_size 0
		.amdhsa_kernarg_size 1112
		.amdhsa_user_sgpr_count 15
		.amdhsa_user_sgpr_dispatch_ptr 0
		.amdhsa_user_sgpr_queue_ptr 0
		.amdhsa_user_sgpr_kernarg_segment_ptr 1
		.amdhsa_user_sgpr_dispatch_id 0
		.amdhsa_user_sgpr_private_segment_size 0
		.amdhsa_wavefront_size32 1
		.amdhsa_uses_dynamic_stack 0
		.amdhsa_enable_private_segment 0
		.amdhsa_system_sgpr_workgroup_id_x 1
		.amdhsa_system_sgpr_workgroup_id_y 0
		.amdhsa_system_sgpr_workgroup_id_z 0
		.amdhsa_system_sgpr_workgroup_info 0
		.amdhsa_system_vgpr_workitem_id 0
		.amdhsa_next_free_vgpr 26
		.amdhsa_next_free_sgpr 45
		.amdhsa_reserve_vcc 1
		.amdhsa_float_round_mode_32 0
		.amdhsa_float_round_mode_16_64 0
		.amdhsa_float_denorm_mode_32 3
		.amdhsa_float_denorm_mode_16_64 3
		.amdhsa_dx10_clamp 1
		.amdhsa_ieee_mode 1
		.amdhsa_fp16_overflow 0
		.amdhsa_workgroup_processor_mode 1
		.amdhsa_memory_ordered 1
		.amdhsa_forward_progress 0
		.amdhsa_shared_vgpr_count 0
		.amdhsa_exception_fp_ieee_invalid_op 0
		.amdhsa_exception_fp_denorm_src 0
		.amdhsa_exception_fp_ieee_div_zero 0
		.amdhsa_exception_fp_ieee_overflow 0
		.amdhsa_exception_fp_ieee_underflow 0
		.amdhsa_exception_fp_ieee_inexact 0
		.amdhsa_exception_int_div_zero 0
	.end_amdhsa_kernel
	.section	.text._ZN2at6native16triu_tril_kernelIslLb0ELi4ELb1EEEvNS_4cuda6detail10TensorInfoIT_T0_EENS4_IKS5_S6_EEllS6_,"axG",@progbits,_ZN2at6native16triu_tril_kernelIslLb0ELi4ELb1EEEvNS_4cuda6detail10TensorInfoIT_T0_EENS4_IKS5_S6_EEllS6_,comdat
.Lfunc_end18:
	.size	_ZN2at6native16triu_tril_kernelIslLb0ELi4ELb1EEEvNS_4cuda6detail10TensorInfoIT_T0_EENS4_IKS5_S6_EEllS6_, .Lfunc_end18-_ZN2at6native16triu_tril_kernelIslLb0ELi4ELb1EEEvNS_4cuda6detail10TensorInfoIT_T0_EENS4_IKS5_S6_EEllS6_
                                        ; -- End function
	.section	.AMDGPU.csdata,"",@progbits
; Kernel info:
; codeLenInByte = 4100
; NumSgprs: 47
; NumVgprs: 26
; ScratchSize: 0
; MemoryBound: 0
; FloatMode: 240
; IeeeMode: 1
; LDSByteSize: 0 bytes/workgroup (compile time only)
; SGPRBlocks: 5
; VGPRBlocks: 3
; NumSGPRsForWavesPerEU: 47
; NumVGPRsForWavesPerEU: 26
; Occupancy: 16
; WaveLimiterHint : 0
; COMPUTE_PGM_RSRC2:SCRATCH_EN: 0
; COMPUTE_PGM_RSRC2:USER_SGPR: 15
; COMPUTE_PGM_RSRC2:TRAP_HANDLER: 0
; COMPUTE_PGM_RSRC2:TGID_X_EN: 1
; COMPUTE_PGM_RSRC2:TGID_Y_EN: 0
; COMPUTE_PGM_RSRC2:TGID_Z_EN: 0
; COMPUTE_PGM_RSRC2:TIDIG_COMP_CNT: 0
	.section	.text._ZN2at6native16triu_tril_kernelIslLb0ELi4ELb0EEEvNS_4cuda6detail10TensorInfoIT_T0_EENS4_IKS5_S6_EEllS6_,"axG",@progbits,_ZN2at6native16triu_tril_kernelIslLb0ELi4ELb0EEEvNS_4cuda6detail10TensorInfoIT_T0_EENS4_IKS5_S6_EEllS6_,comdat
	.protected	_ZN2at6native16triu_tril_kernelIslLb0ELi4ELb0EEEvNS_4cuda6detail10TensorInfoIT_T0_EENS4_IKS5_S6_EEllS6_ ; -- Begin function _ZN2at6native16triu_tril_kernelIslLb0ELi4ELb0EEEvNS_4cuda6detail10TensorInfoIT_T0_EENS4_IKS5_S6_EEllS6_
	.globl	_ZN2at6native16triu_tril_kernelIslLb0ELi4ELb0EEEvNS_4cuda6detail10TensorInfoIT_T0_EENS4_IKS5_S6_EEllS6_
	.p2align	8
	.type	_ZN2at6native16triu_tril_kernelIslLb0ELi4ELb0EEEvNS_4cuda6detail10TensorInfoIT_T0_EENS4_IKS5_S6_EEllS6_,@function
_ZN2at6native16triu_tril_kernelIslLb0ELi4ELb0EEEvNS_4cuda6detail10TensorInfoIT_T0_EENS4_IKS5_S6_EEllS6_: ; @_ZN2at6native16triu_tril_kernelIslLb0ELi4ELb0EEEvNS_4cuda6detail10TensorInfoIT_T0_EENS4_IKS5_S6_EEllS6_
; %bb.0:
	s_clause 0x1
	s_load_b32 s2, s[0:1], 0x364
	s_load_b128 s[4:7], s[0:1], 0x340
	v_mov_b32_e32 v2, 0
	s_add_u32 s8, s0, 0x358
	s_addc_u32 s9, s1, 0
	s_delay_alu instid0(VALU_DEP_1) | instskip(SKIP_3) | instid1(VALU_DEP_1)
	v_mov_b32_e32 v1, v2
	s_waitcnt lgkmcnt(0)
	s_and_b32 s30, s2, 0xffff
	s_mov_b32 s2, exec_lo
	v_mad_u64_u32 v[3:4], null, s30, s15, v[0:1]
	s_delay_alu instid0(VALU_DEP_1) | instskip(NEXT) | instid1(VALU_DEP_1)
	v_lshlrev_b64 v[0:1], 2, v[3:4]
	v_cmpx_gt_i64_e64 s[6:7], v[0:1]
	s_cbranch_execz .LBB19_32
; %bb.1:
	s_clause 0x1
	s_load_b32 s28, s[0:1], 0x338
	s_load_b64 s[2:3], s[0:1], 0x350
	s_add_u32 s10, s0, 0x1a0
	s_addc_u32 s11, s1, 0
	s_load_b32 s31, s[8:9], 0x0
	s_load_b64 s[20:21], s[0:1], 0x1a0
	s_mov_b32 s24, s4
	s_mov_b32 s25, s5
	;; [unrolled: 1-line block ×4, first 2 shown]
	s_waitcnt lgkmcnt(0)
	s_ashr_i32 s29, s28, 31
	s_add_u32 s40, s0, 0x1a8
	s_addc_u32 s41, s1, 0
	s_lshl_b64 s[8:9], s[28:29], 3
	v_cvt_f32_u32_e32 v3, s2
	s_add_u32 s14, s8, -16
	s_addc_u32 s15, s9, -1
	s_add_u32 s12, s40, s14
	s_addc_u32 s13, s41, s15
	s_add_u32 s8, s10, s14
	s_addc_u32 s9, s11, s15
	s_add_u32 s34, s0, 0xd0
	s_load_b128 s[8:11], s[8:9], 0xd0
	s_addc_u32 s35, s1, 0
	s_add_u32 s16, s34, s14
	s_addc_u32 s17, s35, s15
	s_clause 0x2
	s_load_b128 s[12:15], s[12:13], 0x0
	s_load_b128 s[16:19], s[16:17], 0x0
	s_load_b64 s[22:23], s[0:1], 0x0
	v_rcp_iflag_f32_e32 v3, v3
	s_add_i32 s38, s28, -3
	s_mul_i32 s31, s31, s30
	s_ashr_i32 s39, s38, 31
	v_cmp_gt_i64_e64 s33, s[28:29], 2
	s_lshl_b64 s[36:37], s[38:39], 3
	s_lshl_b32 s52, s31, 2
	s_mov_b32 s1, 0
	s_waitcnt_depctr 0xfff
	v_mul_f32_e32 v3, 0x4f7ffffe, v3
	s_delay_alu instid0(VALU_DEP_1)
	v_cvt_u32_f32_e32 v18, v3
	s_waitcnt lgkmcnt(0)
	s_mul_i32 s0, s11, 6
	s_mul_hi_u32 s30, s10, 6
	s_mul_hi_u32 s42, s18, 6
	s_add_i32 s54, s30, s0
	s_mul_i32 s0, s19, 6
	s_lshl_b64 s[28:29], s[10:11], 2
	s_lshl_b64 s[30:31], s[18:19], 2
	s_add_i32 s56, s42, s0
	s_add_u32 s34, s34, s36
	s_addc_u32 s35, s35, s37
	s_add_u32 s36, s40, s36
	s_addc_u32 s37, s41, s37
	s_add_u32 s38, s38, 1
	s_mul_i32 s53, s10, 6
	s_mul_i32 s55, s18, 6
	s_addc_u32 s39, s39, 0
	s_branch .LBB19_3
.LBB19_2:                               ;   in Loop: Header=BB19_3 Depth=1
	s_or_b32 exec_lo, exec_lo, s0
	v_add_co_u32 v0, vcc_lo, v0, s52
	v_add_co_ci_u32_e32 v1, vcc_lo, 0, v1, vcc_lo
	s_delay_alu instid0(VALU_DEP_1) | instskip(SKIP_1) | instid1(SALU_CYCLE_1)
	v_cmp_le_i64_e32 vcc_lo, s[6:7], v[0:1]
	s_or_b32 s1, vcc_lo, s1
	s_and_not1_b32 exec_lo, exec_lo, s1
	s_cbranch_execz .LBB19_32
.LBB19_3:                               ; =>This Loop Header: Depth=1
                                        ;     Child Loop BB19_28 Depth 2
	v_or_b32_e32 v3, s3, v1
                                        ; implicit-def: $vgpr8_vgpr9
	s_mov_b32 s0, exec_lo
	s_delay_alu instid0(VALU_DEP_1)
	v_cmpx_ne_u64_e32 0, v[2:3]
	s_xor_b32 s44, exec_lo, s0
	s_cbranch_execz .LBB19_5
; %bb.4:                                ;   in Loop: Header=BB19_3 Depth=1
	s_ashr_i32 s40, s3, 31
	s_delay_alu instid0(SALU_CYCLE_1) | instskip(SKIP_2) | instid1(SALU_CYCLE_1)
	s_add_u32 s42, s2, s40
	s_mov_b32 s41, s40
	s_addc_u32 s43, s3, s40
	s_xor_b64 s[42:43], s[42:43], s[40:41]
	s_delay_alu instid0(SALU_CYCLE_1) | instskip(SKIP_3) | instid1(VALU_DEP_1)
	v_cvt_f32_u32_e32 v3, s42
	v_cvt_f32_u32_e32 v4, s43
	s_sub_u32 s0, 0, s42
	s_subb_u32 s41, 0, s43
	v_fmac_f32_e32 v3, 0x4f800000, v4
	s_delay_alu instid0(VALU_DEP_1) | instskip(SKIP_2) | instid1(VALU_DEP_1)
	v_rcp_f32_e32 v3, v3
	s_waitcnt_depctr 0xfff
	v_mul_f32_e32 v3, 0x5f7ffffc, v3
	v_mul_f32_e32 v4, 0x2f800000, v3
	s_delay_alu instid0(VALU_DEP_1) | instskip(NEXT) | instid1(VALU_DEP_1)
	v_trunc_f32_e32 v4, v4
	v_fmac_f32_e32 v3, 0xcf800000, v4
	v_cvt_u32_f32_e32 v4, v4
	s_delay_alu instid0(VALU_DEP_2) | instskip(NEXT) | instid1(VALU_DEP_2)
	v_cvt_u32_f32_e32 v3, v3
	v_mul_lo_u32 v5, s0, v4
	s_delay_alu instid0(VALU_DEP_2) | instskip(SKIP_1) | instid1(VALU_DEP_2)
	v_mul_hi_u32 v6, s0, v3
	v_mul_lo_u32 v7, s41, v3
	v_add_nc_u32_e32 v5, v6, v5
	v_mul_lo_u32 v6, s0, v3
	s_delay_alu instid0(VALU_DEP_2) | instskip(NEXT) | instid1(VALU_DEP_2)
	v_add_nc_u32_e32 v5, v5, v7
	v_mul_hi_u32 v7, v3, v6
	s_delay_alu instid0(VALU_DEP_2)
	v_mul_lo_u32 v8, v3, v5
	v_mul_hi_u32 v9, v3, v5
	v_mul_hi_u32 v10, v4, v6
	v_mul_lo_u32 v6, v4, v6
	v_mul_hi_u32 v11, v4, v5
	v_mul_lo_u32 v5, v4, v5
	v_add_co_u32 v7, vcc_lo, v7, v8
	v_add_co_ci_u32_e32 v8, vcc_lo, 0, v9, vcc_lo
	s_delay_alu instid0(VALU_DEP_2) | instskip(NEXT) | instid1(VALU_DEP_2)
	v_add_co_u32 v6, vcc_lo, v7, v6
	v_add_co_ci_u32_e32 v6, vcc_lo, v8, v10, vcc_lo
	v_add_co_ci_u32_e32 v7, vcc_lo, 0, v11, vcc_lo
	v_ashrrev_i32_e32 v10, 31, v1
	s_delay_alu instid0(VALU_DEP_3) | instskip(NEXT) | instid1(VALU_DEP_3)
	v_add_co_u32 v5, vcc_lo, v6, v5
	v_add_co_ci_u32_e32 v6, vcc_lo, 0, v7, vcc_lo
	s_delay_alu instid0(VALU_DEP_2) | instskip(NEXT) | instid1(VALU_DEP_2)
	v_add_co_u32 v3, vcc_lo, v3, v5
	v_add_co_ci_u32_e32 v4, vcc_lo, v4, v6, vcc_lo
	s_delay_alu instid0(VALU_DEP_2) | instskip(SKIP_1) | instid1(VALU_DEP_3)
	v_mul_hi_u32 v5, s0, v3
	v_mul_lo_u32 v7, s41, v3
	v_mul_lo_u32 v6, s0, v4
	s_delay_alu instid0(VALU_DEP_1) | instskip(SKIP_1) | instid1(VALU_DEP_2)
	v_add_nc_u32_e32 v5, v5, v6
	v_mul_lo_u32 v6, s0, v3
	v_add_nc_u32_e32 v5, v5, v7
	s_delay_alu instid0(VALU_DEP_2) | instskip(NEXT) | instid1(VALU_DEP_2)
	v_mul_hi_u32 v7, v3, v6
	v_mul_lo_u32 v8, v3, v5
	v_mul_hi_u32 v9, v3, v5
	v_mul_hi_u32 v11, v4, v6
	v_mul_lo_u32 v6, v4, v6
	v_mul_hi_u32 v12, v4, v5
	v_mul_lo_u32 v5, v4, v5
	v_add_co_u32 v7, vcc_lo, v7, v8
	v_add_co_ci_u32_e32 v8, vcc_lo, 0, v9, vcc_lo
	s_delay_alu instid0(VALU_DEP_2) | instskip(NEXT) | instid1(VALU_DEP_2)
	v_add_co_u32 v6, vcc_lo, v7, v6
	v_add_co_ci_u32_e32 v6, vcc_lo, v8, v11, vcc_lo
	v_add_co_ci_u32_e32 v7, vcc_lo, 0, v12, vcc_lo
	v_add_co_u32 v8, vcc_lo, v0, v10
	v_add_co_ci_u32_e32 v9, vcc_lo, v1, v10, vcc_lo
	s_delay_alu instid0(VALU_DEP_4) | instskip(NEXT) | instid1(VALU_DEP_4)
	v_add_co_u32 v5, vcc_lo, v6, v5
	v_add_co_ci_u32_e32 v6, vcc_lo, 0, v7, vcc_lo
	s_delay_alu instid0(VALU_DEP_4) | instskip(NEXT) | instid1(VALU_DEP_3)
	v_xor_b32_e32 v11, v8, v10
	v_add_co_u32 v7, vcc_lo, v3, v5
	s_delay_alu instid0(VALU_DEP_3) | instskip(SKIP_1) | instid1(VALU_DEP_3)
	v_add_co_ci_u32_e32 v12, vcc_lo, v4, v6, vcc_lo
	v_xor_b32_e32 v9, v9, v10
	v_mul_hi_u32 v13, v11, v7
	s_delay_alu instid0(VALU_DEP_3) | instskip(NEXT) | instid1(VALU_DEP_3)
	v_mad_u64_u32 v[3:4], null, v11, v12, 0
	v_mad_u64_u32 v[5:6], null, v9, v7, 0
	;; [unrolled: 1-line block ×3, first 2 shown]
	s_delay_alu instid0(VALU_DEP_3) | instskip(NEXT) | instid1(VALU_DEP_4)
	v_add_co_u32 v3, vcc_lo, v13, v3
	v_add_co_ci_u32_e32 v4, vcc_lo, 0, v4, vcc_lo
	s_delay_alu instid0(VALU_DEP_2) | instskip(NEXT) | instid1(VALU_DEP_2)
	v_add_co_u32 v3, vcc_lo, v3, v5
	v_add_co_ci_u32_e32 v3, vcc_lo, v4, v6, vcc_lo
	v_add_co_ci_u32_e32 v4, vcc_lo, 0, v8, vcc_lo
	s_delay_alu instid0(VALU_DEP_2) | instskip(NEXT) | instid1(VALU_DEP_2)
	v_add_co_u32 v5, vcc_lo, v3, v7
	v_add_co_ci_u32_e32 v6, vcc_lo, 0, v4, vcc_lo
	s_delay_alu instid0(VALU_DEP_2) | instskip(SKIP_1) | instid1(VALU_DEP_3)
	v_mul_lo_u32 v7, s43, v5
	v_mad_u64_u32 v[3:4], null, s42, v5, 0
	v_mul_lo_u32 v8, s42, v6
	s_delay_alu instid0(VALU_DEP_2) | instskip(NEXT) | instid1(VALU_DEP_2)
	v_sub_co_u32 v3, vcc_lo, v11, v3
	v_add3_u32 v4, v4, v8, v7
	s_delay_alu instid0(VALU_DEP_1) | instskip(NEXT) | instid1(VALU_DEP_1)
	v_sub_nc_u32_e32 v7, v9, v4
	v_subrev_co_ci_u32_e64 v7, s0, s43, v7, vcc_lo
	v_add_co_u32 v8, s0, v5, 2
	s_delay_alu instid0(VALU_DEP_1) | instskip(SKIP_3) | instid1(VALU_DEP_3)
	v_add_co_ci_u32_e64 v11, s0, 0, v6, s0
	v_sub_co_u32 v12, s0, v3, s42
	v_sub_co_ci_u32_e32 v4, vcc_lo, v9, v4, vcc_lo
	v_subrev_co_ci_u32_e64 v7, s0, 0, v7, s0
	v_cmp_le_u32_e32 vcc_lo, s42, v12
	s_delay_alu instid0(VALU_DEP_3) | instskip(SKIP_1) | instid1(VALU_DEP_4)
	v_cmp_eq_u32_e64 s0, s43, v4
	v_cndmask_b32_e64 v9, 0, -1, vcc_lo
	v_cmp_le_u32_e32 vcc_lo, s43, v7
	v_cndmask_b32_e64 v12, 0, -1, vcc_lo
	v_cmp_le_u32_e32 vcc_lo, s42, v3
	;; [unrolled: 2-line block ×3, first 2 shown]
	v_cndmask_b32_e64 v13, 0, -1, vcc_lo
	v_cmp_eq_u32_e32 vcc_lo, s43, v7
	s_delay_alu instid0(VALU_DEP_2) | instskip(SKIP_3) | instid1(VALU_DEP_3)
	v_cndmask_b32_e64 v3, v13, v3, s0
	v_cndmask_b32_e32 v7, v12, v9, vcc_lo
	v_add_co_u32 v9, vcc_lo, v5, 1
	v_add_co_ci_u32_e32 v12, vcc_lo, 0, v6, vcc_lo
	v_cmp_ne_u32_e32 vcc_lo, 0, v7
	s_delay_alu instid0(VALU_DEP_2) | instskip(SKIP_2) | instid1(VALU_DEP_3)
	v_dual_cndmask_b32 v4, v12, v11 :: v_dual_cndmask_b32 v7, v9, v8
	v_cmp_ne_u32_e32 vcc_lo, 0, v3
	v_xor_b32_e32 v3, s40, v10
	v_dual_cndmask_b32 v5, v5, v7 :: v_dual_cndmask_b32 v4, v6, v4
	s_delay_alu instid0(VALU_DEP_1) | instskip(NEXT) | instid1(VALU_DEP_2)
	v_xor_b32_e32 v5, v5, v3
	v_xor_b32_e32 v4, v4, v3
	s_delay_alu instid0(VALU_DEP_2) | instskip(NEXT) | instid1(VALU_DEP_2)
	v_sub_co_u32 v8, vcc_lo, v5, v3
	v_sub_co_ci_u32_e32 v9, vcc_lo, v4, v3, vcc_lo
.LBB19_5:                               ;   in Loop: Header=BB19_3 Depth=1
	s_and_not1_saveexec_b32 s0, s44
	s_cbranch_execz .LBB19_7
; %bb.6:                                ;   in Loop: Header=BB19_3 Depth=1
	s_sub_i32 s40, 0, s2
	v_mov_b32_e32 v9, v2
	v_mul_lo_u32 v3, s40, v18
	s_delay_alu instid0(VALU_DEP_1) | instskip(NEXT) | instid1(VALU_DEP_1)
	v_mul_hi_u32 v3, v18, v3
	v_add_nc_u32_e32 v3, v18, v3
	s_delay_alu instid0(VALU_DEP_1) | instskip(NEXT) | instid1(VALU_DEP_1)
	v_mul_hi_u32 v3, v0, v3
	v_mul_lo_u32 v4, v3, s2
	v_add_nc_u32_e32 v5, 1, v3
	s_delay_alu instid0(VALU_DEP_2) | instskip(NEXT) | instid1(VALU_DEP_1)
	v_sub_nc_u32_e32 v4, v0, v4
	v_subrev_nc_u32_e32 v6, s2, v4
	v_cmp_le_u32_e32 vcc_lo, s2, v4
	s_delay_alu instid0(VALU_DEP_2) | instskip(NEXT) | instid1(VALU_DEP_1)
	v_dual_cndmask_b32 v4, v4, v6 :: v_dual_cndmask_b32 v3, v3, v5
	v_cmp_le_u32_e32 vcc_lo, s2, v4
	s_delay_alu instid0(VALU_DEP_2) | instskip(NEXT) | instid1(VALU_DEP_1)
	v_add_nc_u32_e32 v5, 1, v3
	v_cndmask_b32_e32 v8, v3, v5, vcc_lo
.LBB19_7:                               ;   in Loop: Header=BB19_3 Depth=1
	s_or_b32 exec_lo, exec_lo, s0
	s_delay_alu instid0(VALU_DEP_1) | instskip(SKIP_1) | instid1(VALU_DEP_1)
	v_or_b32_e32 v3, s13, v9
                                        ; implicit-def: $vgpr6_vgpr7
	s_mov_b32 s0, exec_lo
	v_cmpx_ne_u64_e32 0, v[2:3]
	s_xor_b32 s44, exec_lo, s0
	s_cbranch_execz .LBB19_9
; %bb.8:                                ;   in Loop: Header=BB19_3 Depth=1
	s_ashr_i32 s40, s13, 31
	s_delay_alu instid0(SALU_CYCLE_1) | instskip(SKIP_2) | instid1(SALU_CYCLE_1)
	s_add_u32 s42, s12, s40
	s_mov_b32 s41, s40
	s_addc_u32 s43, s13, s40
	s_xor_b64 s[42:43], s[42:43], s[40:41]
	s_delay_alu instid0(SALU_CYCLE_1) | instskip(SKIP_3) | instid1(VALU_DEP_1)
	v_cvt_f32_u32_e32 v3, s42
	v_cvt_f32_u32_e32 v4, s43
	s_sub_u32 s0, 0, s42
	s_subb_u32 s41, 0, s43
	v_fmac_f32_e32 v3, 0x4f800000, v4
	s_delay_alu instid0(VALU_DEP_1) | instskip(SKIP_2) | instid1(VALU_DEP_1)
	v_rcp_f32_e32 v3, v3
	s_waitcnt_depctr 0xfff
	v_mul_f32_e32 v3, 0x5f7ffffc, v3
	v_mul_f32_e32 v4, 0x2f800000, v3
	s_delay_alu instid0(VALU_DEP_1) | instskip(NEXT) | instid1(VALU_DEP_1)
	v_trunc_f32_e32 v4, v4
	v_fmac_f32_e32 v3, 0xcf800000, v4
	v_cvt_u32_f32_e32 v4, v4
	s_delay_alu instid0(VALU_DEP_2) | instskip(NEXT) | instid1(VALU_DEP_2)
	v_cvt_u32_f32_e32 v3, v3
	v_mul_lo_u32 v5, s0, v4
	s_delay_alu instid0(VALU_DEP_2) | instskip(SKIP_1) | instid1(VALU_DEP_2)
	v_mul_hi_u32 v6, s0, v3
	v_mul_lo_u32 v7, s41, v3
	v_add_nc_u32_e32 v5, v6, v5
	v_mul_lo_u32 v6, s0, v3
	s_delay_alu instid0(VALU_DEP_2) | instskip(NEXT) | instid1(VALU_DEP_2)
	v_add_nc_u32_e32 v5, v5, v7
	v_mul_hi_u32 v7, v3, v6
	s_delay_alu instid0(VALU_DEP_2)
	v_mul_lo_u32 v10, v3, v5
	v_mul_hi_u32 v11, v3, v5
	v_mul_hi_u32 v12, v4, v6
	v_mul_lo_u32 v6, v4, v6
	v_mul_hi_u32 v13, v4, v5
	v_mul_lo_u32 v5, v4, v5
	v_add_co_u32 v7, vcc_lo, v7, v10
	v_add_co_ci_u32_e32 v10, vcc_lo, 0, v11, vcc_lo
	s_delay_alu instid0(VALU_DEP_2) | instskip(NEXT) | instid1(VALU_DEP_2)
	v_add_co_u32 v6, vcc_lo, v7, v6
	v_add_co_ci_u32_e32 v6, vcc_lo, v10, v12, vcc_lo
	v_add_co_ci_u32_e32 v7, vcc_lo, 0, v13, vcc_lo
	v_ashrrev_i32_e32 v12, 31, v9
	s_delay_alu instid0(VALU_DEP_3) | instskip(NEXT) | instid1(VALU_DEP_3)
	v_add_co_u32 v5, vcc_lo, v6, v5
	v_add_co_ci_u32_e32 v6, vcc_lo, 0, v7, vcc_lo
	s_delay_alu instid0(VALU_DEP_2) | instskip(NEXT) | instid1(VALU_DEP_2)
	v_add_co_u32 v3, vcc_lo, v3, v5
	v_add_co_ci_u32_e32 v4, vcc_lo, v4, v6, vcc_lo
	s_delay_alu instid0(VALU_DEP_2) | instskip(SKIP_1) | instid1(VALU_DEP_3)
	v_mul_hi_u32 v5, s0, v3
	v_mul_lo_u32 v7, s41, v3
	v_mul_lo_u32 v6, s0, v4
	s_delay_alu instid0(VALU_DEP_1) | instskip(SKIP_1) | instid1(VALU_DEP_2)
	v_add_nc_u32_e32 v5, v5, v6
	v_mul_lo_u32 v6, s0, v3
	v_add_nc_u32_e32 v5, v5, v7
	s_delay_alu instid0(VALU_DEP_2) | instskip(NEXT) | instid1(VALU_DEP_2)
	v_mul_hi_u32 v7, v3, v6
	v_mul_lo_u32 v10, v3, v5
	v_mul_hi_u32 v11, v3, v5
	v_mul_hi_u32 v13, v4, v6
	v_mul_lo_u32 v6, v4, v6
	v_mul_hi_u32 v14, v4, v5
	v_mul_lo_u32 v5, v4, v5
	v_add_co_u32 v7, vcc_lo, v7, v10
	v_add_co_ci_u32_e32 v10, vcc_lo, 0, v11, vcc_lo
	s_delay_alu instid0(VALU_DEP_2) | instskip(NEXT) | instid1(VALU_DEP_2)
	v_add_co_u32 v6, vcc_lo, v7, v6
	v_add_co_ci_u32_e32 v6, vcc_lo, v10, v13, vcc_lo
	v_add_co_ci_u32_e32 v7, vcc_lo, 0, v14, vcc_lo
	v_add_co_u32 v10, vcc_lo, v8, v12
	v_add_co_ci_u32_e32 v11, vcc_lo, v9, v12, vcc_lo
	s_delay_alu instid0(VALU_DEP_4) | instskip(NEXT) | instid1(VALU_DEP_4)
	v_add_co_u32 v5, vcc_lo, v6, v5
	v_add_co_ci_u32_e32 v6, vcc_lo, 0, v7, vcc_lo
	s_delay_alu instid0(VALU_DEP_4) | instskip(NEXT) | instid1(VALU_DEP_3)
	v_xor_b32_e32 v7, v10, v12
	v_add_co_u32 v10, vcc_lo, v3, v5
	s_delay_alu instid0(VALU_DEP_3) | instskip(SKIP_1) | instid1(VALU_DEP_3)
	v_add_co_ci_u32_e32 v13, vcc_lo, v4, v6, vcc_lo
	v_xor_b32_e32 v14, v11, v12
	v_mul_hi_u32 v15, v7, v10
	s_delay_alu instid0(VALU_DEP_3) | instskip(NEXT) | instid1(VALU_DEP_3)
	v_mad_u64_u32 v[3:4], null, v7, v13, 0
	v_mad_u64_u32 v[5:6], null, v14, v10, 0
	;; [unrolled: 1-line block ×3, first 2 shown]
	s_delay_alu instid0(VALU_DEP_3) | instskip(NEXT) | instid1(VALU_DEP_4)
	v_add_co_u32 v3, vcc_lo, v15, v3
	v_add_co_ci_u32_e32 v4, vcc_lo, 0, v4, vcc_lo
	s_delay_alu instid0(VALU_DEP_2) | instskip(NEXT) | instid1(VALU_DEP_2)
	v_add_co_u32 v3, vcc_lo, v3, v5
	v_add_co_ci_u32_e32 v3, vcc_lo, v4, v6, vcc_lo
	v_add_co_ci_u32_e32 v4, vcc_lo, 0, v11, vcc_lo
	s_delay_alu instid0(VALU_DEP_2) | instskip(NEXT) | instid1(VALU_DEP_2)
	v_add_co_u32 v5, vcc_lo, v3, v10
	v_add_co_ci_u32_e32 v6, vcc_lo, 0, v4, vcc_lo
	s_delay_alu instid0(VALU_DEP_2) | instskip(SKIP_1) | instid1(VALU_DEP_3)
	v_mul_lo_u32 v10, s43, v5
	v_mad_u64_u32 v[3:4], null, s42, v5, 0
	v_mul_lo_u32 v11, s42, v6
	s_delay_alu instid0(VALU_DEP_2) | instskip(NEXT) | instid1(VALU_DEP_2)
	v_sub_co_u32 v3, vcc_lo, v7, v3
	v_add3_u32 v4, v4, v11, v10
	s_delay_alu instid0(VALU_DEP_1) | instskip(NEXT) | instid1(VALU_DEP_1)
	v_sub_nc_u32_e32 v10, v14, v4
	v_subrev_co_ci_u32_e64 v7, s0, s43, v10, vcc_lo
	v_add_co_u32 v10, s0, v5, 2
	s_delay_alu instid0(VALU_DEP_1) | instskip(SKIP_3) | instid1(VALU_DEP_3)
	v_add_co_ci_u32_e64 v11, s0, 0, v6, s0
	v_sub_co_u32 v13, s0, v3, s42
	v_sub_co_ci_u32_e32 v4, vcc_lo, v14, v4, vcc_lo
	v_subrev_co_ci_u32_e64 v7, s0, 0, v7, s0
	v_cmp_le_u32_e32 vcc_lo, s42, v13
	s_delay_alu instid0(VALU_DEP_3) | instskip(SKIP_1) | instid1(VALU_DEP_4)
	v_cmp_eq_u32_e64 s0, s43, v4
	v_cndmask_b32_e64 v13, 0, -1, vcc_lo
	v_cmp_le_u32_e32 vcc_lo, s43, v7
	v_cndmask_b32_e64 v14, 0, -1, vcc_lo
	v_cmp_le_u32_e32 vcc_lo, s42, v3
	v_cndmask_b32_e64 v3, 0, -1, vcc_lo
	v_cmp_le_u32_e32 vcc_lo, s43, v4
	v_cndmask_b32_e64 v15, 0, -1, vcc_lo
	v_cmp_eq_u32_e32 vcc_lo, s43, v7
	s_delay_alu instid0(VALU_DEP_2) | instskip(SKIP_3) | instid1(VALU_DEP_3)
	v_cndmask_b32_e64 v3, v15, v3, s0
	v_cndmask_b32_e32 v7, v14, v13, vcc_lo
	v_add_co_u32 v13, vcc_lo, v5, 1
	v_add_co_ci_u32_e32 v14, vcc_lo, 0, v6, vcc_lo
	v_cmp_ne_u32_e32 vcc_lo, 0, v7
	s_delay_alu instid0(VALU_DEP_2) | instskip(SKIP_2) | instid1(VALU_DEP_3)
	v_dual_cndmask_b32 v4, v14, v11 :: v_dual_cndmask_b32 v7, v13, v10
	v_cmp_ne_u32_e32 vcc_lo, 0, v3
	v_xor_b32_e32 v3, s40, v12
	v_dual_cndmask_b32 v5, v5, v7 :: v_dual_cndmask_b32 v4, v6, v4
	s_delay_alu instid0(VALU_DEP_1) | instskip(NEXT) | instid1(VALU_DEP_2)
	v_xor_b32_e32 v5, v5, v3
	v_xor_b32_e32 v4, v4, v3
	s_delay_alu instid0(VALU_DEP_2) | instskip(NEXT) | instid1(VALU_DEP_2)
	v_sub_co_u32 v6, vcc_lo, v5, v3
	v_sub_co_ci_u32_e32 v7, vcc_lo, v4, v3, vcc_lo
.LBB19_9:                               ;   in Loop: Header=BB19_3 Depth=1
	s_and_not1_saveexec_b32 s0, s44
	s_cbranch_execz .LBB19_11
; %bb.10:                               ;   in Loop: Header=BB19_3 Depth=1
	v_cvt_f32_u32_e32 v3, s12
	s_sub_i32 s40, 0, s12
	v_mov_b32_e32 v7, v2
	s_delay_alu instid0(VALU_DEP_2) | instskip(SKIP_2) | instid1(VALU_DEP_1)
	v_rcp_iflag_f32_e32 v3, v3
	s_waitcnt_depctr 0xfff
	v_mul_f32_e32 v3, 0x4f7ffffe, v3
	v_cvt_u32_f32_e32 v3, v3
	s_delay_alu instid0(VALU_DEP_1) | instskip(NEXT) | instid1(VALU_DEP_1)
	v_mul_lo_u32 v4, s40, v3
	v_mul_hi_u32 v4, v3, v4
	s_delay_alu instid0(VALU_DEP_1) | instskip(NEXT) | instid1(VALU_DEP_1)
	v_add_nc_u32_e32 v3, v3, v4
	v_mul_hi_u32 v3, v8, v3
	s_delay_alu instid0(VALU_DEP_1) | instskip(SKIP_1) | instid1(VALU_DEP_2)
	v_mul_lo_u32 v4, v3, s12
	v_add_nc_u32_e32 v5, 1, v3
	v_sub_nc_u32_e32 v4, v8, v4
	s_delay_alu instid0(VALU_DEP_1) | instskip(SKIP_1) | instid1(VALU_DEP_2)
	v_subrev_nc_u32_e32 v6, s12, v4
	v_cmp_le_u32_e32 vcc_lo, s12, v4
	v_dual_cndmask_b32 v4, v4, v6 :: v_dual_cndmask_b32 v3, v3, v5
	s_delay_alu instid0(VALU_DEP_1) | instskip(NEXT) | instid1(VALU_DEP_2)
	v_cmp_le_u32_e32 vcc_lo, s12, v4
	v_add_nc_u32_e32 v5, 1, v3
	s_delay_alu instid0(VALU_DEP_1)
	v_cndmask_b32_e32 v6, v3, v5, vcc_lo
.LBB19_11:                              ;   in Loop: Header=BB19_3 Depth=1
	s_or_b32 exec_lo, exec_lo, s0
	v_mul_lo_u32 v5, v9, s2
	v_mul_lo_u32 v12, v8, s3
	v_mad_u64_u32 v[3:4], null, v8, s2, 0
	v_mul_lo_u32 v13, v7, s12
	v_mul_lo_u32 v14, v6, s13
	v_mad_u64_u32 v[10:11], null, v6, s12, 0
	s_mov_b64 s[40:41], s[38:39]
	s_mov_b64 s[42:43], s[36:37]
	s_delay_alu instid0(VALU_DEP_4) | instskip(SKIP_2) | instid1(VALU_DEP_3)
	v_add3_u32 v5, v4, v12, v5
	v_sub_co_u32 v4, vcc_lo, v0, v3
	s_mov_b64 s[44:45], s[34:35]
	v_add3_u32 v3, v11, v14, v13
	s_delay_alu instid0(VALU_DEP_3) | instskip(NEXT) | instid1(VALU_DEP_3)
	v_sub_co_ci_u32_e32 v5, vcc_lo, v1, v5, vcc_lo
	v_mul_lo_u32 v11, s11, v4
	v_mul_lo_u32 v12, s19, v4
	v_mad_u64_u32 v[14:15], null, s18, v4, 0
	s_delay_alu instid0(VALU_DEP_4)
	v_mul_lo_u32 v13, s10, v5
	v_mul_lo_u32 v16, s18, v5
	v_mad_u64_u32 v[21:22], null, s10, v4, 0
	v_sub_co_u32 v19, vcc_lo, v8, v10
	v_sub_co_ci_u32_e32 v20, vcc_lo, v9, v3, vcc_lo
	s_and_b32 vcc_lo, exec_lo, s33
	s_delay_alu instid0(VALU_DEP_4) | instskip(NEXT) | instid1(VALU_DEP_4)
	v_add3_u32 v15, v15, v16, v12
	v_add3_u32 v22, v22, v13, v11
	v_mul_lo_u32 v3, s9, v19
	v_mul_lo_u32 v8, s8, v20
	;; [unrolled: 1-line block ×3, first 2 shown]
	v_mad_u64_u32 v[12:13], null, s16, v19, v[14:15]
	v_mul_lo_u32 v10, s17, v19
	v_mad_u64_u32 v[16:17], null, s8, v19, v[21:22]
	s_delay_alu instid0(VALU_DEP_2) | instskip(NEXT) | instid1(VALU_DEP_2)
	v_add3_u32 v13, v10, v13, v9
	v_add3_u32 v17, v3, v17, v8
	v_mov_b32_e32 v8, v12
	s_delay_alu instid0(VALU_DEP_3) | instskip(NEXT) | instid1(VALU_DEP_3)
	v_dual_mov_b32 v10, v16 :: v_dual_mov_b32 v9, v13
	v_mov_b32_e32 v11, v17
	s_cbranch_vccnz .LBB19_28
.LBB19_12:                              ;   in Loop: Header=BB19_3 Depth=1
	v_sub_co_u32 v6, vcc_lo, v4, v19
	v_sub_co_ci_u32_e32 v7, vcc_lo, v5, v20, vcc_lo
	v_dual_mov_b32 v3, 0 :: v_dual_mov_b32 v8, 0
	s_mov_b32 s0, exec_lo
	s_delay_alu instid0(VALU_DEP_2)
	v_cmpx_ge_i64_e64 s[4:5], v[6:7]
	s_cbranch_execz .LBB19_22
; %bb.13:                               ;   in Loop: Header=BB19_3 Depth=1
	v_dual_mov_b32 v3, 0 :: v_dual_mov_b32 v10, 0
	s_mov_b32 s40, exec_lo
	v_cmpx_gt_i64_e64 s[14:15], v[4:5]
	s_cbranch_execz .LBB19_21
; %bb.14:                               ;   in Loop: Header=BB19_3 Depth=1
	v_lshlrev_b64 v[8:9], 1, v[16:17]
	v_mov_b32_e32 v3, v2
	s_delay_alu instid0(VALU_DEP_2) | instskip(NEXT) | instid1(VALU_DEP_3)
	v_add_co_u32 v8, vcc_lo, s20, v8
	v_add_co_ci_u32_e32 v9, vcc_lo, s21, v9, vcc_lo
	v_add_co_u32 v10, vcc_lo, v4, 1
	v_add_co_ci_u32_e32 v11, vcc_lo, 0, v5, vcc_lo
	s_delay_alu instid0(VALU_DEP_1) | instskip(SKIP_3) | instid1(SALU_CYCLE_1)
	v_cmp_gt_i64_e32 vcc_lo, s[14:15], v[10:11]
	v_mov_b32_e32 v10, 0
	global_load_d16_b16 v3, v[8:9], off
	s_and_saveexec_b32 s41, vcc_lo
	s_xor_b32 s41, exec_lo, s41
	s_cbranch_execz .LBB19_20
; %bb.15:                               ;   in Loop: Header=BB19_3 Depth=1
	s_lshl_b64 s[42:43], s[10:11], 1
	s_delay_alu instid0(SALU_CYCLE_1) | instskip(SKIP_4) | instid1(VALU_DEP_1)
	v_add_co_u32 v10, vcc_lo, v8, s42
	v_add_co_ci_u32_e32 v11, vcc_lo, s43, v9, vcc_lo
	global_load_d16_hi_b16 v3, v[10:11], off
	v_add_co_u32 v10, vcc_lo, v4, 2
	v_add_co_ci_u32_e32 v11, vcc_lo, 0, v5, vcc_lo
	v_cmp_gt_i64_e32 vcc_lo, s[14:15], v[10:11]
	v_mov_b32_e32 v10, 0
	s_and_saveexec_b32 s42, vcc_lo
	s_delay_alu instid0(SALU_CYCLE_1)
	s_xor_b32 s42, exec_lo, s42
	s_cbranch_execz .LBB19_19
; %bb.16:                               ;   in Loop: Header=BB19_3 Depth=1
	v_add_co_u32 v14, vcc_lo, v8, s28
	v_add_co_ci_u32_e32 v15, vcc_lo, s29, v9, vcc_lo
	v_mov_b32_e32 v10, v2
	s_mov_b32 s43, exec_lo
	global_load_d16_b16 v10, v[14:15], off
	v_add_co_u32 v14, vcc_lo, v4, 3
	v_add_co_ci_u32_e32 v15, vcc_lo, 0, v5, vcc_lo
	s_delay_alu instid0(VALU_DEP_1)
	v_cmpx_gt_i64_e64 s[14:15], v[14:15]
	s_xor_b32 s43, exec_lo, s43
	s_cbranch_execz .LBB19_18
; %bb.17:                               ;   in Loop: Header=BB19_3 Depth=1
	v_add_co_u32 v8, vcc_lo, v8, s53
	v_add_co_ci_u32_e32 v9, vcc_lo, s54, v9, vcc_lo
	global_load_d16_hi_b16 v10, v[8:9], off
.LBB19_18:                              ;   in Loop: Header=BB19_3 Depth=1
	s_or_b32 exec_lo, exec_lo, s43
.LBB19_19:                              ;   in Loop: Header=BB19_3 Depth=1
	s_delay_alu instid0(SALU_CYCLE_1)
	s_or_b32 exec_lo, exec_lo, s42
.LBB19_20:                              ;   in Loop: Header=BB19_3 Depth=1
	s_delay_alu instid0(SALU_CYCLE_1)
	s_or_b32 exec_lo, exec_lo, s41
.LBB19_21:                              ;   in Loop: Header=BB19_3 Depth=1
	s_delay_alu instid0(SALU_CYCLE_1)
	s_or_b32 exec_lo, exec_lo, s40
	v_add_co_u32 v8, vcc_lo, v6, 1
	v_add_co_ci_u32_e32 v9, vcc_lo, 0, v7, vcc_lo
	v_add_co_u32 v14, vcc_lo, v6, 2
	v_add_co_ci_u32_e32 v15, vcc_lo, 0, v7, vcc_lo
	;; [unrolled: 2-line block ×3, first 2 shown]
	s_delay_alu instid0(VALU_DEP_3)
	v_cmp_ge_i64_e32 vcc_lo, s[26:27], v[14:15]
	s_waitcnt vmcnt(0)
	v_lshrrev_b32_e32 v16, 16, v10
	v_lshrrev_b32_e32 v11, 16, v3
	v_cndmask_b32_e32 v10, 0, v10, vcc_lo
	v_cmp_ge_i64_e32 vcc_lo, s[24:25], v[8:9]
	s_delay_alu instid0(VALU_DEP_3) | instskip(SKIP_1) | instid1(VALU_DEP_2)
	v_cndmask_b32_e32 v8, 0, v11, vcc_lo
	v_cmp_ge_i64_e32 vcc_lo, s[4:5], v[6:7]
	v_perm_b32 v8, v8, v3, 0x5040100
	v_cndmask_b32_e32 v6, 0, v16, vcc_lo
	s_delay_alu instid0(VALU_DEP_1)
	v_perm_b32 v3, v6, v10, 0x5040100
.LBB19_22:                              ;   in Loop: Header=BB19_3 Depth=1
	s_or_b32 exec_lo, exec_lo, s0
	s_delay_alu instid0(SALU_CYCLE_1)
	s_mov_b32 s0, exec_lo
	v_cmpx_gt_i64_e64 s[14:15], v[4:5]
	s_cbranch_execz .LBB19_2
; %bb.23:                               ;   in Loop: Header=BB19_3 Depth=1
	v_lshlrev_b64 v[6:7], 1, v[12:13]
	v_add_co_u32 v9, vcc_lo, v4, 1
	v_add_co_ci_u32_e32 v10, vcc_lo, 0, v5, vcc_lo
	s_mov_b32 s40, exec_lo
	s_delay_alu instid0(VALU_DEP_3) | instskip(NEXT) | instid1(VALU_DEP_4)
	v_add_co_u32 v6, vcc_lo, s22, v6
	v_add_co_ci_u32_e32 v7, vcc_lo, s23, v7, vcc_lo
	global_store_b16 v[6:7], v8, off
	v_cmpx_gt_i64_e64 s[14:15], v[9:10]
	s_xor_b32 s40, exec_lo, s40
	s_cbranch_execz .LBB19_2
; %bb.24:                               ;   in Loop: Header=BB19_3 Depth=1
	v_add_co_u32 v9, vcc_lo, v4, 2
	s_lshl_b64 s[40:41], s[18:19], 1
	v_add_co_ci_u32_e32 v10, vcc_lo, 0, v5, vcc_lo
	v_add_co_u32 v11, vcc_lo, v6, s40
	v_add_co_ci_u32_e32 v12, vcc_lo, s41, v7, vcc_lo
	s_mov_b32 s40, exec_lo
	global_store_d16_hi_b16 v[11:12], v8, off
	v_cmpx_gt_i64_e64 s[14:15], v[9:10]
	s_xor_b32 s40, exec_lo, s40
	s_cbranch_execz .LBB19_2
; %bb.25:                               ;   in Loop: Header=BB19_3 Depth=1
	v_add_co_u32 v4, vcc_lo, v4, 3
	v_add_co_ci_u32_e32 v5, vcc_lo, 0, v5, vcc_lo
	v_add_co_u32 v8, vcc_lo, v6, s30
	v_add_co_ci_u32_e32 v9, vcc_lo, s31, v7, vcc_lo
	s_mov_b32 s40, exec_lo
	global_store_b16 v[8:9], v3, off
	v_cmpx_gt_i64_e64 s[14:15], v[4:5]
	s_xor_b32 s40, exec_lo, s40
	s_cbranch_execz .LBB19_2
; %bb.26:                               ;   in Loop: Header=BB19_3 Depth=1
	v_add_co_u32 v4, vcc_lo, v6, s55
	v_add_co_ci_u32_e32 v5, vcc_lo, s56, v7, vcc_lo
	global_store_d16_hi_b16 v[4:5], v3, off
	s_branch .LBB19_2
.LBB19_27:                              ;   in Loop: Header=BB19_28 Depth=2
	s_or_b32 exec_lo, exec_lo, s0
	s_delay_alu instid0(VALU_DEP_1) | instskip(NEXT) | instid1(VALU_DEP_2)
	v_mul_lo_u32 v3, v15, s46
	v_mul_lo_u32 v16, v14, s47
	s_load_b64 s[48:49], s[42:43], 0xc8
	v_mad_u64_u32 v[12:13], null, v14, s46, 0
	s_load_b64 s[46:47], s[44:45], 0x0
	s_add_u32 s44, s44, -8
	s_addc_u32 s45, s45, -1
	s_add_u32 s42, s42, -8
	s_addc_u32 s43, s43, -1
	s_add_u32 s40, s40, -1
	s_delay_alu instid0(VALU_DEP_1) | instskip(SKIP_2) | instid1(VALU_DEP_2)
	v_add3_u32 v3, v13, v16, v3
	v_sub_co_u32 v6, vcc_lo, v6, v12
	s_addc_u32 s41, s41, -1
	v_sub_co_ci_u32_e32 v3, vcc_lo, v7, v3, vcc_lo
	v_cmp_lt_i64_e64 s0, s[40:41], 1
	s_waitcnt lgkmcnt(0)
	s_delay_alu instid0(VALU_DEP_2)
	v_mul_lo_u32 v7, s48, v3
	v_mul_lo_u32 v21, s49, v6
	v_mad_u64_u32 v[16:17], null, s48, v6, v[10:11]
	v_mul_lo_u32 v3, s46, v3
	v_mul_lo_u32 v10, s47, v6
	v_mad_u64_u32 v[12:13], null, s46, v6, v[8:9]
	s_and_b32 vcc_lo, exec_lo, s0
	s_delay_alu instid0(VALU_DEP_4) | instskip(SKIP_1) | instid1(VALU_DEP_3)
	v_add3_u32 v17, v21, v17, v7
	v_dual_mov_b32 v6, v14 :: v_dual_mov_b32 v7, v15
	v_add3_u32 v13, v10, v13, v3
	s_delay_alu instid0(VALU_DEP_4) | instskip(NEXT) | instid1(VALU_DEP_4)
	v_mov_b32_e32 v8, v12
	v_dual_mov_b32 v10, v16 :: v_dual_mov_b32 v11, v17
	s_delay_alu instid0(VALU_DEP_3)
	v_mov_b32_e32 v9, v13
	s_cbranch_vccnz .LBB19_12
.LBB19_28:                              ;   Parent Loop BB19_3 Depth=1
                                        ; =>  This Inner Loop Header: Depth=2
	s_load_b64 s[46:47], s[42:43], 0x0
                                        ; implicit-def: $vgpr14_vgpr15
	s_mov_b32 s0, exec_lo
	s_waitcnt lgkmcnt(0)
	v_or_b32_e32 v3, s47, v7
	s_delay_alu instid0(VALU_DEP_1)
	v_cmpx_ne_u64_e32 0, v[2:3]
	s_xor_b32 s57, exec_lo, s0
	s_cbranch_execz .LBB19_30
; %bb.29:                               ;   in Loop: Header=BB19_28 Depth=2
	s_ashr_i32 s48, s47, 31
	s_delay_alu instid0(SALU_CYCLE_1) | instskip(SKIP_2) | instid1(SALU_CYCLE_1)
	s_add_u32 s50, s46, s48
	s_mov_b32 s49, s48
	s_addc_u32 s51, s47, s48
	s_xor_b64 s[50:51], s[50:51], s[48:49]
	s_delay_alu instid0(SALU_CYCLE_1) | instskip(SKIP_3) | instid1(VALU_DEP_1)
	v_cvt_f32_u32_e32 v3, s50
	v_cvt_f32_u32_e32 v12, s51
	s_sub_u32 s0, 0, s50
	s_subb_u32 s49, 0, s51
	v_fmac_f32_e32 v3, 0x4f800000, v12
	s_delay_alu instid0(VALU_DEP_1) | instskip(SKIP_2) | instid1(VALU_DEP_1)
	v_rcp_f32_e32 v3, v3
	s_waitcnt_depctr 0xfff
	v_mul_f32_e32 v3, 0x5f7ffffc, v3
	v_mul_f32_e32 v12, 0x2f800000, v3
	s_delay_alu instid0(VALU_DEP_1) | instskip(NEXT) | instid1(VALU_DEP_1)
	v_trunc_f32_e32 v12, v12
	v_fmac_f32_e32 v3, 0xcf800000, v12
	v_cvt_u32_f32_e32 v12, v12
	s_delay_alu instid0(VALU_DEP_2) | instskip(NEXT) | instid1(VALU_DEP_2)
	v_cvt_u32_f32_e32 v3, v3
	v_mul_lo_u32 v13, s0, v12
	s_delay_alu instid0(VALU_DEP_2) | instskip(SKIP_1) | instid1(VALU_DEP_2)
	v_mul_hi_u32 v14, s0, v3
	v_mul_lo_u32 v15, s49, v3
	v_add_nc_u32_e32 v13, v14, v13
	v_mul_lo_u32 v14, s0, v3
	s_delay_alu instid0(VALU_DEP_2) | instskip(NEXT) | instid1(VALU_DEP_2)
	v_add_nc_u32_e32 v13, v13, v15
	v_mul_hi_u32 v15, v3, v14
	s_delay_alu instid0(VALU_DEP_2)
	v_mul_lo_u32 v16, v3, v13
	v_mul_hi_u32 v17, v3, v13
	v_mul_hi_u32 v21, v12, v14
	v_mul_lo_u32 v14, v12, v14
	v_mul_hi_u32 v22, v12, v13
	v_mul_lo_u32 v13, v12, v13
	v_add_co_u32 v15, vcc_lo, v15, v16
	v_add_co_ci_u32_e32 v16, vcc_lo, 0, v17, vcc_lo
	s_delay_alu instid0(VALU_DEP_2) | instskip(NEXT) | instid1(VALU_DEP_2)
	v_add_co_u32 v14, vcc_lo, v15, v14
	v_add_co_ci_u32_e32 v14, vcc_lo, v16, v21, vcc_lo
	v_add_co_ci_u32_e32 v15, vcc_lo, 0, v22, vcc_lo
	v_ashrrev_i32_e32 v21, 31, v7
	s_delay_alu instid0(VALU_DEP_3) | instskip(NEXT) | instid1(VALU_DEP_3)
	v_add_co_u32 v13, vcc_lo, v14, v13
	v_add_co_ci_u32_e32 v14, vcc_lo, 0, v15, vcc_lo
	s_delay_alu instid0(VALU_DEP_2) | instskip(NEXT) | instid1(VALU_DEP_2)
	v_add_co_u32 v3, vcc_lo, v3, v13
	v_add_co_ci_u32_e32 v12, vcc_lo, v12, v14, vcc_lo
	s_delay_alu instid0(VALU_DEP_2) | instskip(SKIP_1) | instid1(VALU_DEP_3)
	v_mul_hi_u32 v13, s0, v3
	v_mul_lo_u32 v15, s49, v3
	v_mul_lo_u32 v14, s0, v12
	s_delay_alu instid0(VALU_DEP_1) | instskip(SKIP_1) | instid1(VALU_DEP_2)
	v_add_nc_u32_e32 v13, v13, v14
	v_mul_lo_u32 v14, s0, v3
	v_add_nc_u32_e32 v13, v13, v15
	s_delay_alu instid0(VALU_DEP_2) | instskip(NEXT) | instid1(VALU_DEP_2)
	v_mul_hi_u32 v15, v3, v14
	v_mul_lo_u32 v16, v3, v13
	v_mul_hi_u32 v17, v3, v13
	v_mul_hi_u32 v22, v12, v14
	v_mul_lo_u32 v14, v12, v14
	v_mul_hi_u32 v23, v12, v13
	v_mul_lo_u32 v13, v12, v13
	v_add_co_u32 v15, vcc_lo, v15, v16
	v_add_co_ci_u32_e32 v16, vcc_lo, 0, v17, vcc_lo
	s_delay_alu instid0(VALU_DEP_2) | instskip(NEXT) | instid1(VALU_DEP_2)
	v_add_co_u32 v14, vcc_lo, v15, v14
	v_add_co_ci_u32_e32 v14, vcc_lo, v16, v22, vcc_lo
	v_add_co_ci_u32_e32 v15, vcc_lo, 0, v23, vcc_lo
	v_add_co_u32 v16, vcc_lo, v6, v21
	v_add_co_ci_u32_e32 v17, vcc_lo, v7, v21, vcc_lo
	s_delay_alu instid0(VALU_DEP_4) | instskip(NEXT) | instid1(VALU_DEP_4)
	v_add_co_u32 v13, vcc_lo, v14, v13
	v_add_co_ci_u32_e32 v14, vcc_lo, 0, v15, vcc_lo
	s_delay_alu instid0(VALU_DEP_4) | instskip(NEXT) | instid1(VALU_DEP_3)
	v_xor_b32_e32 v22, v16, v21
	v_add_co_u32 v3, vcc_lo, v3, v13
	s_delay_alu instid0(VALU_DEP_3) | instskip(SKIP_1) | instid1(VALU_DEP_3)
	v_add_co_ci_u32_e32 v23, vcc_lo, v12, v14, vcc_lo
	v_xor_b32_e32 v24, v17, v21
	v_mul_hi_u32 v25, v22, v3
	s_delay_alu instid0(VALU_DEP_3) | instskip(NEXT) | instid1(VALU_DEP_3)
	v_mad_u64_u32 v[12:13], null, v22, v23, 0
	v_mad_u64_u32 v[14:15], null, v24, v3, 0
	;; [unrolled: 1-line block ×3, first 2 shown]
	s_delay_alu instid0(VALU_DEP_3) | instskip(NEXT) | instid1(VALU_DEP_4)
	v_add_co_u32 v3, vcc_lo, v25, v12
	v_add_co_ci_u32_e32 v12, vcc_lo, 0, v13, vcc_lo
	s_delay_alu instid0(VALU_DEP_2) | instskip(NEXT) | instid1(VALU_DEP_2)
	v_add_co_u32 v3, vcc_lo, v3, v14
	v_add_co_ci_u32_e32 v3, vcc_lo, v12, v15, vcc_lo
	v_add_co_ci_u32_e32 v12, vcc_lo, 0, v17, vcc_lo
	s_delay_alu instid0(VALU_DEP_2) | instskip(NEXT) | instid1(VALU_DEP_2)
	v_add_co_u32 v3, vcc_lo, v3, v16
	v_add_co_ci_u32_e32 v14, vcc_lo, 0, v12, vcc_lo
	s_delay_alu instid0(VALU_DEP_2) | instskip(SKIP_1) | instid1(VALU_DEP_3)
	v_mul_lo_u32 v15, s51, v3
	v_mad_u64_u32 v[12:13], null, s50, v3, 0
	v_mul_lo_u32 v16, s50, v14
	s_delay_alu instid0(VALU_DEP_2) | instskip(NEXT) | instid1(VALU_DEP_2)
	v_sub_co_u32 v12, vcc_lo, v22, v12
	v_add3_u32 v13, v13, v16, v15
	s_delay_alu instid0(VALU_DEP_1) | instskip(NEXT) | instid1(VALU_DEP_1)
	v_sub_nc_u32_e32 v15, v24, v13
	v_subrev_co_ci_u32_e64 v15, s0, s51, v15, vcc_lo
	v_add_co_u32 v16, s0, v3, 2
	s_delay_alu instid0(VALU_DEP_1) | instskip(SKIP_3) | instid1(VALU_DEP_3)
	v_add_co_ci_u32_e64 v17, s0, 0, v14, s0
	v_sub_co_u32 v22, s0, v12, s50
	v_sub_co_ci_u32_e32 v13, vcc_lo, v24, v13, vcc_lo
	v_subrev_co_ci_u32_e64 v15, s0, 0, v15, s0
	v_cmp_le_u32_e32 vcc_lo, s50, v22
	s_delay_alu instid0(VALU_DEP_3) | instskip(SKIP_1) | instid1(VALU_DEP_4)
	v_cmp_eq_u32_e64 s0, s51, v13
	v_cndmask_b32_e64 v22, 0, -1, vcc_lo
	v_cmp_le_u32_e32 vcc_lo, s51, v15
	v_cndmask_b32_e64 v23, 0, -1, vcc_lo
	v_cmp_le_u32_e32 vcc_lo, s50, v12
	;; [unrolled: 2-line block ×3, first 2 shown]
	v_cndmask_b32_e64 v24, 0, -1, vcc_lo
	v_cmp_eq_u32_e32 vcc_lo, s51, v15
	s_delay_alu instid0(VALU_DEP_2) | instskip(SKIP_3) | instid1(VALU_DEP_3)
	v_cndmask_b32_e64 v12, v24, v12, s0
	v_cndmask_b32_e32 v15, v23, v22, vcc_lo
	v_add_co_u32 v22, vcc_lo, v3, 1
	v_add_co_ci_u32_e32 v23, vcc_lo, 0, v14, vcc_lo
	v_cmp_ne_u32_e32 vcc_lo, 0, v15
	s_delay_alu instid0(VALU_DEP_2) | instskip(NEXT) | instid1(VALU_DEP_4)
	v_cndmask_b32_e32 v13, v23, v17, vcc_lo
	v_cndmask_b32_e32 v15, v22, v16, vcc_lo
	v_cmp_ne_u32_e32 vcc_lo, 0, v12
	v_xor_b32_e32 v12, s48, v21
	s_delay_alu instid0(VALU_DEP_3) | instskip(SKIP_1) | instid1(VALU_DEP_2)
	v_cndmask_b32_e32 v3, v3, v15, vcc_lo
	v_cndmask_b32_e32 v13, v14, v13, vcc_lo
	v_xor_b32_e32 v3, v3, v12
	s_delay_alu instid0(VALU_DEP_2) | instskip(NEXT) | instid1(VALU_DEP_2)
	v_xor_b32_e32 v13, v13, v12
	v_sub_co_u32 v14, vcc_lo, v3, v12
	s_delay_alu instid0(VALU_DEP_2)
	v_sub_co_ci_u32_e32 v15, vcc_lo, v13, v12, vcc_lo
.LBB19_30:                              ;   in Loop: Header=BB19_28 Depth=2
	s_and_not1_saveexec_b32 s0, s57
	s_cbranch_execz .LBB19_27
; %bb.31:                               ;   in Loop: Header=BB19_28 Depth=2
	v_cvt_f32_u32_e32 v3, s46
	s_sub_i32 s48, 0, s46
	v_mov_b32_e32 v15, v2
	s_delay_alu instid0(VALU_DEP_2) | instskip(SKIP_2) | instid1(VALU_DEP_1)
	v_rcp_iflag_f32_e32 v3, v3
	s_waitcnt_depctr 0xfff
	v_mul_f32_e32 v3, 0x4f7ffffe, v3
	v_cvt_u32_f32_e32 v3, v3
	s_delay_alu instid0(VALU_DEP_1) | instskip(NEXT) | instid1(VALU_DEP_1)
	v_mul_lo_u32 v12, s48, v3
	v_mul_hi_u32 v12, v3, v12
	s_delay_alu instid0(VALU_DEP_1) | instskip(NEXT) | instid1(VALU_DEP_1)
	v_add_nc_u32_e32 v3, v3, v12
	v_mul_hi_u32 v3, v6, v3
	s_delay_alu instid0(VALU_DEP_1) | instskip(SKIP_1) | instid1(VALU_DEP_2)
	v_mul_lo_u32 v12, v3, s46
	v_add_nc_u32_e32 v13, 1, v3
	v_sub_nc_u32_e32 v12, v6, v12
	s_delay_alu instid0(VALU_DEP_1) | instskip(SKIP_1) | instid1(VALU_DEP_2)
	v_subrev_nc_u32_e32 v14, s46, v12
	v_cmp_le_u32_e32 vcc_lo, s46, v12
	v_dual_cndmask_b32 v12, v12, v14 :: v_dual_cndmask_b32 v3, v3, v13
	s_delay_alu instid0(VALU_DEP_1) | instskip(NEXT) | instid1(VALU_DEP_2)
	v_cmp_le_u32_e32 vcc_lo, s46, v12
	v_add_nc_u32_e32 v13, 1, v3
	s_delay_alu instid0(VALU_DEP_1)
	v_cndmask_b32_e32 v14, v3, v13, vcc_lo
	s_branch .LBB19_27
.LBB19_32:
	s_nop 0
	s_sendmsg sendmsg(MSG_DEALLOC_VGPRS)
	s_endpgm
	.section	.rodata,"a",@progbits
	.p2align	6, 0x0
	.amdhsa_kernel _ZN2at6native16triu_tril_kernelIslLb0ELi4ELb0EEEvNS_4cuda6detail10TensorInfoIT_T0_EENS4_IKS5_S6_EEllS6_
		.amdhsa_group_segment_fixed_size 0
		.amdhsa_private_segment_fixed_size 0
		.amdhsa_kernarg_size 1112
		.amdhsa_user_sgpr_count 15
		.amdhsa_user_sgpr_dispatch_ptr 0
		.amdhsa_user_sgpr_queue_ptr 0
		.amdhsa_user_sgpr_kernarg_segment_ptr 1
		.amdhsa_user_sgpr_dispatch_id 0
		.amdhsa_user_sgpr_private_segment_size 0
		.amdhsa_wavefront_size32 1
		.amdhsa_uses_dynamic_stack 0
		.amdhsa_enable_private_segment 0
		.amdhsa_system_sgpr_workgroup_id_x 1
		.amdhsa_system_sgpr_workgroup_id_y 0
		.amdhsa_system_sgpr_workgroup_id_z 0
		.amdhsa_system_sgpr_workgroup_info 0
		.amdhsa_system_vgpr_workitem_id 0
		.amdhsa_next_free_vgpr 26
		.amdhsa_next_free_sgpr 58
		.amdhsa_reserve_vcc 1
		.amdhsa_float_round_mode_32 0
		.amdhsa_float_round_mode_16_64 0
		.amdhsa_float_denorm_mode_32 3
		.amdhsa_float_denorm_mode_16_64 3
		.amdhsa_dx10_clamp 1
		.amdhsa_ieee_mode 1
		.amdhsa_fp16_overflow 0
		.amdhsa_workgroup_processor_mode 1
		.amdhsa_memory_ordered 1
		.amdhsa_forward_progress 0
		.amdhsa_shared_vgpr_count 0
		.amdhsa_exception_fp_ieee_invalid_op 0
		.amdhsa_exception_fp_denorm_src 0
		.amdhsa_exception_fp_ieee_div_zero 0
		.amdhsa_exception_fp_ieee_overflow 0
		.amdhsa_exception_fp_ieee_underflow 0
		.amdhsa_exception_fp_ieee_inexact 0
		.amdhsa_exception_int_div_zero 0
	.end_amdhsa_kernel
	.section	.text._ZN2at6native16triu_tril_kernelIslLb0ELi4ELb0EEEvNS_4cuda6detail10TensorInfoIT_T0_EENS4_IKS5_S6_EEllS6_,"axG",@progbits,_ZN2at6native16triu_tril_kernelIslLb0ELi4ELb0EEEvNS_4cuda6detail10TensorInfoIT_T0_EENS4_IKS5_S6_EEllS6_,comdat
.Lfunc_end19:
	.size	_ZN2at6native16triu_tril_kernelIslLb0ELi4ELb0EEEvNS_4cuda6detail10TensorInfoIT_T0_EENS4_IKS5_S6_EEllS6_, .Lfunc_end19-_ZN2at6native16triu_tril_kernelIslLb0ELi4ELb0EEEvNS_4cuda6detail10TensorInfoIT_T0_EENS4_IKS5_S6_EEllS6_
                                        ; -- End function
	.section	.AMDGPU.csdata,"",@progbits
; Kernel info:
; codeLenInByte = 4532
; NumSgprs: 60
; NumVgprs: 26
; ScratchSize: 0
; MemoryBound: 0
; FloatMode: 240
; IeeeMode: 1
; LDSByteSize: 0 bytes/workgroup (compile time only)
; SGPRBlocks: 7
; VGPRBlocks: 3
; NumSGPRsForWavesPerEU: 60
; NumVGPRsForWavesPerEU: 26
; Occupancy: 16
; WaveLimiterHint : 0
; COMPUTE_PGM_RSRC2:SCRATCH_EN: 0
; COMPUTE_PGM_RSRC2:USER_SGPR: 15
; COMPUTE_PGM_RSRC2:TRAP_HANDLER: 0
; COMPUTE_PGM_RSRC2:TGID_X_EN: 1
; COMPUTE_PGM_RSRC2:TGID_Y_EN: 0
; COMPUTE_PGM_RSRC2:TGID_Z_EN: 0
; COMPUTE_PGM_RSRC2:TIDIG_COMP_CNT: 0
	.section	.text._ZN2at6native16triu_tril_kernelIdiLb0ELi2ELb1EEEvNS_4cuda6detail10TensorInfoIT_T0_EENS4_IKS5_S6_EEllS6_,"axG",@progbits,_ZN2at6native16triu_tril_kernelIdiLb0ELi2ELb1EEEvNS_4cuda6detail10TensorInfoIT_T0_EENS4_IKS5_S6_EEllS6_,comdat
	.protected	_ZN2at6native16triu_tril_kernelIdiLb0ELi2ELb1EEEvNS_4cuda6detail10TensorInfoIT_T0_EENS4_IKS5_S6_EEllS6_ ; -- Begin function _ZN2at6native16triu_tril_kernelIdiLb0ELi2ELb1EEEvNS_4cuda6detail10TensorInfoIT_T0_EENS4_IKS5_S6_EEllS6_
	.globl	_ZN2at6native16triu_tril_kernelIdiLb0ELi2ELb1EEEvNS_4cuda6detail10TensorInfoIT_T0_EENS4_IKS5_S6_EEllS6_
	.p2align	8
	.type	_ZN2at6native16triu_tril_kernelIdiLb0ELi2ELb1EEEvNS_4cuda6detail10TensorInfoIT_T0_EENS4_IKS5_S6_EEllS6_,@function
_ZN2at6native16triu_tril_kernelIdiLb0ELi2ELb1EEEvNS_4cuda6detail10TensorInfoIT_T0_EENS4_IKS5_S6_EEllS6_: ; @_ZN2at6native16triu_tril_kernelIdiLb0ELi2ELb1EEEvNS_4cuda6detail10TensorInfoIT_T0_EENS4_IKS5_S6_EEllS6_
; %bb.0:
	s_clause 0x1
	s_load_b32 s2, s[0:1], 0x1d4
	s_load_b128 s[4:7], s[0:1], 0x1b0
	v_mov_b32_e32 v2, 0
	s_add_u32 s8, s0, 0x1c8
	s_addc_u32 s9, s1, 0
	s_delay_alu instid0(VALU_DEP_1) | instskip(SKIP_3) | instid1(VALU_DEP_1)
	v_mov_b32_e32 v1, v2
	s_waitcnt lgkmcnt(0)
	s_and_b32 s14, s2, 0xffff
	s_mov_b32 s2, exec_lo
	v_mad_u64_u32 v[3:4], null, s14, s15, v[0:1]
	s_delay_alu instid0(VALU_DEP_1) | instskip(NEXT) | instid1(VALU_DEP_1)
	v_lshlrev_b64 v[0:1], 1, v[3:4]
	v_cmpx_gt_i64_e64 s[6:7], v[0:1]
	s_cbranch_execz .LBB20_64
; %bb.1:
	s_clause 0x2
	s_load_b32 s24, s[0:1], 0x1c0
	s_load_b32 s16, s[0:1], 0x1a8
	s_load_b64 s[2:3], s[0:1], 0x0
	s_load_b32 s19, s[8:9], 0x0
	s_mov_b32 s38, 0
	s_waitcnt lgkmcnt(0)
	s_ashr_i32 s25, s24, 31
	s_ashr_i32 s17, s16, 31
	s_add_u32 s26, s0, 0xe0
	s_addc_u32 s27, s1, 0
	s_lshl_b64 s[10:11], s[16:17], 2
	v_cvt_f32_u32_e32 v3, s24
	s_add_u32 s15, s10, -8
	s_addc_u32 s18, s11, -1
	s_add_u32 s12, s26, s15
	s_addc_u32 s13, s27, s18
	v_rcp_iflag_f32_e32 v3, v3
	s_load_b32 s28, s[12:13], 0x0
	s_mul_i32 s19, s19, s14
	v_cmp_gt_i64_e64 s37, s[16:17], 2
	s_waitcnt_depctr 0xfff
	v_mul_f32_e32 v3, 0x4f7ffffe, v3
	s_delay_alu instid0(VALU_DEP_1)
	v_cvt_u32_f32_e32 v3, v3
	s_waitcnt lgkmcnt(0)
	s_ashr_i32 s29, s28, 31
	s_add_u32 s12, s10, -4
	s_addc_u32 s13, s11, -1
	s_add_u32 s30, s0, 0x6c
	s_addc_u32 s1, s1, 0
	s_add_u32 s8, s30, s12
	s_addc_u32 s9, s1, s13
	;; [unrolled: 2-line block ×3, first 2 shown]
	s_add_i32 s31, s16, -3
	s_add_u32 s12, s26, s12
	s_addc_u32 s13, s27, s13
	s_add_i32 s0, s16, 6
	s_lshl_b32 s34, s19, 1
	s_and_b32 s33, s0, 7
	s_mov_b32 s15, 0
	s_cmp_lg_u32 s33, 0
	s_cselect_b32 s35, -1, 0
	s_cmp_gt_u32 s31, 6
	s_cselect_b32 s36, -1, 0
	s_sub_i32 s0, 0, s24
	s_delay_alu instid0(SALU_CYCLE_1) | instskip(NEXT) | instid1(VALU_DEP_1)
	v_mul_lo_u32 v4, s0, v3
	v_mul_hi_u32 v4, v3, v4
	s_delay_alu instid0(VALU_DEP_1)
	v_add_nc_u32_e32 v25, v3, v4
	s_branch .LBB20_3
.LBB20_2:                               ;   in Loop: Header=BB20_3 Depth=1
	s_or_b32 exec_lo, exec_lo, s39
	v_add_co_u32 v0, vcc_lo, v0, s34
	v_add_co_ci_u32_e32 v1, vcc_lo, 0, v1, vcc_lo
	s_delay_alu instid0(VALU_DEP_1) | instskip(SKIP_1) | instid1(SALU_CYCLE_1)
	v_cmp_le_i64_e32 vcc_lo, s[6:7], v[0:1]
	s_or_b32 s38, vcc_lo, s38
	s_and_not1_b32 exec_lo, exec_lo, s38
	s_cbranch_execz .LBB20_64
.LBB20_3:                               ; =>This Loop Header: Depth=1
                                        ;     Child Loop BB20_15 Depth 2
                                        ;     Child Loop BB20_24 Depth 2
	v_or_b32_e32 v3, s25, v1
                                        ; implicit-def: $vgpr4_vgpr5
	s_mov_b32 s0, exec_lo
	s_delay_alu instid0(VALU_DEP_1)
	v_cmpx_ne_u64_e32 0, v[2:3]
	s_xor_b32 s14, exec_lo, s0
	s_cbranch_execz .LBB20_5
; %bb.4:                                ;   in Loop: Header=BB20_3 Depth=1
	s_add_u32 s18, s24, s25
	s_mov_b32 s16, s25
	s_mov_b32 s17, s25
	s_addc_u32 s19, s25, s25
	s_delay_alu instid0(SALU_CYCLE_1) | instskip(NEXT) | instid1(SALU_CYCLE_1)
	s_xor_b64 s[18:19], s[18:19], s[16:17]
	v_cvt_f32_u32_e32 v3, s18
	v_cvt_f32_u32_e32 v4, s19
	s_sub_u32 s0, 0, s18
	s_subb_u32 s20, 0, s19
	s_delay_alu instid0(VALU_DEP_1) | instskip(NEXT) | instid1(VALU_DEP_1)
	v_fmac_f32_e32 v3, 0x4f800000, v4
	v_rcp_f32_e32 v3, v3
	s_waitcnt_depctr 0xfff
	v_mul_f32_e32 v3, 0x5f7ffffc, v3
	s_delay_alu instid0(VALU_DEP_1) | instskip(NEXT) | instid1(VALU_DEP_1)
	v_mul_f32_e32 v4, 0x2f800000, v3
	v_trunc_f32_e32 v4, v4
	s_delay_alu instid0(VALU_DEP_1) | instskip(SKIP_1) | instid1(VALU_DEP_2)
	v_fmac_f32_e32 v3, 0xcf800000, v4
	v_cvt_u32_f32_e32 v4, v4
	v_cvt_u32_f32_e32 v3, v3
	s_delay_alu instid0(VALU_DEP_2) | instskip(NEXT) | instid1(VALU_DEP_2)
	v_mul_lo_u32 v5, s0, v4
	v_mul_hi_u32 v6, s0, v3
	v_mul_lo_u32 v7, s20, v3
	s_delay_alu instid0(VALU_DEP_2) | instskip(SKIP_1) | instid1(VALU_DEP_2)
	v_add_nc_u32_e32 v5, v6, v5
	v_mul_lo_u32 v6, s0, v3
	v_add_nc_u32_e32 v5, v5, v7
	s_delay_alu instid0(VALU_DEP_2) | instskip(NEXT) | instid1(VALU_DEP_2)
	v_mul_hi_u32 v7, v3, v6
	v_mul_lo_u32 v8, v3, v5
	v_mul_hi_u32 v9, v3, v5
	v_mul_hi_u32 v10, v4, v6
	v_mul_lo_u32 v6, v4, v6
	v_mul_hi_u32 v11, v4, v5
	v_mul_lo_u32 v5, v4, v5
	v_add_co_u32 v7, vcc_lo, v7, v8
	v_add_co_ci_u32_e32 v8, vcc_lo, 0, v9, vcc_lo
	s_delay_alu instid0(VALU_DEP_2) | instskip(NEXT) | instid1(VALU_DEP_2)
	v_add_co_u32 v6, vcc_lo, v7, v6
	v_add_co_ci_u32_e32 v6, vcc_lo, v8, v10, vcc_lo
	v_add_co_ci_u32_e32 v7, vcc_lo, 0, v11, vcc_lo
	v_ashrrev_i32_e32 v10, 31, v1
	s_delay_alu instid0(VALU_DEP_3) | instskip(NEXT) | instid1(VALU_DEP_3)
	v_add_co_u32 v5, vcc_lo, v6, v5
	v_add_co_ci_u32_e32 v6, vcc_lo, 0, v7, vcc_lo
	s_delay_alu instid0(VALU_DEP_2) | instskip(NEXT) | instid1(VALU_DEP_2)
	v_add_co_u32 v3, vcc_lo, v3, v5
	v_add_co_ci_u32_e32 v4, vcc_lo, v4, v6, vcc_lo
	s_delay_alu instid0(VALU_DEP_2) | instskip(SKIP_1) | instid1(VALU_DEP_3)
	v_mul_hi_u32 v5, s0, v3
	v_mul_lo_u32 v7, s20, v3
	v_mul_lo_u32 v6, s0, v4
	s_delay_alu instid0(VALU_DEP_1) | instskip(SKIP_1) | instid1(VALU_DEP_2)
	v_add_nc_u32_e32 v5, v5, v6
	v_mul_lo_u32 v6, s0, v3
	v_add_nc_u32_e32 v5, v5, v7
	s_delay_alu instid0(VALU_DEP_2) | instskip(NEXT) | instid1(VALU_DEP_2)
	v_mul_hi_u32 v7, v3, v6
	v_mul_lo_u32 v8, v3, v5
	v_mul_hi_u32 v9, v3, v5
	v_mul_hi_u32 v11, v4, v6
	v_mul_lo_u32 v6, v4, v6
	v_mul_hi_u32 v12, v4, v5
	v_mul_lo_u32 v5, v4, v5
	v_add_co_u32 v7, vcc_lo, v7, v8
	v_add_co_ci_u32_e32 v8, vcc_lo, 0, v9, vcc_lo
	s_delay_alu instid0(VALU_DEP_2) | instskip(NEXT) | instid1(VALU_DEP_2)
	v_add_co_u32 v6, vcc_lo, v7, v6
	v_add_co_ci_u32_e32 v6, vcc_lo, v8, v11, vcc_lo
	v_add_co_ci_u32_e32 v7, vcc_lo, 0, v12, vcc_lo
	v_add_co_u32 v8, vcc_lo, v0, v10
	v_add_co_ci_u32_e32 v9, vcc_lo, v1, v10, vcc_lo
	s_delay_alu instid0(VALU_DEP_4) | instskip(NEXT) | instid1(VALU_DEP_4)
	v_add_co_u32 v5, vcc_lo, v6, v5
	v_add_co_ci_u32_e32 v6, vcc_lo, 0, v7, vcc_lo
	s_delay_alu instid0(VALU_DEP_4) | instskip(NEXT) | instid1(VALU_DEP_3)
	v_xor_b32_e32 v11, v8, v10
	v_add_co_u32 v7, vcc_lo, v3, v5
	s_delay_alu instid0(VALU_DEP_3) | instskip(SKIP_1) | instid1(VALU_DEP_3)
	v_add_co_ci_u32_e32 v12, vcc_lo, v4, v6, vcc_lo
	v_xor_b32_e32 v9, v9, v10
	v_mul_hi_u32 v13, v11, v7
	s_delay_alu instid0(VALU_DEP_3) | instskip(NEXT) | instid1(VALU_DEP_3)
	v_mad_u64_u32 v[3:4], null, v11, v12, 0
	v_mad_u64_u32 v[5:6], null, v9, v7, 0
	;; [unrolled: 1-line block ×3, first 2 shown]
	s_delay_alu instid0(VALU_DEP_3) | instskip(NEXT) | instid1(VALU_DEP_4)
	v_add_co_u32 v3, vcc_lo, v13, v3
	v_add_co_ci_u32_e32 v4, vcc_lo, 0, v4, vcc_lo
	s_delay_alu instid0(VALU_DEP_2) | instskip(NEXT) | instid1(VALU_DEP_2)
	v_add_co_u32 v3, vcc_lo, v3, v5
	v_add_co_ci_u32_e32 v3, vcc_lo, v4, v6, vcc_lo
	v_add_co_ci_u32_e32 v4, vcc_lo, 0, v8, vcc_lo
	s_delay_alu instid0(VALU_DEP_2) | instskip(NEXT) | instid1(VALU_DEP_2)
	v_add_co_u32 v5, vcc_lo, v3, v7
	v_add_co_ci_u32_e32 v6, vcc_lo, 0, v4, vcc_lo
	s_delay_alu instid0(VALU_DEP_2) | instskip(SKIP_1) | instid1(VALU_DEP_3)
	v_mul_lo_u32 v7, s19, v5
	v_mad_u64_u32 v[3:4], null, s18, v5, 0
	v_mul_lo_u32 v8, s18, v6
	s_delay_alu instid0(VALU_DEP_2) | instskip(NEXT) | instid1(VALU_DEP_2)
	v_sub_co_u32 v3, vcc_lo, v11, v3
	v_add3_u32 v4, v4, v8, v7
	s_delay_alu instid0(VALU_DEP_1) | instskip(NEXT) | instid1(VALU_DEP_1)
	v_sub_nc_u32_e32 v7, v9, v4
	v_subrev_co_ci_u32_e64 v7, s0, s19, v7, vcc_lo
	v_add_co_u32 v8, s0, v5, 2
	s_delay_alu instid0(VALU_DEP_1) | instskip(SKIP_3) | instid1(VALU_DEP_3)
	v_add_co_ci_u32_e64 v11, s0, 0, v6, s0
	v_sub_co_u32 v12, s0, v3, s18
	v_sub_co_ci_u32_e32 v4, vcc_lo, v9, v4, vcc_lo
	v_subrev_co_ci_u32_e64 v7, s0, 0, v7, s0
	v_cmp_le_u32_e32 vcc_lo, s18, v12
	s_delay_alu instid0(VALU_DEP_3) | instskip(SKIP_1) | instid1(VALU_DEP_4)
	v_cmp_eq_u32_e64 s0, s19, v4
	v_cndmask_b32_e64 v9, 0, -1, vcc_lo
	v_cmp_le_u32_e32 vcc_lo, s19, v7
	v_cndmask_b32_e64 v12, 0, -1, vcc_lo
	v_cmp_le_u32_e32 vcc_lo, s18, v3
	v_cndmask_b32_e64 v3, 0, -1, vcc_lo
	v_cmp_le_u32_e32 vcc_lo, s19, v4
	v_cndmask_b32_e64 v13, 0, -1, vcc_lo
	v_cmp_eq_u32_e32 vcc_lo, s19, v7
	s_delay_alu instid0(VALU_DEP_2) | instskip(SKIP_3) | instid1(VALU_DEP_3)
	v_cndmask_b32_e64 v3, v13, v3, s0
	v_cndmask_b32_e32 v7, v12, v9, vcc_lo
	v_add_co_u32 v9, vcc_lo, v5, 1
	v_add_co_ci_u32_e32 v12, vcc_lo, 0, v6, vcc_lo
	v_cmp_ne_u32_e32 vcc_lo, 0, v7
	s_delay_alu instid0(VALU_DEP_2) | instskip(SKIP_2) | instid1(VALU_DEP_3)
	v_dual_cndmask_b32 v4, v12, v11 :: v_dual_cndmask_b32 v7, v9, v8
	v_cmp_ne_u32_e32 vcc_lo, 0, v3
	v_xor_b32_e32 v3, s16, v10
	v_dual_cndmask_b32 v5, v5, v7 :: v_dual_cndmask_b32 v4, v6, v4
	v_xor_b32_e32 v6, s17, v10
	s_delay_alu instid0(VALU_DEP_2) | instskip(NEXT) | instid1(VALU_DEP_2)
	v_xor_b32_e32 v5, v5, v3
	v_xor_b32_e32 v7, v4, v6
	s_delay_alu instid0(VALU_DEP_2) | instskip(NEXT) | instid1(VALU_DEP_2)
	v_sub_co_u32 v4, vcc_lo, v5, v3
	v_sub_co_ci_u32_e32 v5, vcc_lo, v7, v6, vcc_lo
.LBB20_5:                               ;   in Loop: Header=BB20_3 Depth=1
	s_and_not1_saveexec_b32 s0, s14
; %bb.6:                                ;   in Loop: Header=BB20_3 Depth=1
	v_mul_hi_u32 v3, v0, v25
	s_delay_alu instid0(VALU_DEP_1) | instskip(NEXT) | instid1(VALU_DEP_1)
	v_mul_lo_u32 v4, v3, s24
	v_sub_nc_u32_e32 v4, v0, v4
	s_delay_alu instid0(VALU_DEP_1) | instskip(SKIP_1) | instid1(VALU_DEP_2)
	v_subrev_nc_u32_e32 v6, s24, v4
	v_cmp_le_u32_e32 vcc_lo, s24, v4
	v_dual_cndmask_b32 v4, v4, v6 :: v_dual_add_nc_u32 v5, 1, v3
	s_delay_alu instid0(VALU_DEP_1) | instskip(NEXT) | instid1(VALU_DEP_2)
	v_cndmask_b32_e32 v3, v3, v5, vcc_lo
	v_cmp_le_u32_e32 vcc_lo, s24, v4
	s_delay_alu instid0(VALU_DEP_2) | instskip(NEXT) | instid1(VALU_DEP_1)
	v_add_nc_u32_e32 v5, 1, v3
	v_dual_cndmask_b32 v4, v3, v5 :: v_dual_mov_b32 v5, v2
; %bb.7:                                ;   in Loop: Header=BB20_3 Depth=1
	s_or_b32 exec_lo, exec_lo, s0
	s_delay_alu instid0(VALU_DEP_1) | instskip(SKIP_1) | instid1(VALU_DEP_1)
	v_or_b32_e32 v3, s29, v5
                                        ; implicit-def: $vgpr7_vgpr8
	s_mov_b32 s0, exec_lo
	v_cmpx_ne_u64_e32 0, v[2:3]
	s_xor_b32 s14, exec_lo, s0
	s_cbranch_execz .LBB20_9
; %bb.8:                                ;   in Loop: Header=BB20_3 Depth=1
	s_add_u32 s18, s28, s29
	s_mov_b32 s16, s29
	s_mov_b32 s17, s29
	s_addc_u32 s19, s29, s29
	s_delay_alu instid0(SALU_CYCLE_1) | instskip(NEXT) | instid1(SALU_CYCLE_1)
	s_xor_b64 s[18:19], s[18:19], s[16:17]
	v_cvt_f32_u32_e32 v3, s18
	v_cvt_f32_u32_e32 v6, s19
	s_sub_u32 s0, 0, s18
	s_subb_u32 s20, 0, s19
	s_delay_alu instid0(VALU_DEP_1) | instskip(NEXT) | instid1(VALU_DEP_1)
	v_fmac_f32_e32 v3, 0x4f800000, v6
	v_rcp_f32_e32 v3, v3
	s_waitcnt_depctr 0xfff
	v_mul_f32_e32 v3, 0x5f7ffffc, v3
	s_delay_alu instid0(VALU_DEP_1) | instskip(NEXT) | instid1(VALU_DEP_1)
	v_mul_f32_e32 v6, 0x2f800000, v3
	v_trunc_f32_e32 v6, v6
	s_delay_alu instid0(VALU_DEP_1) | instskip(SKIP_1) | instid1(VALU_DEP_2)
	v_fmac_f32_e32 v3, 0xcf800000, v6
	v_cvt_u32_f32_e32 v6, v6
	v_cvt_u32_f32_e32 v3, v3
	s_delay_alu instid0(VALU_DEP_2) | instskip(NEXT) | instid1(VALU_DEP_2)
	v_mul_lo_u32 v7, s0, v6
	v_mul_hi_u32 v8, s0, v3
	v_mul_lo_u32 v9, s20, v3
	s_delay_alu instid0(VALU_DEP_2) | instskip(SKIP_1) | instid1(VALU_DEP_2)
	v_add_nc_u32_e32 v7, v8, v7
	v_mul_lo_u32 v8, s0, v3
	v_add_nc_u32_e32 v7, v7, v9
	s_delay_alu instid0(VALU_DEP_2) | instskip(NEXT) | instid1(VALU_DEP_2)
	v_mul_hi_u32 v9, v3, v8
	v_mul_lo_u32 v10, v3, v7
	v_mul_hi_u32 v11, v3, v7
	v_mul_hi_u32 v12, v6, v8
	v_mul_lo_u32 v8, v6, v8
	v_mul_hi_u32 v13, v6, v7
	v_mul_lo_u32 v7, v6, v7
	v_add_co_u32 v9, vcc_lo, v9, v10
	v_add_co_ci_u32_e32 v10, vcc_lo, 0, v11, vcc_lo
	s_delay_alu instid0(VALU_DEP_2) | instskip(NEXT) | instid1(VALU_DEP_2)
	v_add_co_u32 v8, vcc_lo, v9, v8
	v_add_co_ci_u32_e32 v8, vcc_lo, v10, v12, vcc_lo
	v_add_co_ci_u32_e32 v9, vcc_lo, 0, v13, vcc_lo
	v_ashrrev_i32_e32 v12, 31, v5
	s_delay_alu instid0(VALU_DEP_3) | instskip(NEXT) | instid1(VALU_DEP_3)
	v_add_co_u32 v7, vcc_lo, v8, v7
	v_add_co_ci_u32_e32 v8, vcc_lo, 0, v9, vcc_lo
	s_delay_alu instid0(VALU_DEP_2) | instskip(NEXT) | instid1(VALU_DEP_2)
	v_add_co_u32 v3, vcc_lo, v3, v7
	v_add_co_ci_u32_e32 v6, vcc_lo, v6, v8, vcc_lo
	s_delay_alu instid0(VALU_DEP_2) | instskip(SKIP_1) | instid1(VALU_DEP_3)
	v_mul_hi_u32 v7, s0, v3
	v_mul_lo_u32 v9, s20, v3
	v_mul_lo_u32 v8, s0, v6
	s_delay_alu instid0(VALU_DEP_1) | instskip(SKIP_1) | instid1(VALU_DEP_2)
	v_add_nc_u32_e32 v7, v7, v8
	v_mul_lo_u32 v8, s0, v3
	v_add_nc_u32_e32 v7, v7, v9
	s_delay_alu instid0(VALU_DEP_2) | instskip(NEXT) | instid1(VALU_DEP_2)
	v_mul_hi_u32 v9, v3, v8
	v_mul_lo_u32 v10, v3, v7
	v_mul_hi_u32 v11, v3, v7
	v_mul_hi_u32 v13, v6, v8
	v_mul_lo_u32 v8, v6, v8
	v_mul_hi_u32 v14, v6, v7
	v_mul_lo_u32 v7, v6, v7
	v_add_co_u32 v9, vcc_lo, v9, v10
	v_add_co_ci_u32_e32 v10, vcc_lo, 0, v11, vcc_lo
	s_delay_alu instid0(VALU_DEP_2) | instskip(NEXT) | instid1(VALU_DEP_2)
	v_add_co_u32 v8, vcc_lo, v9, v8
	v_add_co_ci_u32_e32 v8, vcc_lo, v10, v13, vcc_lo
	v_add_co_ci_u32_e32 v9, vcc_lo, 0, v14, vcc_lo
	v_add_co_u32 v10, vcc_lo, v4, v12
	v_add_co_ci_u32_e32 v5, vcc_lo, v5, v12, vcc_lo
	s_delay_alu instid0(VALU_DEP_4) | instskip(NEXT) | instid1(VALU_DEP_4)
	v_add_co_u32 v7, vcc_lo, v8, v7
	v_add_co_ci_u32_e32 v8, vcc_lo, 0, v9, vcc_lo
	s_delay_alu instid0(VALU_DEP_4) | instskip(NEXT) | instid1(VALU_DEP_3)
	v_xor_b32_e32 v11, v10, v12
	v_add_co_u32 v3, vcc_lo, v3, v7
	s_delay_alu instid0(VALU_DEP_3) | instskip(SKIP_1) | instid1(VALU_DEP_3)
	v_add_co_ci_u32_e32 v13, vcc_lo, v6, v8, vcc_lo
	v_xor_b32_e32 v14, v5, v12
	v_mul_hi_u32 v15, v11, v3
	s_delay_alu instid0(VALU_DEP_3) | instskip(NEXT) | instid1(VALU_DEP_3)
	v_mad_u64_u32 v[5:6], null, v11, v13, 0
	v_mad_u64_u32 v[7:8], null, v14, v3, 0
	;; [unrolled: 1-line block ×3, first 2 shown]
	s_delay_alu instid0(VALU_DEP_3) | instskip(NEXT) | instid1(VALU_DEP_4)
	v_add_co_u32 v3, vcc_lo, v15, v5
	v_add_co_ci_u32_e32 v5, vcc_lo, 0, v6, vcc_lo
	s_delay_alu instid0(VALU_DEP_2) | instskip(NEXT) | instid1(VALU_DEP_2)
	v_add_co_u32 v3, vcc_lo, v3, v7
	v_add_co_ci_u32_e32 v3, vcc_lo, v5, v8, vcc_lo
	v_add_co_ci_u32_e32 v5, vcc_lo, 0, v10, vcc_lo
	s_delay_alu instid0(VALU_DEP_2) | instskip(NEXT) | instid1(VALU_DEP_2)
	v_add_co_u32 v3, vcc_lo, v3, v9
	v_add_co_ci_u32_e32 v7, vcc_lo, 0, v5, vcc_lo
	s_delay_alu instid0(VALU_DEP_2) | instskip(SKIP_1) | instid1(VALU_DEP_3)
	v_mul_lo_u32 v8, s19, v3
	v_mad_u64_u32 v[5:6], null, s18, v3, 0
	v_mul_lo_u32 v9, s18, v7
	s_delay_alu instid0(VALU_DEP_2) | instskip(NEXT) | instid1(VALU_DEP_2)
	v_sub_co_u32 v5, vcc_lo, v11, v5
	v_add3_u32 v6, v6, v9, v8
	s_delay_alu instid0(VALU_DEP_1) | instskip(NEXT) | instid1(VALU_DEP_1)
	v_sub_nc_u32_e32 v8, v14, v6
	v_subrev_co_ci_u32_e64 v8, s0, s19, v8, vcc_lo
	v_add_co_u32 v9, s0, v3, 2
	s_delay_alu instid0(VALU_DEP_1) | instskip(SKIP_3) | instid1(VALU_DEP_3)
	v_add_co_ci_u32_e64 v10, s0, 0, v7, s0
	v_sub_co_u32 v11, s0, v5, s18
	v_sub_co_ci_u32_e32 v6, vcc_lo, v14, v6, vcc_lo
	v_subrev_co_ci_u32_e64 v8, s0, 0, v8, s0
	v_cmp_le_u32_e32 vcc_lo, s18, v11
	s_delay_alu instid0(VALU_DEP_3) | instskip(SKIP_1) | instid1(VALU_DEP_4)
	v_cmp_eq_u32_e64 s0, s19, v6
	v_cndmask_b32_e64 v11, 0, -1, vcc_lo
	v_cmp_le_u32_e32 vcc_lo, s19, v8
	v_cndmask_b32_e64 v13, 0, -1, vcc_lo
	v_cmp_le_u32_e32 vcc_lo, s18, v5
	;; [unrolled: 2-line block ×3, first 2 shown]
	v_cndmask_b32_e64 v14, 0, -1, vcc_lo
	v_cmp_eq_u32_e32 vcc_lo, s19, v8
	s_delay_alu instid0(VALU_DEP_2) | instskip(SKIP_3) | instid1(VALU_DEP_3)
	v_cndmask_b32_e64 v5, v14, v5, s0
	v_cndmask_b32_e32 v8, v13, v11, vcc_lo
	v_add_co_u32 v11, vcc_lo, v3, 1
	v_add_co_ci_u32_e32 v13, vcc_lo, 0, v7, vcc_lo
	v_cmp_ne_u32_e32 vcc_lo, 0, v8
	s_delay_alu instid0(VALU_DEP_3) | instskip(NEXT) | instid1(VALU_DEP_3)
	v_cndmask_b32_e32 v8, v11, v9, vcc_lo
	v_cndmask_b32_e32 v6, v13, v10, vcc_lo
	v_cmp_ne_u32_e32 vcc_lo, 0, v5
	v_xor_b32_e32 v5, s16, v12
	s_delay_alu instid0(VALU_DEP_4) | instskip(NEXT) | instid1(VALU_DEP_4)
	v_cndmask_b32_e32 v3, v3, v8, vcc_lo
	v_cndmask_b32_e32 v6, v7, v6, vcc_lo
	v_xor_b32_e32 v8, s17, v12
	s_delay_alu instid0(VALU_DEP_3) | instskip(NEXT) | instid1(VALU_DEP_2)
	v_xor_b32_e32 v3, v3, v5
	v_xor_b32_e32 v6, v6, v8
	s_delay_alu instid0(VALU_DEP_2) | instskip(NEXT) | instid1(VALU_DEP_2)
	v_sub_co_u32 v7, vcc_lo, v3, v5
	v_sub_co_ci_u32_e32 v8, vcc_lo, v6, v8, vcc_lo
.LBB20_9:                               ;   in Loop: Header=BB20_3 Depth=1
	s_and_not1_saveexec_b32 s0, s14
	s_cbranch_execz .LBB20_11
; %bb.10:                               ;   in Loop: Header=BB20_3 Depth=1
	v_cvt_f32_u32_e32 v3, s28
	s_sub_i32 s14, 0, s28
	v_mov_b32_e32 v8, v2
	s_delay_alu instid0(VALU_DEP_2) | instskip(SKIP_2) | instid1(VALU_DEP_1)
	v_rcp_iflag_f32_e32 v3, v3
	s_waitcnt_depctr 0xfff
	v_mul_f32_e32 v3, 0x4f7ffffe, v3
	v_cvt_u32_f32_e32 v3, v3
	s_delay_alu instid0(VALU_DEP_1) | instskip(NEXT) | instid1(VALU_DEP_1)
	v_mul_lo_u32 v5, s14, v3
	v_mul_hi_u32 v5, v3, v5
	s_delay_alu instid0(VALU_DEP_1) | instskip(NEXT) | instid1(VALU_DEP_1)
	v_add_nc_u32_e32 v3, v3, v5
	v_mul_hi_u32 v3, v4, v3
	s_delay_alu instid0(VALU_DEP_1) | instskip(SKIP_1) | instid1(VALU_DEP_2)
	v_mul_lo_u32 v5, v3, s28
	v_add_nc_u32_e32 v6, 1, v3
	v_sub_nc_u32_e32 v5, v4, v5
	s_delay_alu instid0(VALU_DEP_1) | instskip(SKIP_1) | instid1(VALU_DEP_2)
	v_subrev_nc_u32_e32 v7, s28, v5
	v_cmp_le_u32_e32 vcc_lo, s28, v5
	v_cndmask_b32_e32 v5, v5, v7, vcc_lo
	v_cndmask_b32_e32 v3, v3, v6, vcc_lo
	s_delay_alu instid0(VALU_DEP_2) | instskip(NEXT) | instid1(VALU_DEP_2)
	v_cmp_le_u32_e32 vcc_lo, s28, v5
	v_add_nc_u32_e32 v6, 1, v3
	s_delay_alu instid0(VALU_DEP_1)
	v_cndmask_b32_e32 v7, v3, v6, vcc_lo
.LBB20_11:                              ;   in Loop: Header=BB20_3 Depth=1
	s_or_b32 exec_lo, exec_lo, s0
	v_mad_u64_u32 v[5:6], null, v4, s24, 0
	s_delay_alu instid0(VALU_DEP_2) | instskip(SKIP_1) | instid1(VALU_DEP_2)
	v_mad_u64_u32 v[9:10], null, v7, s28, 0
	s_mov_b32 s39, exec_lo
	v_sub_co_u32 v27, null, v0, v5
	s_delay_alu instid0(VALU_DEP_2) | instskip(NEXT) | instid1(VALU_DEP_1)
	v_sub_co_u32 v26, null, v4, v9
	v_sub_nc_u32_e32 v6, v27, v26
	s_delay_alu instid0(VALU_DEP_1) | instskip(NEXT) | instid1(VALU_DEP_1)
	v_add_nc_u32_e32 v3, 2, v6
	v_ashrrev_i32_e32 v4, 31, v3
	s_delay_alu instid0(VALU_DEP_1)
	v_cmpx_lt_i64_e64 s[4:5], v[3:4]
	s_cbranch_execz .LBB20_2
; %bb.12:                               ;   in Loop: Header=BB20_3 Depth=1
	s_clause 0x1
	s_load_b32 s40, s[8:9], 0x0
	s_load_b32 s0, s[10:11], 0x0
	s_and_not1_b32 vcc_lo, exec_lo, s37
	s_waitcnt lgkmcnt(0)
	v_mul_lo_u32 v3, s40, v27
	s_delay_alu instid0(VALU_DEP_1)
	v_mad_u64_u32 v[4:5], null, s0, v26, v[3:4]
	s_cbranch_vccnz .LBB20_58
; %bb.13:                               ;   in Loop: Header=BB20_3 Depth=1
	s_and_not1_b32 vcc_lo, exec_lo, s35
	s_cbranch_vccnz .LBB20_21
; %bb.14:                               ;   in Loop: Header=BB20_3 Depth=1
	v_dual_mov_b32 v10, v8 :: v_dual_mov_b32 v9, v7
	s_mov_b32 s22, s33
	s_mov_b32 s14, s31
.LBB20_15:                              ;   Parent Loop BB20_3 Depth=1
                                        ; =>  This Inner Loop Header: Depth=2
	s_delay_alu instid0(SALU_CYCLE_1) | instskip(NEXT) | instid1(SALU_CYCLE_1)
	s_lshl_b64 s[16:17], s[14:15], 2
                                        ; implicit-def: $vgpr7_vgpr8
	s_add_u32 s18, s26, s16
	s_addc_u32 s19, s27, s17
	s_load_b32 s23, s[18:19], 0x0
	s_mov_b32 s18, exec_lo
	s_waitcnt lgkmcnt(0)
	s_ashr_i32 s0, s23, 31
	s_delay_alu instid0(SALU_CYCLE_1) | instskip(NEXT) | instid1(VALU_DEP_1)
	v_or_b32_e32 v3, s0, v10
	v_cmpx_ne_u64_e32 0, v[2:3]
	s_xor_b32 s41, exec_lo, s18
	s_cbranch_execz .LBB20_17
; %bb.16:                               ;   in Loop: Header=BB20_15 Depth=2
	s_add_u32 s20, s23, s0
	s_mov_b32 s18, s0
	s_mov_b32 s19, s0
	s_addc_u32 s21, s0, s0
	s_delay_alu instid0(SALU_CYCLE_1) | instskip(NEXT) | instid1(SALU_CYCLE_1)
	s_xor_b64 s[20:21], s[20:21], s[18:19]
	v_cvt_f32_u32_e32 v3, s20
	v_cvt_f32_u32_e32 v5, s21
	s_sub_u32 s0, 0, s20
	s_subb_u32 s42, 0, s21
	s_delay_alu instid0(VALU_DEP_1) | instskip(NEXT) | instid1(VALU_DEP_1)
	v_fmac_f32_e32 v3, 0x4f800000, v5
	v_rcp_f32_e32 v3, v3
	s_waitcnt_depctr 0xfff
	v_mul_f32_e32 v3, 0x5f7ffffc, v3
	s_delay_alu instid0(VALU_DEP_1) | instskip(NEXT) | instid1(VALU_DEP_1)
	v_mul_f32_e32 v5, 0x2f800000, v3
	v_trunc_f32_e32 v5, v5
	s_delay_alu instid0(VALU_DEP_1) | instskip(SKIP_1) | instid1(VALU_DEP_2)
	v_fmac_f32_e32 v3, 0xcf800000, v5
	v_cvt_u32_f32_e32 v5, v5
	v_cvt_u32_f32_e32 v3, v3
	s_delay_alu instid0(VALU_DEP_2) | instskip(NEXT) | instid1(VALU_DEP_2)
	v_mul_lo_u32 v7, s0, v5
	v_mul_hi_u32 v8, s0, v3
	v_mul_lo_u32 v11, s42, v3
	s_delay_alu instid0(VALU_DEP_2) | instskip(SKIP_1) | instid1(VALU_DEP_2)
	v_add_nc_u32_e32 v7, v8, v7
	v_mul_lo_u32 v8, s0, v3
	v_add_nc_u32_e32 v7, v7, v11
	s_delay_alu instid0(VALU_DEP_2) | instskip(NEXT) | instid1(VALU_DEP_2)
	v_mul_hi_u32 v11, v3, v8
	v_mul_lo_u32 v12, v3, v7
	v_mul_hi_u32 v13, v3, v7
	v_mul_hi_u32 v14, v5, v8
	v_mul_lo_u32 v8, v5, v8
	v_mul_hi_u32 v15, v5, v7
	v_mul_lo_u32 v7, v5, v7
	v_add_co_u32 v11, vcc_lo, v11, v12
	v_add_co_ci_u32_e32 v12, vcc_lo, 0, v13, vcc_lo
	s_delay_alu instid0(VALU_DEP_2) | instskip(NEXT) | instid1(VALU_DEP_2)
	v_add_co_u32 v8, vcc_lo, v11, v8
	v_add_co_ci_u32_e32 v8, vcc_lo, v12, v14, vcc_lo
	v_add_co_ci_u32_e32 v11, vcc_lo, 0, v15, vcc_lo
	v_ashrrev_i32_e32 v14, 31, v10
	s_delay_alu instid0(VALU_DEP_3) | instskip(NEXT) | instid1(VALU_DEP_3)
	v_add_co_u32 v7, vcc_lo, v8, v7
	v_add_co_ci_u32_e32 v8, vcc_lo, 0, v11, vcc_lo
	s_delay_alu instid0(VALU_DEP_2) | instskip(NEXT) | instid1(VALU_DEP_2)
	v_add_co_u32 v3, vcc_lo, v3, v7
	v_add_co_ci_u32_e32 v5, vcc_lo, v5, v8, vcc_lo
	s_delay_alu instid0(VALU_DEP_2) | instskip(SKIP_1) | instid1(VALU_DEP_3)
	v_mul_hi_u32 v7, s0, v3
	v_mul_lo_u32 v11, s42, v3
	v_mul_lo_u32 v8, s0, v5
	s_delay_alu instid0(VALU_DEP_1) | instskip(SKIP_1) | instid1(VALU_DEP_2)
	v_add_nc_u32_e32 v7, v7, v8
	v_mul_lo_u32 v8, s0, v3
	v_add_nc_u32_e32 v7, v7, v11
	s_delay_alu instid0(VALU_DEP_2) | instskip(NEXT) | instid1(VALU_DEP_2)
	v_mul_hi_u32 v11, v3, v8
	v_mul_lo_u32 v12, v3, v7
	v_mul_hi_u32 v13, v3, v7
	v_mul_hi_u32 v15, v5, v8
	v_mul_lo_u32 v8, v5, v8
	v_mul_hi_u32 v16, v5, v7
	v_mul_lo_u32 v7, v5, v7
	v_add_co_u32 v11, vcc_lo, v11, v12
	v_add_co_ci_u32_e32 v12, vcc_lo, 0, v13, vcc_lo
	s_delay_alu instid0(VALU_DEP_2) | instskip(NEXT) | instid1(VALU_DEP_2)
	v_add_co_u32 v8, vcc_lo, v11, v8
	v_add_co_ci_u32_e32 v8, vcc_lo, v12, v15, vcc_lo
	v_add_co_ci_u32_e32 v11, vcc_lo, 0, v16, vcc_lo
	v_add_co_u32 v12, vcc_lo, v9, v14
	v_add_co_ci_u32_e32 v10, vcc_lo, v10, v14, vcc_lo
	s_delay_alu instid0(VALU_DEP_4) | instskip(NEXT) | instid1(VALU_DEP_4)
	v_add_co_u32 v7, vcc_lo, v8, v7
	v_add_co_ci_u32_e32 v8, vcc_lo, 0, v11, vcc_lo
	s_delay_alu instid0(VALU_DEP_4) | instskip(NEXT) | instid1(VALU_DEP_3)
	v_xor_b32_e32 v15, v12, v14
	v_add_co_u32 v3, vcc_lo, v3, v7
	s_delay_alu instid0(VALU_DEP_3) | instskip(SKIP_1) | instid1(VALU_DEP_3)
	v_add_co_ci_u32_e32 v5, vcc_lo, v5, v8, vcc_lo
	v_xor_b32_e32 v16, v10, v14
	v_mul_hi_u32 v17, v15, v3
	s_delay_alu instid0(VALU_DEP_3) | instskip(NEXT) | instid1(VALU_DEP_3)
	v_mad_u64_u32 v[7:8], null, v15, v5, 0
	v_mad_u64_u32 v[10:11], null, v16, v3, 0
	;; [unrolled: 1-line block ×3, first 2 shown]
	s_delay_alu instid0(VALU_DEP_3) | instskip(NEXT) | instid1(VALU_DEP_4)
	v_add_co_u32 v3, vcc_lo, v17, v7
	v_add_co_ci_u32_e32 v5, vcc_lo, 0, v8, vcc_lo
	s_delay_alu instid0(VALU_DEP_2) | instskip(NEXT) | instid1(VALU_DEP_2)
	v_add_co_u32 v3, vcc_lo, v3, v10
	v_add_co_ci_u32_e32 v3, vcc_lo, v5, v11, vcc_lo
	v_add_co_ci_u32_e32 v5, vcc_lo, 0, v13, vcc_lo
	s_delay_alu instid0(VALU_DEP_2) | instskip(NEXT) | instid1(VALU_DEP_2)
	v_add_co_u32 v3, vcc_lo, v3, v12
	v_add_co_ci_u32_e32 v5, vcc_lo, 0, v5, vcc_lo
	s_delay_alu instid0(VALU_DEP_2) | instskip(SKIP_1) | instid1(VALU_DEP_3)
	v_mul_lo_u32 v10, s21, v3
	v_mad_u64_u32 v[7:8], null, s20, v3, 0
	v_mul_lo_u32 v11, s20, v5
	s_delay_alu instid0(VALU_DEP_2) | instskip(NEXT) | instid1(VALU_DEP_2)
	v_sub_co_u32 v7, vcc_lo, v15, v7
	v_add3_u32 v8, v8, v11, v10
	s_delay_alu instid0(VALU_DEP_1) | instskip(NEXT) | instid1(VALU_DEP_1)
	v_sub_nc_u32_e32 v10, v16, v8
	v_subrev_co_ci_u32_e64 v10, s0, s21, v10, vcc_lo
	v_add_co_u32 v11, s0, v3, 2
	s_delay_alu instid0(VALU_DEP_1) | instskip(SKIP_3) | instid1(VALU_DEP_3)
	v_add_co_ci_u32_e64 v12, s0, 0, v5, s0
	v_sub_co_u32 v13, s0, v7, s20
	v_sub_co_ci_u32_e32 v8, vcc_lo, v16, v8, vcc_lo
	v_subrev_co_ci_u32_e64 v10, s0, 0, v10, s0
	v_cmp_le_u32_e32 vcc_lo, s20, v13
	s_delay_alu instid0(VALU_DEP_3) | instskip(SKIP_1) | instid1(VALU_DEP_4)
	v_cmp_eq_u32_e64 s0, s21, v8
	v_cndmask_b32_e64 v13, 0, -1, vcc_lo
	v_cmp_le_u32_e32 vcc_lo, s21, v10
	v_cndmask_b32_e64 v15, 0, -1, vcc_lo
	v_cmp_le_u32_e32 vcc_lo, s20, v7
	;; [unrolled: 2-line block ×3, first 2 shown]
	v_cndmask_b32_e64 v16, 0, -1, vcc_lo
	v_cmp_eq_u32_e32 vcc_lo, s21, v10
	s_delay_alu instid0(VALU_DEP_2) | instskip(SKIP_3) | instid1(VALU_DEP_3)
	v_cndmask_b32_e64 v7, v16, v7, s0
	v_cndmask_b32_e32 v10, v15, v13, vcc_lo
	v_add_co_u32 v13, vcc_lo, v3, 1
	v_add_co_ci_u32_e32 v15, vcc_lo, 0, v5, vcc_lo
	v_cmp_ne_u32_e32 vcc_lo, 0, v10
	s_delay_alu instid0(VALU_DEP_3) | instskip(NEXT) | instid1(VALU_DEP_3)
	v_cndmask_b32_e32 v10, v13, v11, vcc_lo
	v_cndmask_b32_e32 v8, v15, v12, vcc_lo
	v_cmp_ne_u32_e32 vcc_lo, 0, v7
	v_xor_b32_e32 v7, s18, v14
	s_delay_alu instid0(VALU_DEP_4) | instskip(NEXT) | instid1(VALU_DEP_4)
	v_cndmask_b32_e32 v3, v3, v10, vcc_lo
	v_cndmask_b32_e32 v5, v5, v8, vcc_lo
	v_xor_b32_e32 v8, s19, v14
	s_delay_alu instid0(VALU_DEP_3) | instskip(NEXT) | instid1(VALU_DEP_2)
	v_xor_b32_e32 v3, v3, v7
	v_xor_b32_e32 v5, v5, v8
	s_delay_alu instid0(VALU_DEP_2) | instskip(NEXT) | instid1(VALU_DEP_2)
	v_sub_co_u32 v7, vcc_lo, v3, v7
	v_sub_co_ci_u32_e32 v8, vcc_lo, v5, v8, vcc_lo
.LBB20_17:                              ;   in Loop: Header=BB20_15 Depth=2
	s_and_not1_saveexec_b32 s0, s41
	s_cbranch_execz .LBB20_19
; %bb.18:                               ;   in Loop: Header=BB20_15 Depth=2
	v_cvt_f32_u32_e32 v3, s23
	s_sub_i32 s18, 0, s23
	s_delay_alu instid0(VALU_DEP_1) | instskip(SKIP_2) | instid1(VALU_DEP_1)
	v_rcp_iflag_f32_e32 v3, v3
	s_waitcnt_depctr 0xfff
	v_mul_f32_e32 v3, 0x4f7ffffe, v3
	v_cvt_u32_f32_e32 v3, v3
	s_delay_alu instid0(VALU_DEP_1) | instskip(NEXT) | instid1(VALU_DEP_1)
	v_mul_lo_u32 v5, s18, v3
	v_mul_hi_u32 v5, v3, v5
	s_delay_alu instid0(VALU_DEP_1) | instskip(NEXT) | instid1(VALU_DEP_1)
	v_add_nc_u32_e32 v3, v3, v5
	v_mul_hi_u32 v3, v9, v3
	s_delay_alu instid0(VALU_DEP_1) | instskip(SKIP_1) | instid1(VALU_DEP_2)
	v_mul_lo_u32 v5, v3, s23
	v_add_nc_u32_e32 v7, 1, v3
	v_sub_nc_u32_e32 v5, v9, v5
	s_delay_alu instid0(VALU_DEP_1) | instskip(SKIP_1) | instid1(VALU_DEP_2)
	v_subrev_nc_u32_e32 v8, s23, v5
	v_cmp_le_u32_e32 vcc_lo, s23, v5
	v_dual_cndmask_b32 v5, v5, v8 :: v_dual_mov_b32 v8, v2
	v_cndmask_b32_e32 v3, v3, v7, vcc_lo
	s_delay_alu instid0(VALU_DEP_2) | instskip(NEXT) | instid1(VALU_DEP_2)
	v_cmp_le_u32_e32 vcc_lo, s23, v5
	v_add_nc_u32_e32 v7, 1, v3
	s_delay_alu instid0(VALU_DEP_1)
	v_cndmask_b32_e32 v7, v3, v7, vcc_lo
.LBB20_19:                              ;   in Loop: Header=BB20_15 Depth=2
	s_or_b32 exec_lo, exec_lo, s0
	s_add_u32 s16, s30, s16
	s_addc_u32 s17, s1, s17
	s_delay_alu instid0(VALU_DEP_1) | instskip(SKIP_4) | instid1(VALU_DEP_1)
	v_mul_lo_u32 v3, v7, s23
	s_load_b32 s0, s[16:17], 0x0
	s_add_i32 s22, s22, -1
	s_add_i32 s14, s14, -1
	s_cmp_lg_u32 s22, 0
	v_sub_nc_u32_e32 v3, v9, v3
	s_waitcnt lgkmcnt(0)
	s_delay_alu instid0(VALU_DEP_1) | instskip(NEXT) | instid1(VALU_DEP_1)
	v_mad_u64_u32 v[9:10], null, s0, v3, v[4:5]
	v_mov_b32_e32 v4, v9
	s_cbranch_scc0 .LBB20_22
; %bb.20:                               ;   in Loop: Header=BB20_15 Depth=2
	v_dual_mov_b32 v10, v8 :: v_dual_mov_b32 v9, v7
	s_branch .LBB20_15
.LBB20_21:                              ;   in Loop: Header=BB20_3 Depth=1
	s_mov_b32 s14, s31
.LBB20_22:                              ;   in Loop: Header=BB20_3 Depth=1
	s_and_not1_b32 vcc_lo, exec_lo, s36
	s_cbranch_vccnz .LBB20_58
; %bb.23:                               ;   in Loop: Header=BB20_3 Depth=1
	s_add_i32 s16, s14, -7
.LBB20_24:                              ;   Parent Loop BB20_3 Depth=1
                                        ; =>  This Inner Loop Header: Depth=2
	s_delay_alu instid0(SALU_CYCLE_1) | instskip(NEXT) | instid1(SALU_CYCLE_1)
	s_add_i32 s14, s16, 7
                                        ; implicit-def: $vgpr9_vgpr10
	s_lshl_b64 s[18:19], s[14:15], 2
	s_mov_b32 s14, exec_lo
	s_add_u32 s20, s26, s18
	s_addc_u32 s21, s27, s19
	s_load_b32 s41, s[20:21], 0x0
	s_waitcnt lgkmcnt(0)
	s_ashr_i32 s0, s41, 31
	s_delay_alu instid0(SALU_CYCLE_1) | instskip(NEXT) | instid1(VALU_DEP_1)
	v_or_b32_e32 v3, s0, v8
	v_cmpx_ne_u64_e32 0, v[2:3]
	s_xor_b32 s14, exec_lo, s14
	s_cbranch_execz .LBB20_26
; %bb.25:                               ;   in Loop: Header=BB20_24 Depth=2
	s_add_u32 s22, s41, s0
	s_mov_b32 s20, s0
	s_mov_b32 s21, s0
	s_addc_u32 s23, s0, s0
	s_delay_alu instid0(SALU_CYCLE_1) | instskip(NEXT) | instid1(SALU_CYCLE_1)
	s_xor_b64 s[22:23], s[22:23], s[20:21]
	v_cvt_f32_u32_e32 v3, s22
	v_cvt_f32_u32_e32 v5, s23
	s_sub_u32 s0, 0, s22
	s_subb_u32 s17, 0, s23
	s_delay_alu instid0(VALU_DEP_1) | instskip(NEXT) | instid1(VALU_DEP_1)
	v_fmac_f32_e32 v3, 0x4f800000, v5
	v_rcp_f32_e32 v3, v3
	s_waitcnt_depctr 0xfff
	v_mul_f32_e32 v3, 0x5f7ffffc, v3
	s_delay_alu instid0(VALU_DEP_1) | instskip(NEXT) | instid1(VALU_DEP_1)
	v_mul_f32_e32 v5, 0x2f800000, v3
	v_trunc_f32_e32 v5, v5
	s_delay_alu instid0(VALU_DEP_1) | instskip(SKIP_1) | instid1(VALU_DEP_2)
	v_fmac_f32_e32 v3, 0xcf800000, v5
	v_cvt_u32_f32_e32 v5, v5
	v_cvt_u32_f32_e32 v3, v3
	s_delay_alu instid0(VALU_DEP_2) | instskip(NEXT) | instid1(VALU_DEP_2)
	v_mul_lo_u32 v9, s0, v5
	v_mul_hi_u32 v10, s0, v3
	v_mul_lo_u32 v11, s17, v3
	s_delay_alu instid0(VALU_DEP_2) | instskip(SKIP_1) | instid1(VALU_DEP_2)
	v_add_nc_u32_e32 v9, v10, v9
	v_mul_lo_u32 v10, s0, v3
	v_add_nc_u32_e32 v9, v9, v11
	s_delay_alu instid0(VALU_DEP_2) | instskip(NEXT) | instid1(VALU_DEP_2)
	v_mul_hi_u32 v11, v3, v10
	v_mul_lo_u32 v12, v3, v9
	v_mul_hi_u32 v13, v3, v9
	v_mul_hi_u32 v14, v5, v10
	v_mul_lo_u32 v10, v5, v10
	v_mul_hi_u32 v15, v5, v9
	v_mul_lo_u32 v9, v5, v9
	v_add_co_u32 v11, vcc_lo, v11, v12
	v_add_co_ci_u32_e32 v12, vcc_lo, 0, v13, vcc_lo
	s_delay_alu instid0(VALU_DEP_2) | instskip(NEXT) | instid1(VALU_DEP_2)
	v_add_co_u32 v10, vcc_lo, v11, v10
	v_add_co_ci_u32_e32 v10, vcc_lo, v12, v14, vcc_lo
	v_add_co_ci_u32_e32 v11, vcc_lo, 0, v15, vcc_lo
	v_ashrrev_i32_e32 v14, 31, v8
	s_delay_alu instid0(VALU_DEP_3) | instskip(NEXT) | instid1(VALU_DEP_3)
	v_add_co_u32 v9, vcc_lo, v10, v9
	v_add_co_ci_u32_e32 v10, vcc_lo, 0, v11, vcc_lo
	s_delay_alu instid0(VALU_DEP_2) | instskip(NEXT) | instid1(VALU_DEP_2)
	v_add_co_u32 v3, vcc_lo, v3, v9
	v_add_co_ci_u32_e32 v5, vcc_lo, v5, v10, vcc_lo
	s_delay_alu instid0(VALU_DEP_2) | instskip(SKIP_1) | instid1(VALU_DEP_3)
	v_mul_hi_u32 v9, s0, v3
	v_mul_lo_u32 v11, s17, v3
	v_mul_lo_u32 v10, s0, v5
	s_delay_alu instid0(VALU_DEP_1) | instskip(SKIP_1) | instid1(VALU_DEP_2)
	v_add_nc_u32_e32 v9, v9, v10
	v_mul_lo_u32 v10, s0, v3
	v_add_nc_u32_e32 v9, v9, v11
	s_delay_alu instid0(VALU_DEP_2) | instskip(NEXT) | instid1(VALU_DEP_2)
	v_mul_hi_u32 v11, v3, v10
	v_mul_lo_u32 v12, v3, v9
	v_mul_hi_u32 v13, v3, v9
	v_mul_hi_u32 v15, v5, v10
	v_mul_lo_u32 v10, v5, v10
	v_mul_hi_u32 v16, v5, v9
	v_mul_lo_u32 v9, v5, v9
	v_add_co_u32 v11, vcc_lo, v11, v12
	v_add_co_ci_u32_e32 v12, vcc_lo, 0, v13, vcc_lo
	s_delay_alu instid0(VALU_DEP_2) | instskip(NEXT) | instid1(VALU_DEP_2)
	v_add_co_u32 v10, vcc_lo, v11, v10
	v_add_co_ci_u32_e32 v10, vcc_lo, v12, v15, vcc_lo
	v_add_co_ci_u32_e32 v11, vcc_lo, 0, v16, vcc_lo
	v_add_co_u32 v12, vcc_lo, v7, v14
	v_add_co_ci_u32_e32 v8, vcc_lo, v8, v14, vcc_lo
	s_delay_alu instid0(VALU_DEP_4) | instskip(NEXT) | instid1(VALU_DEP_4)
	v_add_co_u32 v9, vcc_lo, v10, v9
	v_add_co_ci_u32_e32 v10, vcc_lo, 0, v11, vcc_lo
	s_delay_alu instid0(VALU_DEP_4) | instskip(NEXT) | instid1(VALU_DEP_3)
	v_xor_b32_e32 v15, v12, v14
	v_add_co_u32 v3, vcc_lo, v3, v9
	s_delay_alu instid0(VALU_DEP_3) | instskip(SKIP_1) | instid1(VALU_DEP_3)
	v_add_co_ci_u32_e32 v5, vcc_lo, v5, v10, vcc_lo
	v_xor_b32_e32 v16, v8, v14
	v_mul_hi_u32 v17, v15, v3
	s_delay_alu instid0(VALU_DEP_3) | instskip(NEXT) | instid1(VALU_DEP_3)
	v_mad_u64_u32 v[8:9], null, v15, v5, 0
	v_mad_u64_u32 v[10:11], null, v16, v3, 0
	;; [unrolled: 1-line block ×3, first 2 shown]
	s_delay_alu instid0(VALU_DEP_3) | instskip(NEXT) | instid1(VALU_DEP_4)
	v_add_co_u32 v3, vcc_lo, v17, v8
	v_add_co_ci_u32_e32 v5, vcc_lo, 0, v9, vcc_lo
	s_delay_alu instid0(VALU_DEP_2) | instskip(NEXT) | instid1(VALU_DEP_2)
	v_add_co_u32 v3, vcc_lo, v3, v10
	v_add_co_ci_u32_e32 v3, vcc_lo, v5, v11, vcc_lo
	v_add_co_ci_u32_e32 v5, vcc_lo, 0, v13, vcc_lo
	s_delay_alu instid0(VALU_DEP_2) | instskip(NEXT) | instid1(VALU_DEP_2)
	v_add_co_u32 v3, vcc_lo, v3, v12
	v_add_co_ci_u32_e32 v5, vcc_lo, 0, v5, vcc_lo
	s_delay_alu instid0(VALU_DEP_2) | instskip(SKIP_1) | instid1(VALU_DEP_3)
	v_mul_lo_u32 v10, s23, v3
	v_mad_u64_u32 v[8:9], null, s22, v3, 0
	v_mul_lo_u32 v11, s22, v5
	s_delay_alu instid0(VALU_DEP_2) | instskip(NEXT) | instid1(VALU_DEP_2)
	v_sub_co_u32 v8, vcc_lo, v15, v8
	v_add3_u32 v9, v9, v11, v10
	s_delay_alu instid0(VALU_DEP_1) | instskip(NEXT) | instid1(VALU_DEP_1)
	v_sub_nc_u32_e32 v10, v16, v9
	v_subrev_co_ci_u32_e64 v10, s0, s23, v10, vcc_lo
	v_add_co_u32 v11, s0, v3, 2
	s_delay_alu instid0(VALU_DEP_1) | instskip(SKIP_3) | instid1(VALU_DEP_3)
	v_add_co_ci_u32_e64 v12, s0, 0, v5, s0
	v_sub_co_u32 v13, s0, v8, s22
	v_sub_co_ci_u32_e32 v9, vcc_lo, v16, v9, vcc_lo
	v_subrev_co_ci_u32_e64 v10, s0, 0, v10, s0
	v_cmp_le_u32_e32 vcc_lo, s22, v13
	s_delay_alu instid0(VALU_DEP_3) | instskip(SKIP_1) | instid1(VALU_DEP_4)
	v_cmp_eq_u32_e64 s0, s23, v9
	v_cndmask_b32_e64 v13, 0, -1, vcc_lo
	v_cmp_le_u32_e32 vcc_lo, s23, v10
	v_cndmask_b32_e64 v15, 0, -1, vcc_lo
	v_cmp_le_u32_e32 vcc_lo, s22, v8
	;; [unrolled: 2-line block ×3, first 2 shown]
	v_cndmask_b32_e64 v16, 0, -1, vcc_lo
	v_cmp_eq_u32_e32 vcc_lo, s23, v10
	s_delay_alu instid0(VALU_DEP_2) | instskip(SKIP_3) | instid1(VALU_DEP_3)
	v_cndmask_b32_e64 v8, v16, v8, s0
	v_cndmask_b32_e32 v10, v15, v13, vcc_lo
	v_add_co_u32 v13, vcc_lo, v3, 1
	v_add_co_ci_u32_e32 v15, vcc_lo, 0, v5, vcc_lo
	v_cmp_ne_u32_e32 vcc_lo, 0, v10
	s_delay_alu instid0(VALU_DEP_2) | instskip(SKIP_2) | instid1(VALU_DEP_3)
	v_dual_cndmask_b32 v9, v15, v12 :: v_dual_cndmask_b32 v10, v13, v11
	v_cmp_ne_u32_e32 vcc_lo, 0, v8
	v_xor_b32_e32 v8, s20, v14
	v_cndmask_b32_e32 v3, v3, v10, vcc_lo
	s_delay_alu instid0(VALU_DEP_4) | instskip(SKIP_1) | instid1(VALU_DEP_3)
	v_cndmask_b32_e32 v5, v5, v9, vcc_lo
	v_xor_b32_e32 v10, s21, v14
	v_xor_b32_e32 v3, v3, v8
	s_delay_alu instid0(VALU_DEP_2) | instskip(NEXT) | instid1(VALU_DEP_2)
	v_xor_b32_e32 v5, v5, v10
	v_sub_co_u32 v9, vcc_lo, v3, v8
	s_delay_alu instid0(VALU_DEP_2)
	v_sub_co_ci_u32_e32 v10, vcc_lo, v5, v10, vcc_lo
.LBB20_26:                              ;   in Loop: Header=BB20_24 Depth=2
	s_and_not1_saveexec_b32 s0, s14
	s_cbranch_execz .LBB20_28
; %bb.27:                               ;   in Loop: Header=BB20_24 Depth=2
	v_cvt_f32_u32_e32 v3, s41
	s_sub_i32 s14, 0, s41
	v_mov_b32_e32 v10, v2
	s_delay_alu instid0(VALU_DEP_2) | instskip(SKIP_2) | instid1(VALU_DEP_1)
	v_rcp_iflag_f32_e32 v3, v3
	s_waitcnt_depctr 0xfff
	v_mul_f32_e32 v3, 0x4f7ffffe, v3
	v_cvt_u32_f32_e32 v3, v3
	s_delay_alu instid0(VALU_DEP_1) | instskip(NEXT) | instid1(VALU_DEP_1)
	v_mul_lo_u32 v5, s14, v3
	v_mul_hi_u32 v5, v3, v5
	s_delay_alu instid0(VALU_DEP_1) | instskip(NEXT) | instid1(VALU_DEP_1)
	v_add_nc_u32_e32 v3, v3, v5
	v_mul_hi_u32 v3, v7, v3
	s_delay_alu instid0(VALU_DEP_1) | instskip(NEXT) | instid1(VALU_DEP_1)
	v_mul_lo_u32 v5, v3, s41
	v_sub_nc_u32_e32 v5, v7, v5
	s_delay_alu instid0(VALU_DEP_1) | instskip(SKIP_1) | instid1(VALU_DEP_2)
	v_subrev_nc_u32_e32 v9, s41, v5
	v_cmp_le_u32_e32 vcc_lo, s41, v5
	v_dual_cndmask_b32 v5, v5, v9 :: v_dual_add_nc_u32 v8, 1, v3
	s_delay_alu instid0(VALU_DEP_1) | instskip(NEXT) | instid1(VALU_DEP_2)
	v_cndmask_b32_e32 v3, v3, v8, vcc_lo
	v_cmp_le_u32_e32 vcc_lo, s41, v5
	s_delay_alu instid0(VALU_DEP_2) | instskip(NEXT) | instid1(VALU_DEP_1)
	v_add_nc_u32_e32 v8, 1, v3
	v_cndmask_b32_e32 v9, v3, v8, vcc_lo
.LBB20_28:                              ;   in Loop: Header=BB20_24 Depth=2
	s_or_b32 exec_lo, exec_lo, s0
	s_add_u32 s20, s30, s18
	s_addc_u32 s21, s1, s19
	s_add_i32 s14, s16, 6
                                        ; implicit-def: $vgpr11_vgpr12
	s_delay_alu instid0(SALU_CYCLE_1)
	s_lshl_b64 s[18:19], s[14:15], 2
	s_mov_b32 s14, exec_lo
	s_add_u32 s22, s26, s18
	s_addc_u32 s23, s27, s19
	s_clause 0x1
	s_load_b32 s43, s[22:23], 0x0
	s_load_b32 s42, s[20:21], 0x0
	s_waitcnt lgkmcnt(0)
	s_ashr_i32 s0, s43, 31
	s_delay_alu instid0(SALU_CYCLE_1) | instskip(NEXT) | instid1(VALU_DEP_1)
	v_or_b32_e32 v3, s0, v10
	v_cmpx_ne_u64_e32 0, v[2:3]
	s_xor_b32 s14, exec_lo, s14
	s_cbranch_execz .LBB20_30
; %bb.29:                               ;   in Loop: Header=BB20_24 Depth=2
	s_add_u32 s22, s43, s0
	s_mov_b32 s20, s0
	s_mov_b32 s21, s0
	s_addc_u32 s23, s0, s0
	s_delay_alu instid0(SALU_CYCLE_1) | instskip(NEXT) | instid1(SALU_CYCLE_1)
	s_xor_b64 s[22:23], s[22:23], s[20:21]
	v_cvt_f32_u32_e32 v3, s22
	v_cvt_f32_u32_e32 v5, s23
	s_sub_u32 s0, 0, s22
	s_subb_u32 s17, 0, s23
	s_delay_alu instid0(VALU_DEP_1) | instskip(NEXT) | instid1(VALU_DEP_1)
	v_fmac_f32_e32 v3, 0x4f800000, v5
	v_rcp_f32_e32 v3, v3
	s_waitcnt_depctr 0xfff
	v_mul_f32_e32 v3, 0x5f7ffffc, v3
	s_delay_alu instid0(VALU_DEP_1) | instskip(NEXT) | instid1(VALU_DEP_1)
	v_mul_f32_e32 v5, 0x2f800000, v3
	v_trunc_f32_e32 v5, v5
	s_delay_alu instid0(VALU_DEP_1) | instskip(SKIP_1) | instid1(VALU_DEP_2)
	v_fmac_f32_e32 v3, 0xcf800000, v5
	v_cvt_u32_f32_e32 v5, v5
	v_cvt_u32_f32_e32 v3, v3
	s_delay_alu instid0(VALU_DEP_2) | instskip(NEXT) | instid1(VALU_DEP_2)
	v_mul_lo_u32 v8, s0, v5
	v_mul_hi_u32 v11, s0, v3
	v_mul_lo_u32 v12, s17, v3
	s_delay_alu instid0(VALU_DEP_2) | instskip(SKIP_1) | instid1(VALU_DEP_2)
	v_add_nc_u32_e32 v8, v11, v8
	v_mul_lo_u32 v11, s0, v3
	v_add_nc_u32_e32 v8, v8, v12
	s_delay_alu instid0(VALU_DEP_2) | instskip(NEXT) | instid1(VALU_DEP_2)
	v_mul_hi_u32 v12, v3, v11
	v_mul_lo_u32 v13, v3, v8
	v_mul_hi_u32 v14, v3, v8
	v_mul_hi_u32 v15, v5, v11
	v_mul_lo_u32 v11, v5, v11
	v_mul_hi_u32 v16, v5, v8
	v_mul_lo_u32 v8, v5, v8
	v_add_co_u32 v12, vcc_lo, v12, v13
	v_add_co_ci_u32_e32 v13, vcc_lo, 0, v14, vcc_lo
	s_delay_alu instid0(VALU_DEP_2) | instskip(NEXT) | instid1(VALU_DEP_2)
	v_add_co_u32 v11, vcc_lo, v12, v11
	v_add_co_ci_u32_e32 v11, vcc_lo, v13, v15, vcc_lo
	v_add_co_ci_u32_e32 v12, vcc_lo, 0, v16, vcc_lo
	v_ashrrev_i32_e32 v16, 31, v10
	s_delay_alu instid0(VALU_DEP_3) | instskip(NEXT) | instid1(VALU_DEP_3)
	v_add_co_u32 v8, vcc_lo, v11, v8
	v_add_co_ci_u32_e32 v11, vcc_lo, 0, v12, vcc_lo
	s_delay_alu instid0(VALU_DEP_2) | instskip(NEXT) | instid1(VALU_DEP_2)
	v_add_co_u32 v3, vcc_lo, v3, v8
	v_add_co_ci_u32_e32 v5, vcc_lo, v5, v11, vcc_lo
	s_delay_alu instid0(VALU_DEP_2) | instskip(SKIP_1) | instid1(VALU_DEP_3)
	v_mul_hi_u32 v8, s0, v3
	v_mul_lo_u32 v12, s17, v3
	v_mul_lo_u32 v11, s0, v5
	s_delay_alu instid0(VALU_DEP_1) | instskip(SKIP_1) | instid1(VALU_DEP_2)
	v_add_nc_u32_e32 v8, v8, v11
	v_mul_lo_u32 v11, s0, v3
	v_add_nc_u32_e32 v8, v8, v12
	s_delay_alu instid0(VALU_DEP_2) | instskip(NEXT) | instid1(VALU_DEP_2)
	v_mul_hi_u32 v12, v3, v11
	v_mul_lo_u32 v13, v3, v8
	v_mul_hi_u32 v14, v3, v8
	v_mul_hi_u32 v15, v5, v11
	v_mul_lo_u32 v11, v5, v11
	v_mul_hi_u32 v17, v5, v8
	v_mul_lo_u32 v8, v5, v8
	v_add_co_u32 v12, vcc_lo, v12, v13
	v_add_co_ci_u32_e32 v13, vcc_lo, 0, v14, vcc_lo
	s_delay_alu instid0(VALU_DEP_2) | instskip(NEXT) | instid1(VALU_DEP_2)
	v_add_co_u32 v11, vcc_lo, v12, v11
	v_add_co_ci_u32_e32 v11, vcc_lo, v13, v15, vcc_lo
	v_add_co_ci_u32_e32 v12, vcc_lo, 0, v17, vcc_lo
	v_add_co_u32 v13, vcc_lo, v9, v16
	v_add_co_ci_u32_e32 v10, vcc_lo, v10, v16, vcc_lo
	s_delay_alu instid0(VALU_DEP_4) | instskip(NEXT) | instid1(VALU_DEP_4)
	v_add_co_u32 v8, vcc_lo, v11, v8
	v_add_co_ci_u32_e32 v11, vcc_lo, 0, v12, vcc_lo
	s_delay_alu instid0(VALU_DEP_4) | instskip(NEXT) | instid1(VALU_DEP_3)
	v_xor_b32_e32 v17, v13, v16
	v_add_co_u32 v3, vcc_lo, v3, v8
	s_delay_alu instid0(VALU_DEP_3) | instskip(SKIP_1) | instid1(VALU_DEP_3)
	v_add_co_ci_u32_e32 v5, vcc_lo, v5, v11, vcc_lo
	v_xor_b32_e32 v8, v10, v16
	v_mul_hi_u32 v18, v17, v3
	s_delay_alu instid0(VALU_DEP_3) | instskip(NEXT) | instid1(VALU_DEP_3)
	v_mad_u64_u32 v[10:11], null, v17, v5, 0
	v_mad_u64_u32 v[12:13], null, v8, v3, 0
	;; [unrolled: 1-line block ×3, first 2 shown]
	s_delay_alu instid0(VALU_DEP_3) | instskip(NEXT) | instid1(VALU_DEP_4)
	v_add_co_u32 v3, vcc_lo, v18, v10
	v_add_co_ci_u32_e32 v5, vcc_lo, 0, v11, vcc_lo
	s_delay_alu instid0(VALU_DEP_2) | instskip(NEXT) | instid1(VALU_DEP_2)
	v_add_co_u32 v3, vcc_lo, v3, v12
	v_add_co_ci_u32_e32 v3, vcc_lo, v5, v13, vcc_lo
	v_add_co_ci_u32_e32 v5, vcc_lo, 0, v15, vcc_lo
	s_delay_alu instid0(VALU_DEP_2) | instskip(NEXT) | instid1(VALU_DEP_2)
	v_add_co_u32 v3, vcc_lo, v3, v14
	v_add_co_ci_u32_e32 v5, vcc_lo, 0, v5, vcc_lo
	s_delay_alu instid0(VALU_DEP_2) | instskip(SKIP_1) | instid1(VALU_DEP_3)
	v_mul_lo_u32 v12, s23, v3
	v_mad_u64_u32 v[10:11], null, s22, v3, 0
	v_mul_lo_u32 v13, s22, v5
	s_delay_alu instid0(VALU_DEP_2) | instskip(NEXT) | instid1(VALU_DEP_2)
	v_sub_co_u32 v10, vcc_lo, v17, v10
	v_add3_u32 v11, v11, v13, v12
	s_delay_alu instid0(VALU_DEP_1) | instskip(NEXT) | instid1(VALU_DEP_1)
	v_sub_nc_u32_e32 v12, v8, v11
	v_subrev_co_ci_u32_e64 v12, s0, s23, v12, vcc_lo
	v_add_co_u32 v13, s0, v3, 2
	s_delay_alu instid0(VALU_DEP_1) | instskip(SKIP_3) | instid1(VALU_DEP_3)
	v_add_co_ci_u32_e64 v14, s0, 0, v5, s0
	v_sub_co_u32 v15, s0, v10, s22
	v_sub_co_ci_u32_e32 v8, vcc_lo, v8, v11, vcc_lo
	v_subrev_co_ci_u32_e64 v12, s0, 0, v12, s0
	v_cmp_le_u32_e32 vcc_lo, s22, v15
	s_delay_alu instid0(VALU_DEP_3) | instskip(SKIP_1) | instid1(VALU_DEP_4)
	v_cmp_eq_u32_e64 s0, s23, v8
	v_cndmask_b32_e64 v11, 0, -1, vcc_lo
	v_cmp_le_u32_e32 vcc_lo, s23, v12
	v_cndmask_b32_e64 v15, 0, -1, vcc_lo
	v_cmp_le_u32_e32 vcc_lo, s22, v10
	;; [unrolled: 2-line block ×3, first 2 shown]
	v_cndmask_b32_e64 v17, 0, -1, vcc_lo
	v_cmp_eq_u32_e32 vcc_lo, s23, v12
	s_delay_alu instid0(VALU_DEP_2) | instskip(SKIP_3) | instid1(VALU_DEP_3)
	v_cndmask_b32_e64 v8, v17, v10, s0
	v_cndmask_b32_e32 v11, v15, v11, vcc_lo
	v_add_co_u32 v12, vcc_lo, v3, 1
	v_add_co_ci_u32_e32 v15, vcc_lo, 0, v5, vcc_lo
	v_cmp_ne_u32_e32 vcc_lo, 0, v11
	s_delay_alu instid0(VALU_DEP_2) | instskip(SKIP_2) | instid1(VALU_DEP_3)
	v_dual_cndmask_b32 v10, v15, v14 :: v_dual_cndmask_b32 v11, v12, v13
	v_cmp_ne_u32_e32 vcc_lo, 0, v8
	v_xor_b32_e32 v8, s20, v16
	v_cndmask_b32_e32 v3, v3, v11, vcc_lo
	s_delay_alu instid0(VALU_DEP_4) | instskip(SKIP_1) | instid1(VALU_DEP_3)
	v_cndmask_b32_e32 v5, v5, v10, vcc_lo
	v_xor_b32_e32 v10, s21, v16
	v_xor_b32_e32 v3, v3, v8
	s_delay_alu instid0(VALU_DEP_2) | instskip(NEXT) | instid1(VALU_DEP_2)
	v_xor_b32_e32 v5, v5, v10
	v_sub_co_u32 v11, vcc_lo, v3, v8
	s_delay_alu instid0(VALU_DEP_2)
	v_sub_co_ci_u32_e32 v12, vcc_lo, v5, v10, vcc_lo
.LBB20_30:                              ;   in Loop: Header=BB20_24 Depth=2
	s_and_not1_saveexec_b32 s0, s14
	s_cbranch_execz .LBB20_32
; %bb.31:                               ;   in Loop: Header=BB20_24 Depth=2
	v_cvt_f32_u32_e32 v3, s43
	s_sub_i32 s14, 0, s43
	v_mov_b32_e32 v12, v2
	s_delay_alu instid0(VALU_DEP_2) | instskip(SKIP_2) | instid1(VALU_DEP_1)
	v_rcp_iflag_f32_e32 v3, v3
	s_waitcnt_depctr 0xfff
	v_mul_f32_e32 v3, 0x4f7ffffe, v3
	v_cvt_u32_f32_e32 v3, v3
	s_delay_alu instid0(VALU_DEP_1) | instskip(NEXT) | instid1(VALU_DEP_1)
	v_mul_lo_u32 v5, s14, v3
	v_mul_hi_u32 v5, v3, v5
	s_delay_alu instid0(VALU_DEP_1) | instskip(NEXT) | instid1(VALU_DEP_1)
	v_add_nc_u32_e32 v3, v3, v5
	v_mul_hi_u32 v3, v9, v3
	s_delay_alu instid0(VALU_DEP_1) | instskip(NEXT) | instid1(VALU_DEP_1)
	v_mul_lo_u32 v5, v3, s43
	v_sub_nc_u32_e32 v5, v9, v5
	s_delay_alu instid0(VALU_DEP_1) | instskip(SKIP_1) | instid1(VALU_DEP_2)
	v_subrev_nc_u32_e32 v10, s43, v5
	v_cmp_le_u32_e32 vcc_lo, s43, v5
	v_dual_cndmask_b32 v5, v5, v10 :: v_dual_add_nc_u32 v8, 1, v3
	s_delay_alu instid0(VALU_DEP_1) | instskip(NEXT) | instid1(VALU_DEP_2)
	v_cndmask_b32_e32 v3, v3, v8, vcc_lo
	v_cmp_le_u32_e32 vcc_lo, s43, v5
	s_delay_alu instid0(VALU_DEP_2) | instskip(NEXT) | instid1(VALU_DEP_1)
	v_add_nc_u32_e32 v8, 1, v3
	v_cndmask_b32_e32 v11, v3, v8, vcc_lo
.LBB20_32:                              ;   in Loop: Header=BB20_24 Depth=2
	s_or_b32 exec_lo, exec_lo, s0
	s_add_u32 s20, s30, s18
	s_addc_u32 s21, s1, s19
	s_add_i32 s14, s16, 5
                                        ; implicit-def: $vgpr13_vgpr14
	s_delay_alu instid0(SALU_CYCLE_1)
	s_lshl_b64 s[18:19], s[14:15], 2
	s_mov_b32 s14, exec_lo
	s_add_u32 s22, s26, s18
	s_addc_u32 s23, s27, s19
	s_clause 0x1
	s_load_b32 s45, s[22:23], 0x0
	s_load_b32 s44, s[20:21], 0x0
	s_waitcnt lgkmcnt(0)
	s_ashr_i32 s0, s45, 31
	s_delay_alu instid0(SALU_CYCLE_1) | instskip(NEXT) | instid1(VALU_DEP_1)
	v_or_b32_e32 v3, s0, v12
	v_cmpx_ne_u64_e32 0, v[2:3]
	s_xor_b32 s14, exec_lo, s14
	s_cbranch_execz .LBB20_34
; %bb.33:                               ;   in Loop: Header=BB20_24 Depth=2
	s_add_u32 s22, s45, s0
	s_mov_b32 s20, s0
	s_mov_b32 s21, s0
	s_addc_u32 s23, s0, s0
	v_ashrrev_i32_e32 v18, 31, v12
	s_xor_b64 s[22:23], s[22:23], s[20:21]
	s_delay_alu instid0(SALU_CYCLE_1) | instskip(SKIP_3) | instid1(VALU_DEP_1)
	v_cvt_f32_u32_e32 v3, s22
	v_cvt_f32_u32_e32 v5, s23
	s_sub_u32 s0, 0, s22
	s_subb_u32 s17, 0, s23
	v_fmac_f32_e32 v3, 0x4f800000, v5
	s_delay_alu instid0(VALU_DEP_1) | instskip(SKIP_2) | instid1(VALU_DEP_1)
	v_rcp_f32_e32 v3, v3
	s_waitcnt_depctr 0xfff
	v_mul_f32_e32 v3, 0x5f7ffffc, v3
	v_mul_f32_e32 v5, 0x2f800000, v3
	s_delay_alu instid0(VALU_DEP_1) | instskip(NEXT) | instid1(VALU_DEP_1)
	v_trunc_f32_e32 v5, v5
	v_fmac_f32_e32 v3, 0xcf800000, v5
	v_cvt_u32_f32_e32 v5, v5
	s_delay_alu instid0(VALU_DEP_2) | instskip(NEXT) | instid1(VALU_DEP_2)
	v_cvt_u32_f32_e32 v3, v3
	v_mul_lo_u32 v8, s0, v5
	s_delay_alu instid0(VALU_DEP_2) | instskip(SKIP_1) | instid1(VALU_DEP_2)
	v_mul_hi_u32 v10, s0, v3
	v_mul_lo_u32 v13, s17, v3
	v_add_nc_u32_e32 v8, v10, v8
	v_mul_lo_u32 v10, s0, v3
	s_delay_alu instid0(VALU_DEP_2) | instskip(NEXT) | instid1(VALU_DEP_2)
	v_add_nc_u32_e32 v8, v8, v13
	v_mul_hi_u32 v13, v3, v10
	s_delay_alu instid0(VALU_DEP_2)
	v_mul_lo_u32 v14, v3, v8
	v_mul_hi_u32 v15, v3, v8
	v_mul_hi_u32 v16, v5, v10
	v_mul_lo_u32 v10, v5, v10
	v_mul_hi_u32 v17, v5, v8
	v_mul_lo_u32 v8, v5, v8
	v_add_co_u32 v13, vcc_lo, v13, v14
	v_add_co_ci_u32_e32 v14, vcc_lo, 0, v15, vcc_lo
	s_delay_alu instid0(VALU_DEP_2) | instskip(NEXT) | instid1(VALU_DEP_2)
	v_add_co_u32 v10, vcc_lo, v13, v10
	v_add_co_ci_u32_e32 v10, vcc_lo, v14, v16, vcc_lo
	v_add_co_ci_u32_e32 v13, vcc_lo, 0, v17, vcc_lo
	s_delay_alu instid0(VALU_DEP_2) | instskip(NEXT) | instid1(VALU_DEP_2)
	v_add_co_u32 v8, vcc_lo, v10, v8
	v_add_co_ci_u32_e32 v10, vcc_lo, 0, v13, vcc_lo
	s_delay_alu instid0(VALU_DEP_2) | instskip(NEXT) | instid1(VALU_DEP_2)
	v_add_co_u32 v3, vcc_lo, v3, v8
	v_add_co_ci_u32_e32 v5, vcc_lo, v5, v10, vcc_lo
	s_delay_alu instid0(VALU_DEP_2) | instskip(SKIP_1) | instid1(VALU_DEP_3)
	v_mul_hi_u32 v8, s0, v3
	v_mul_lo_u32 v13, s17, v3
	v_mul_lo_u32 v10, s0, v5
	s_delay_alu instid0(VALU_DEP_1) | instskip(SKIP_1) | instid1(VALU_DEP_2)
	v_add_nc_u32_e32 v8, v8, v10
	v_mul_lo_u32 v10, s0, v3
	v_add_nc_u32_e32 v8, v8, v13
	s_delay_alu instid0(VALU_DEP_2) | instskip(NEXT) | instid1(VALU_DEP_2)
	v_mul_hi_u32 v13, v3, v10
	v_mul_lo_u32 v14, v3, v8
	v_mul_hi_u32 v15, v3, v8
	v_mul_hi_u32 v16, v5, v10
	v_mul_lo_u32 v10, v5, v10
	v_mul_hi_u32 v17, v5, v8
	v_mul_lo_u32 v8, v5, v8
	v_add_co_u32 v13, vcc_lo, v13, v14
	v_add_co_ci_u32_e32 v14, vcc_lo, 0, v15, vcc_lo
	s_delay_alu instid0(VALU_DEP_2) | instskip(NEXT) | instid1(VALU_DEP_2)
	v_add_co_u32 v10, vcc_lo, v13, v10
	v_add_co_ci_u32_e32 v10, vcc_lo, v14, v16, vcc_lo
	v_add_co_ci_u32_e32 v13, vcc_lo, 0, v17, vcc_lo
	v_add_co_u32 v14, vcc_lo, v11, v18
	v_add_co_ci_u32_e32 v12, vcc_lo, v12, v18, vcc_lo
	s_delay_alu instid0(VALU_DEP_4) | instskip(NEXT) | instid1(VALU_DEP_4)
	v_add_co_u32 v8, vcc_lo, v10, v8
	v_add_co_ci_u32_e32 v10, vcc_lo, 0, v13, vcc_lo
	s_delay_alu instid0(VALU_DEP_4) | instskip(NEXT) | instid1(VALU_DEP_3)
	v_xor_b32_e32 v19, v14, v18
	v_add_co_u32 v3, vcc_lo, v3, v8
	s_delay_alu instid0(VALU_DEP_3) | instskip(SKIP_1) | instid1(VALU_DEP_3)
	v_add_co_ci_u32_e32 v5, vcc_lo, v5, v10, vcc_lo
	v_xor_b32_e32 v8, v12, v18
	v_mul_hi_u32 v10, v19, v3
	s_delay_alu instid0(VALU_DEP_3) | instskip(NEXT) | instid1(VALU_DEP_3)
	v_mad_u64_u32 v[12:13], null, v19, v5, 0
	v_mad_u64_u32 v[14:15], null, v8, v3, 0
	;; [unrolled: 1-line block ×3, first 2 shown]
	s_delay_alu instid0(VALU_DEP_3) | instskip(NEXT) | instid1(VALU_DEP_4)
	v_add_co_u32 v3, vcc_lo, v10, v12
	v_add_co_ci_u32_e32 v5, vcc_lo, 0, v13, vcc_lo
	s_delay_alu instid0(VALU_DEP_2) | instskip(NEXT) | instid1(VALU_DEP_2)
	v_add_co_u32 v3, vcc_lo, v3, v14
	v_add_co_ci_u32_e32 v3, vcc_lo, v5, v15, vcc_lo
	v_add_co_ci_u32_e32 v5, vcc_lo, 0, v17, vcc_lo
	s_delay_alu instid0(VALU_DEP_2) | instskip(NEXT) | instid1(VALU_DEP_2)
	v_add_co_u32 v3, vcc_lo, v3, v16
	v_add_co_ci_u32_e32 v5, vcc_lo, 0, v5, vcc_lo
	s_delay_alu instid0(VALU_DEP_2) | instskip(SKIP_1) | instid1(VALU_DEP_3)
	v_mul_lo_u32 v10, s23, v3
	v_mad_u64_u32 v[12:13], null, s22, v3, 0
	v_mul_lo_u32 v14, s22, v5
	s_delay_alu instid0(VALU_DEP_2) | instskip(NEXT) | instid1(VALU_DEP_2)
	v_sub_co_u32 v12, vcc_lo, v19, v12
	v_add3_u32 v10, v13, v14, v10
	s_delay_alu instid0(VALU_DEP_1) | instskip(NEXT) | instid1(VALU_DEP_1)
	v_sub_nc_u32_e32 v13, v8, v10
	v_subrev_co_ci_u32_e64 v13, s0, s23, v13, vcc_lo
	v_add_co_u32 v14, s0, v3, 2
	s_delay_alu instid0(VALU_DEP_1) | instskip(SKIP_3) | instid1(VALU_DEP_3)
	v_add_co_ci_u32_e64 v15, s0, 0, v5, s0
	v_sub_co_u32 v16, s0, v12, s22
	v_sub_co_ci_u32_e32 v8, vcc_lo, v8, v10, vcc_lo
	v_subrev_co_ci_u32_e64 v13, s0, 0, v13, s0
	v_cmp_le_u32_e32 vcc_lo, s22, v16
	s_delay_alu instid0(VALU_DEP_3) | instskip(SKIP_1) | instid1(VALU_DEP_4)
	v_cmp_eq_u32_e64 s0, s23, v8
	v_cndmask_b32_e64 v10, 0, -1, vcc_lo
	v_cmp_le_u32_e32 vcc_lo, s23, v13
	v_cndmask_b32_e64 v16, 0, -1, vcc_lo
	v_cmp_le_u32_e32 vcc_lo, s22, v12
	;; [unrolled: 2-line block ×3, first 2 shown]
	v_cndmask_b32_e64 v17, 0, -1, vcc_lo
	v_cmp_eq_u32_e32 vcc_lo, s23, v13
	s_delay_alu instid0(VALU_DEP_2) | instskip(SKIP_3) | instid1(VALU_DEP_3)
	v_cndmask_b32_e64 v8, v17, v12, s0
	v_cndmask_b32_e32 v10, v16, v10, vcc_lo
	v_add_co_u32 v13, vcc_lo, v3, 1
	v_add_co_ci_u32_e32 v16, vcc_lo, 0, v5, vcc_lo
	v_cmp_ne_u32_e32 vcc_lo, 0, v10
	s_delay_alu instid0(VALU_DEP_3) | instskip(NEXT) | instid1(VALU_DEP_3)
	v_cndmask_b32_e32 v12, v13, v14, vcc_lo
	v_cndmask_b32_e32 v10, v16, v15, vcc_lo
	v_cmp_ne_u32_e32 vcc_lo, 0, v8
	v_xor_b32_e32 v8, s20, v18
	s_delay_alu instid0(VALU_DEP_4) | instskip(NEXT) | instid1(VALU_DEP_4)
	v_cndmask_b32_e32 v3, v3, v12, vcc_lo
	v_cndmask_b32_e32 v5, v5, v10, vcc_lo
	v_xor_b32_e32 v10, s21, v18
	s_delay_alu instid0(VALU_DEP_3) | instskip(NEXT) | instid1(VALU_DEP_2)
	v_xor_b32_e32 v3, v3, v8
	v_xor_b32_e32 v5, v5, v10
	s_delay_alu instid0(VALU_DEP_2) | instskip(NEXT) | instid1(VALU_DEP_2)
	v_sub_co_u32 v13, vcc_lo, v3, v8
	v_sub_co_ci_u32_e32 v14, vcc_lo, v5, v10, vcc_lo
.LBB20_34:                              ;   in Loop: Header=BB20_24 Depth=2
	s_and_not1_saveexec_b32 s0, s14
	s_cbranch_execz .LBB20_36
; %bb.35:                               ;   in Loop: Header=BB20_24 Depth=2
	v_cvt_f32_u32_e32 v3, s45
	s_sub_i32 s14, 0, s45
	v_mov_b32_e32 v14, v2
	s_delay_alu instid0(VALU_DEP_2) | instskip(SKIP_2) | instid1(VALU_DEP_1)
	v_rcp_iflag_f32_e32 v3, v3
	s_waitcnt_depctr 0xfff
	v_mul_f32_e32 v3, 0x4f7ffffe, v3
	v_cvt_u32_f32_e32 v3, v3
	s_delay_alu instid0(VALU_DEP_1) | instskip(NEXT) | instid1(VALU_DEP_1)
	v_mul_lo_u32 v5, s14, v3
	v_mul_hi_u32 v5, v3, v5
	s_delay_alu instid0(VALU_DEP_1) | instskip(NEXT) | instid1(VALU_DEP_1)
	v_add_nc_u32_e32 v3, v3, v5
	v_mul_hi_u32 v3, v11, v3
	s_delay_alu instid0(VALU_DEP_1) | instskip(NEXT) | instid1(VALU_DEP_1)
	v_mul_lo_u32 v5, v3, s45
	v_sub_nc_u32_e32 v5, v11, v5
	s_delay_alu instid0(VALU_DEP_1) | instskip(SKIP_1) | instid1(VALU_DEP_2)
	v_subrev_nc_u32_e32 v10, s45, v5
	v_cmp_le_u32_e32 vcc_lo, s45, v5
	v_dual_cndmask_b32 v5, v5, v10 :: v_dual_add_nc_u32 v8, 1, v3
	s_delay_alu instid0(VALU_DEP_1) | instskip(NEXT) | instid1(VALU_DEP_2)
	v_cndmask_b32_e32 v3, v3, v8, vcc_lo
	v_cmp_le_u32_e32 vcc_lo, s45, v5
	s_delay_alu instid0(VALU_DEP_2) | instskip(NEXT) | instid1(VALU_DEP_1)
	v_add_nc_u32_e32 v8, 1, v3
	v_cndmask_b32_e32 v13, v3, v8, vcc_lo
.LBB20_36:                              ;   in Loop: Header=BB20_24 Depth=2
	s_or_b32 exec_lo, exec_lo, s0
	s_add_u32 s20, s30, s18
	s_addc_u32 s21, s1, s19
	s_add_i32 s14, s16, 4
                                        ; implicit-def: $vgpr15_vgpr16
	s_delay_alu instid0(SALU_CYCLE_1)
	s_lshl_b64 s[18:19], s[14:15], 2
	s_mov_b32 s14, exec_lo
	s_add_u32 s22, s26, s18
	s_addc_u32 s23, s27, s19
	s_clause 0x1
	s_load_b32 s47, s[22:23], 0x0
	s_load_b32 s46, s[20:21], 0x0
	s_waitcnt lgkmcnt(0)
	s_ashr_i32 s0, s47, 31
	s_delay_alu instid0(SALU_CYCLE_1) | instskip(NEXT) | instid1(VALU_DEP_1)
	v_or_b32_e32 v3, s0, v14
	v_cmpx_ne_u64_e32 0, v[2:3]
	s_xor_b32 s14, exec_lo, s14
	s_cbranch_execz .LBB20_38
; %bb.37:                               ;   in Loop: Header=BB20_24 Depth=2
	s_add_u32 s22, s47, s0
	s_mov_b32 s20, s0
	s_mov_b32 s21, s0
	s_addc_u32 s23, s0, s0
	v_ashrrev_i32_e32 v20, 31, v14
	s_xor_b64 s[22:23], s[22:23], s[20:21]
	s_delay_alu instid0(SALU_CYCLE_1) | instskip(SKIP_3) | instid1(VALU_DEP_1)
	v_cvt_f32_u32_e32 v3, s22
	v_cvt_f32_u32_e32 v5, s23
	s_sub_u32 s0, 0, s22
	s_subb_u32 s17, 0, s23
	v_fmac_f32_e32 v3, 0x4f800000, v5
	s_delay_alu instid0(VALU_DEP_1) | instskip(SKIP_2) | instid1(VALU_DEP_1)
	v_rcp_f32_e32 v3, v3
	s_waitcnt_depctr 0xfff
	v_mul_f32_e32 v3, 0x5f7ffffc, v3
	v_mul_f32_e32 v5, 0x2f800000, v3
	s_delay_alu instid0(VALU_DEP_1) | instskip(NEXT) | instid1(VALU_DEP_1)
	v_trunc_f32_e32 v5, v5
	v_fmac_f32_e32 v3, 0xcf800000, v5
	v_cvt_u32_f32_e32 v5, v5
	s_delay_alu instid0(VALU_DEP_2) | instskip(NEXT) | instid1(VALU_DEP_2)
	v_cvt_u32_f32_e32 v3, v3
	v_mul_lo_u32 v8, s0, v5
	s_delay_alu instid0(VALU_DEP_2) | instskip(SKIP_1) | instid1(VALU_DEP_2)
	v_mul_hi_u32 v10, s0, v3
	v_mul_lo_u32 v12, s17, v3
	v_add_nc_u32_e32 v8, v10, v8
	v_mul_lo_u32 v10, s0, v3
	s_delay_alu instid0(VALU_DEP_2) | instskip(NEXT) | instid1(VALU_DEP_2)
	v_add_nc_u32_e32 v8, v8, v12
	v_mul_hi_u32 v12, v3, v10
	s_delay_alu instid0(VALU_DEP_2)
	v_mul_lo_u32 v15, v3, v8
	v_mul_hi_u32 v16, v3, v8
	v_mul_hi_u32 v17, v5, v10
	v_mul_lo_u32 v10, v5, v10
	v_mul_hi_u32 v18, v5, v8
	v_mul_lo_u32 v8, v5, v8
	v_add_co_u32 v12, vcc_lo, v12, v15
	v_add_co_ci_u32_e32 v15, vcc_lo, 0, v16, vcc_lo
	s_delay_alu instid0(VALU_DEP_2) | instskip(NEXT) | instid1(VALU_DEP_2)
	v_add_co_u32 v10, vcc_lo, v12, v10
	v_add_co_ci_u32_e32 v10, vcc_lo, v15, v17, vcc_lo
	v_add_co_ci_u32_e32 v12, vcc_lo, 0, v18, vcc_lo
	s_delay_alu instid0(VALU_DEP_2) | instskip(NEXT) | instid1(VALU_DEP_2)
	v_add_co_u32 v8, vcc_lo, v10, v8
	v_add_co_ci_u32_e32 v10, vcc_lo, 0, v12, vcc_lo
	s_delay_alu instid0(VALU_DEP_2) | instskip(NEXT) | instid1(VALU_DEP_2)
	v_add_co_u32 v3, vcc_lo, v3, v8
	v_add_co_ci_u32_e32 v5, vcc_lo, v5, v10, vcc_lo
	s_delay_alu instid0(VALU_DEP_2) | instskip(SKIP_1) | instid1(VALU_DEP_3)
	v_mul_hi_u32 v8, s0, v3
	v_mul_lo_u32 v12, s17, v3
	v_mul_lo_u32 v10, s0, v5
	s_delay_alu instid0(VALU_DEP_1) | instskip(SKIP_1) | instid1(VALU_DEP_2)
	v_add_nc_u32_e32 v8, v8, v10
	v_mul_lo_u32 v10, s0, v3
	v_add_nc_u32_e32 v8, v8, v12
	s_delay_alu instid0(VALU_DEP_2) | instskip(NEXT) | instid1(VALU_DEP_2)
	v_mul_hi_u32 v12, v3, v10
	v_mul_lo_u32 v15, v3, v8
	v_mul_hi_u32 v16, v3, v8
	v_mul_hi_u32 v17, v5, v10
	v_mul_lo_u32 v10, v5, v10
	v_mul_hi_u32 v18, v5, v8
	v_mul_lo_u32 v8, v5, v8
	v_add_co_u32 v12, vcc_lo, v12, v15
	v_add_co_ci_u32_e32 v15, vcc_lo, 0, v16, vcc_lo
	s_delay_alu instid0(VALU_DEP_2) | instskip(NEXT) | instid1(VALU_DEP_2)
	v_add_co_u32 v10, vcc_lo, v12, v10
	v_add_co_ci_u32_e32 v10, vcc_lo, v15, v17, vcc_lo
	v_add_co_ci_u32_e32 v12, vcc_lo, 0, v18, vcc_lo
	v_add_co_u32 v15, vcc_lo, v13, v20
	v_add_co_ci_u32_e32 v14, vcc_lo, v14, v20, vcc_lo
	s_delay_alu instid0(VALU_DEP_4) | instskip(NEXT) | instid1(VALU_DEP_4)
	v_add_co_u32 v8, vcc_lo, v10, v8
	v_add_co_ci_u32_e32 v10, vcc_lo, 0, v12, vcc_lo
	s_delay_alu instid0(VALU_DEP_4) | instskip(NEXT) | instid1(VALU_DEP_3)
	v_xor_b32_e32 v12, v15, v20
	v_add_co_u32 v3, vcc_lo, v3, v8
	s_delay_alu instid0(VALU_DEP_3) | instskip(SKIP_1) | instid1(VALU_DEP_3)
	v_add_co_ci_u32_e32 v5, vcc_lo, v5, v10, vcc_lo
	v_xor_b32_e32 v8, v14, v20
	v_mul_hi_u32 v10, v12, v3
	s_delay_alu instid0(VALU_DEP_3) | instskip(NEXT) | instid1(VALU_DEP_3)
	v_mad_u64_u32 v[14:15], null, v12, v5, 0
	v_mad_u64_u32 v[16:17], null, v8, v3, 0
	;; [unrolled: 1-line block ×3, first 2 shown]
	s_delay_alu instid0(VALU_DEP_3) | instskip(NEXT) | instid1(VALU_DEP_4)
	v_add_co_u32 v3, vcc_lo, v10, v14
	v_add_co_ci_u32_e32 v5, vcc_lo, 0, v15, vcc_lo
	s_delay_alu instid0(VALU_DEP_2) | instskip(NEXT) | instid1(VALU_DEP_2)
	v_add_co_u32 v3, vcc_lo, v3, v16
	v_add_co_ci_u32_e32 v3, vcc_lo, v5, v17, vcc_lo
	v_add_co_ci_u32_e32 v5, vcc_lo, 0, v19, vcc_lo
	s_delay_alu instid0(VALU_DEP_2) | instskip(NEXT) | instid1(VALU_DEP_2)
	v_add_co_u32 v3, vcc_lo, v3, v18
	v_add_co_ci_u32_e32 v5, vcc_lo, 0, v5, vcc_lo
	s_delay_alu instid0(VALU_DEP_2) | instskip(SKIP_1) | instid1(VALU_DEP_3)
	v_mul_lo_u32 v10, s23, v3
	v_mad_u64_u32 v[14:15], null, s22, v3, 0
	v_mul_lo_u32 v16, s22, v5
	s_delay_alu instid0(VALU_DEP_2) | instskip(NEXT) | instid1(VALU_DEP_2)
	v_sub_co_u32 v12, vcc_lo, v12, v14
	v_add3_u32 v10, v15, v16, v10
	s_delay_alu instid0(VALU_DEP_1) | instskip(NEXT) | instid1(VALU_DEP_1)
	v_sub_nc_u32_e32 v15, v8, v10
	v_subrev_co_ci_u32_e64 v14, s0, s23, v15, vcc_lo
	v_add_co_u32 v15, s0, v3, 2
	s_delay_alu instid0(VALU_DEP_1) | instskip(SKIP_3) | instid1(VALU_DEP_3)
	v_add_co_ci_u32_e64 v16, s0, 0, v5, s0
	v_sub_co_u32 v17, s0, v12, s22
	v_sub_co_ci_u32_e32 v8, vcc_lo, v8, v10, vcc_lo
	v_subrev_co_ci_u32_e64 v14, s0, 0, v14, s0
	v_cmp_le_u32_e32 vcc_lo, s22, v17
	s_delay_alu instid0(VALU_DEP_3) | instskip(SKIP_1) | instid1(VALU_DEP_4)
	v_cmp_eq_u32_e64 s0, s23, v8
	v_cndmask_b32_e64 v10, 0, -1, vcc_lo
	v_cmp_le_u32_e32 vcc_lo, s23, v14
	v_cndmask_b32_e64 v17, 0, -1, vcc_lo
	v_cmp_le_u32_e32 vcc_lo, s22, v12
	;; [unrolled: 2-line block ×3, first 2 shown]
	v_cndmask_b32_e64 v18, 0, -1, vcc_lo
	v_cmp_eq_u32_e32 vcc_lo, s23, v14
	s_delay_alu instid0(VALU_DEP_2) | instskip(SKIP_3) | instid1(VALU_DEP_3)
	v_cndmask_b32_e64 v8, v18, v12, s0
	v_cndmask_b32_e32 v10, v17, v10, vcc_lo
	v_add_co_u32 v14, vcc_lo, v3, 1
	v_add_co_ci_u32_e32 v17, vcc_lo, 0, v5, vcc_lo
	v_cmp_ne_u32_e32 vcc_lo, 0, v10
	s_delay_alu instid0(VALU_DEP_2) | instskip(NEXT) | instid1(VALU_DEP_4)
	v_cndmask_b32_e32 v10, v17, v16, vcc_lo
	v_cndmask_b32_e32 v12, v14, v15, vcc_lo
	v_cmp_ne_u32_e32 vcc_lo, 0, v8
	v_xor_b32_e32 v8, s20, v20
	s_delay_alu instid0(VALU_DEP_4) | instskip(NEXT) | instid1(VALU_DEP_4)
	v_cndmask_b32_e32 v5, v5, v10, vcc_lo
	v_cndmask_b32_e32 v3, v3, v12, vcc_lo
	v_xor_b32_e32 v10, s21, v20
	s_delay_alu instid0(VALU_DEP_2) | instskip(NEXT) | instid1(VALU_DEP_2)
	v_xor_b32_e32 v3, v3, v8
	v_xor_b32_e32 v5, v5, v10
	s_delay_alu instid0(VALU_DEP_2) | instskip(NEXT) | instid1(VALU_DEP_2)
	v_sub_co_u32 v15, vcc_lo, v3, v8
	v_sub_co_ci_u32_e32 v16, vcc_lo, v5, v10, vcc_lo
.LBB20_38:                              ;   in Loop: Header=BB20_24 Depth=2
	s_and_not1_saveexec_b32 s0, s14
	s_cbranch_execz .LBB20_40
; %bb.39:                               ;   in Loop: Header=BB20_24 Depth=2
	v_cvt_f32_u32_e32 v3, s47
	s_sub_i32 s14, 0, s47
	v_mov_b32_e32 v16, v2
	s_delay_alu instid0(VALU_DEP_2) | instskip(SKIP_2) | instid1(VALU_DEP_1)
	v_rcp_iflag_f32_e32 v3, v3
	s_waitcnt_depctr 0xfff
	v_mul_f32_e32 v3, 0x4f7ffffe, v3
	v_cvt_u32_f32_e32 v3, v3
	s_delay_alu instid0(VALU_DEP_1) | instskip(NEXT) | instid1(VALU_DEP_1)
	v_mul_lo_u32 v5, s14, v3
	v_mul_hi_u32 v5, v3, v5
	s_delay_alu instid0(VALU_DEP_1) | instskip(NEXT) | instid1(VALU_DEP_1)
	v_add_nc_u32_e32 v3, v3, v5
	v_mul_hi_u32 v3, v13, v3
	s_delay_alu instid0(VALU_DEP_1) | instskip(NEXT) | instid1(VALU_DEP_1)
	v_mul_lo_u32 v5, v3, s47
	v_sub_nc_u32_e32 v5, v13, v5
	s_delay_alu instid0(VALU_DEP_1) | instskip(SKIP_1) | instid1(VALU_DEP_2)
	v_subrev_nc_u32_e32 v10, s47, v5
	v_cmp_le_u32_e32 vcc_lo, s47, v5
	v_dual_cndmask_b32 v5, v5, v10 :: v_dual_add_nc_u32 v8, 1, v3
	s_delay_alu instid0(VALU_DEP_1) | instskip(NEXT) | instid1(VALU_DEP_2)
	v_cndmask_b32_e32 v3, v3, v8, vcc_lo
	v_cmp_le_u32_e32 vcc_lo, s47, v5
	s_delay_alu instid0(VALU_DEP_2) | instskip(NEXT) | instid1(VALU_DEP_1)
	v_add_nc_u32_e32 v8, 1, v3
	v_cndmask_b32_e32 v15, v3, v8, vcc_lo
.LBB20_40:                              ;   in Loop: Header=BB20_24 Depth=2
	s_or_b32 exec_lo, exec_lo, s0
	s_add_u32 s20, s30, s18
	s_addc_u32 s21, s1, s19
	s_add_i32 s14, s16, 3
                                        ; implicit-def: $vgpr17_vgpr18
	s_delay_alu instid0(SALU_CYCLE_1)
	s_lshl_b64 s[18:19], s[14:15], 2
	s_mov_b32 s14, exec_lo
	s_add_u32 s22, s26, s18
	s_addc_u32 s23, s27, s19
	s_clause 0x1
	s_load_b32 s49, s[22:23], 0x0
	s_load_b32 s48, s[20:21], 0x0
	s_waitcnt lgkmcnt(0)
	s_ashr_i32 s0, s49, 31
	s_delay_alu instid0(SALU_CYCLE_1) | instskip(NEXT) | instid1(VALU_DEP_1)
	v_or_b32_e32 v3, s0, v16
	v_cmpx_ne_u64_e32 0, v[2:3]
	s_xor_b32 s14, exec_lo, s14
	s_cbranch_execz .LBB20_42
; %bb.41:                               ;   in Loop: Header=BB20_24 Depth=2
	s_add_u32 s22, s49, s0
	s_mov_b32 s20, s0
	s_mov_b32 s21, s0
	s_addc_u32 s23, s0, s0
	v_ashrrev_i32_e32 v22, 31, v16
	s_xor_b64 s[22:23], s[22:23], s[20:21]
	s_delay_alu instid0(SALU_CYCLE_1) | instskip(SKIP_3) | instid1(VALU_DEP_1)
	v_cvt_f32_u32_e32 v3, s22
	v_cvt_f32_u32_e32 v5, s23
	s_sub_u32 s0, 0, s22
	s_subb_u32 s17, 0, s23
	v_fmac_f32_e32 v3, 0x4f800000, v5
	s_delay_alu instid0(VALU_DEP_1) | instskip(SKIP_2) | instid1(VALU_DEP_1)
	v_rcp_f32_e32 v3, v3
	s_waitcnt_depctr 0xfff
	v_mul_f32_e32 v3, 0x5f7ffffc, v3
	v_mul_f32_e32 v5, 0x2f800000, v3
	s_delay_alu instid0(VALU_DEP_1) | instskip(NEXT) | instid1(VALU_DEP_1)
	v_trunc_f32_e32 v5, v5
	v_fmac_f32_e32 v3, 0xcf800000, v5
	v_cvt_u32_f32_e32 v5, v5
	s_delay_alu instid0(VALU_DEP_2) | instskip(NEXT) | instid1(VALU_DEP_2)
	v_cvt_u32_f32_e32 v3, v3
	v_mul_lo_u32 v8, s0, v5
	s_delay_alu instid0(VALU_DEP_2) | instskip(SKIP_1) | instid1(VALU_DEP_2)
	v_mul_hi_u32 v10, s0, v3
	v_mul_lo_u32 v12, s17, v3
	v_add_nc_u32_e32 v8, v10, v8
	v_mul_lo_u32 v10, s0, v3
	s_delay_alu instid0(VALU_DEP_2) | instskip(NEXT) | instid1(VALU_DEP_2)
	v_add_nc_u32_e32 v8, v8, v12
	v_mul_hi_u32 v12, v3, v10
	s_delay_alu instid0(VALU_DEP_2)
	v_mul_lo_u32 v14, v3, v8
	v_mul_hi_u32 v17, v3, v8
	v_mul_hi_u32 v18, v5, v10
	v_mul_lo_u32 v10, v5, v10
	v_mul_hi_u32 v19, v5, v8
	v_mul_lo_u32 v8, v5, v8
	v_add_co_u32 v12, vcc_lo, v12, v14
	v_add_co_ci_u32_e32 v14, vcc_lo, 0, v17, vcc_lo
	s_delay_alu instid0(VALU_DEP_2) | instskip(NEXT) | instid1(VALU_DEP_2)
	v_add_co_u32 v10, vcc_lo, v12, v10
	v_add_co_ci_u32_e32 v10, vcc_lo, v14, v18, vcc_lo
	v_add_co_ci_u32_e32 v12, vcc_lo, 0, v19, vcc_lo
	s_delay_alu instid0(VALU_DEP_2) | instskip(NEXT) | instid1(VALU_DEP_2)
	v_add_co_u32 v8, vcc_lo, v10, v8
	v_add_co_ci_u32_e32 v10, vcc_lo, 0, v12, vcc_lo
	s_delay_alu instid0(VALU_DEP_2) | instskip(NEXT) | instid1(VALU_DEP_2)
	v_add_co_u32 v3, vcc_lo, v3, v8
	v_add_co_ci_u32_e32 v5, vcc_lo, v5, v10, vcc_lo
	s_delay_alu instid0(VALU_DEP_2) | instskip(SKIP_1) | instid1(VALU_DEP_3)
	v_mul_hi_u32 v8, s0, v3
	v_mul_lo_u32 v12, s17, v3
	v_mul_lo_u32 v10, s0, v5
	s_delay_alu instid0(VALU_DEP_1) | instskip(SKIP_1) | instid1(VALU_DEP_2)
	v_add_nc_u32_e32 v8, v8, v10
	v_mul_lo_u32 v10, s0, v3
	v_add_nc_u32_e32 v8, v8, v12
	s_delay_alu instid0(VALU_DEP_2) | instskip(NEXT) | instid1(VALU_DEP_2)
	v_mul_hi_u32 v12, v3, v10
	v_mul_lo_u32 v14, v3, v8
	v_mul_hi_u32 v17, v3, v8
	v_mul_hi_u32 v18, v5, v10
	v_mul_lo_u32 v10, v5, v10
	v_mul_hi_u32 v19, v5, v8
	v_mul_lo_u32 v8, v5, v8
	v_add_co_u32 v12, vcc_lo, v12, v14
	v_add_co_ci_u32_e32 v14, vcc_lo, 0, v17, vcc_lo
	s_delay_alu instid0(VALU_DEP_2) | instskip(NEXT) | instid1(VALU_DEP_2)
	v_add_co_u32 v10, vcc_lo, v12, v10
	v_add_co_ci_u32_e32 v10, vcc_lo, v14, v18, vcc_lo
	v_add_co_ci_u32_e32 v12, vcc_lo, 0, v19, vcc_lo
	v_add_co_u32 v14, vcc_lo, v15, v22
	v_add_co_ci_u32_e32 v16, vcc_lo, v16, v22, vcc_lo
	s_delay_alu instid0(VALU_DEP_4) | instskip(NEXT) | instid1(VALU_DEP_4)
	v_add_co_u32 v8, vcc_lo, v10, v8
	v_add_co_ci_u32_e32 v10, vcc_lo, 0, v12, vcc_lo
	s_delay_alu instid0(VALU_DEP_4) | instskip(NEXT) | instid1(VALU_DEP_3)
	v_xor_b32_e32 v12, v14, v22
	v_add_co_u32 v3, vcc_lo, v3, v8
	s_delay_alu instid0(VALU_DEP_3) | instskip(SKIP_1) | instid1(VALU_DEP_3)
	v_add_co_ci_u32_e32 v5, vcc_lo, v5, v10, vcc_lo
	v_xor_b32_e32 v8, v16, v22
	v_mul_hi_u32 v10, v12, v3
	s_delay_alu instid0(VALU_DEP_3) | instskip(NEXT) | instid1(VALU_DEP_3)
	v_mad_u64_u32 v[16:17], null, v12, v5, 0
	v_mad_u64_u32 v[18:19], null, v8, v3, 0
	;; [unrolled: 1-line block ×3, first 2 shown]
	s_delay_alu instid0(VALU_DEP_3) | instskip(NEXT) | instid1(VALU_DEP_4)
	v_add_co_u32 v3, vcc_lo, v10, v16
	v_add_co_ci_u32_e32 v5, vcc_lo, 0, v17, vcc_lo
	s_delay_alu instid0(VALU_DEP_2) | instskip(NEXT) | instid1(VALU_DEP_2)
	v_add_co_u32 v3, vcc_lo, v3, v18
	v_add_co_ci_u32_e32 v3, vcc_lo, v5, v19, vcc_lo
	v_add_co_ci_u32_e32 v5, vcc_lo, 0, v21, vcc_lo
	s_delay_alu instid0(VALU_DEP_2) | instskip(NEXT) | instid1(VALU_DEP_2)
	v_add_co_u32 v3, vcc_lo, v3, v20
	v_add_co_ci_u32_e32 v5, vcc_lo, 0, v5, vcc_lo
	s_delay_alu instid0(VALU_DEP_2) | instskip(SKIP_1) | instid1(VALU_DEP_3)
	v_mul_lo_u32 v10, s23, v3
	v_mad_u64_u32 v[16:17], null, s22, v3, 0
	v_mul_lo_u32 v14, s22, v5
	s_delay_alu instid0(VALU_DEP_2) | instskip(NEXT) | instid1(VALU_DEP_2)
	v_sub_co_u32 v12, vcc_lo, v12, v16
	v_add3_u32 v10, v17, v14, v10
	s_delay_alu instid0(VALU_DEP_1) | instskip(NEXT) | instid1(VALU_DEP_1)
	v_sub_nc_u32_e32 v14, v8, v10
	v_subrev_co_ci_u32_e64 v14, s0, s23, v14, vcc_lo
	v_add_co_u32 v16, s0, v3, 2
	s_delay_alu instid0(VALU_DEP_1) | instskip(SKIP_3) | instid1(VALU_DEP_3)
	v_add_co_ci_u32_e64 v17, s0, 0, v5, s0
	v_sub_co_u32 v18, s0, v12, s22
	v_sub_co_ci_u32_e32 v8, vcc_lo, v8, v10, vcc_lo
	v_subrev_co_ci_u32_e64 v14, s0, 0, v14, s0
	v_cmp_le_u32_e32 vcc_lo, s22, v18
	s_delay_alu instid0(VALU_DEP_3) | instskip(SKIP_1) | instid1(VALU_DEP_4)
	v_cmp_eq_u32_e64 s0, s23, v8
	v_cndmask_b32_e64 v10, 0, -1, vcc_lo
	v_cmp_le_u32_e32 vcc_lo, s23, v14
	v_cndmask_b32_e64 v18, 0, -1, vcc_lo
	v_cmp_le_u32_e32 vcc_lo, s22, v12
	;; [unrolled: 2-line block ×3, first 2 shown]
	v_cndmask_b32_e64 v19, 0, -1, vcc_lo
	v_cmp_eq_u32_e32 vcc_lo, s23, v14
	s_delay_alu instid0(VALU_DEP_2) | instskip(SKIP_3) | instid1(VALU_DEP_3)
	v_cndmask_b32_e64 v8, v19, v12, s0
	v_cndmask_b32_e32 v10, v18, v10, vcc_lo
	v_add_co_u32 v14, vcc_lo, v3, 1
	v_add_co_ci_u32_e32 v18, vcc_lo, 0, v5, vcc_lo
	v_cmp_ne_u32_e32 vcc_lo, 0, v10
	s_delay_alu instid0(VALU_DEP_2) | instskip(NEXT) | instid1(VALU_DEP_4)
	v_cndmask_b32_e32 v10, v18, v17, vcc_lo
	v_cndmask_b32_e32 v12, v14, v16, vcc_lo
	v_cmp_ne_u32_e32 vcc_lo, 0, v8
	v_xor_b32_e32 v8, s20, v22
	s_delay_alu instid0(VALU_DEP_4) | instskip(NEXT) | instid1(VALU_DEP_4)
	v_cndmask_b32_e32 v5, v5, v10, vcc_lo
	v_cndmask_b32_e32 v3, v3, v12, vcc_lo
	v_xor_b32_e32 v10, s21, v22
	s_delay_alu instid0(VALU_DEP_2) | instskip(NEXT) | instid1(VALU_DEP_2)
	v_xor_b32_e32 v3, v3, v8
	v_xor_b32_e32 v5, v5, v10
	s_delay_alu instid0(VALU_DEP_2) | instskip(NEXT) | instid1(VALU_DEP_2)
	v_sub_co_u32 v17, vcc_lo, v3, v8
	v_sub_co_ci_u32_e32 v18, vcc_lo, v5, v10, vcc_lo
.LBB20_42:                              ;   in Loop: Header=BB20_24 Depth=2
	s_and_not1_saveexec_b32 s0, s14
	s_cbranch_execz .LBB20_44
; %bb.43:                               ;   in Loop: Header=BB20_24 Depth=2
	v_cvt_f32_u32_e32 v3, s49
	s_sub_i32 s14, 0, s49
	v_mov_b32_e32 v18, v2
	s_delay_alu instid0(VALU_DEP_2) | instskip(SKIP_2) | instid1(VALU_DEP_1)
	v_rcp_iflag_f32_e32 v3, v3
	s_waitcnt_depctr 0xfff
	v_mul_f32_e32 v3, 0x4f7ffffe, v3
	v_cvt_u32_f32_e32 v3, v3
	s_delay_alu instid0(VALU_DEP_1) | instskip(NEXT) | instid1(VALU_DEP_1)
	v_mul_lo_u32 v5, s14, v3
	v_mul_hi_u32 v5, v3, v5
	s_delay_alu instid0(VALU_DEP_1) | instskip(NEXT) | instid1(VALU_DEP_1)
	v_add_nc_u32_e32 v3, v3, v5
	v_mul_hi_u32 v3, v15, v3
	s_delay_alu instid0(VALU_DEP_1) | instskip(NEXT) | instid1(VALU_DEP_1)
	v_mul_lo_u32 v5, v3, s49
	v_sub_nc_u32_e32 v5, v15, v5
	s_delay_alu instid0(VALU_DEP_1) | instskip(SKIP_1) | instid1(VALU_DEP_2)
	v_subrev_nc_u32_e32 v10, s49, v5
	v_cmp_le_u32_e32 vcc_lo, s49, v5
	v_dual_cndmask_b32 v5, v5, v10 :: v_dual_add_nc_u32 v8, 1, v3
	s_delay_alu instid0(VALU_DEP_1) | instskip(NEXT) | instid1(VALU_DEP_2)
	v_cndmask_b32_e32 v3, v3, v8, vcc_lo
	v_cmp_le_u32_e32 vcc_lo, s49, v5
	s_delay_alu instid0(VALU_DEP_2) | instskip(NEXT) | instid1(VALU_DEP_1)
	v_add_nc_u32_e32 v8, 1, v3
	v_cndmask_b32_e32 v17, v3, v8, vcc_lo
.LBB20_44:                              ;   in Loop: Header=BB20_24 Depth=2
	s_or_b32 exec_lo, exec_lo, s0
	s_add_u32 s20, s30, s18
	s_addc_u32 s21, s1, s19
	s_add_i32 s14, s16, 2
                                        ; implicit-def: $vgpr19_vgpr20
	s_delay_alu instid0(SALU_CYCLE_1)
	s_lshl_b64 s[18:19], s[14:15], 2
	s_mov_b32 s14, exec_lo
	s_add_u32 s22, s26, s18
	s_addc_u32 s23, s27, s19
	s_clause 0x1
	s_load_b32 s51, s[22:23], 0x0
	s_load_b32 s50, s[20:21], 0x0
	s_waitcnt lgkmcnt(0)
	s_ashr_i32 s0, s51, 31
	s_delay_alu instid0(SALU_CYCLE_1) | instskip(NEXT) | instid1(VALU_DEP_1)
	v_or_b32_e32 v3, s0, v18
	v_cmpx_ne_u64_e32 0, v[2:3]
	s_xor_b32 s14, exec_lo, s14
	s_cbranch_execz .LBB20_46
; %bb.45:                               ;   in Loop: Header=BB20_24 Depth=2
	s_add_u32 s22, s51, s0
	s_mov_b32 s20, s0
	s_mov_b32 s21, s0
	s_addc_u32 s23, s0, s0
	v_ashrrev_i32_e32 v24, 31, v18
	s_xor_b64 s[22:23], s[22:23], s[20:21]
	s_delay_alu instid0(SALU_CYCLE_1) | instskip(SKIP_3) | instid1(VALU_DEP_1)
	v_cvt_f32_u32_e32 v3, s22
	v_cvt_f32_u32_e32 v5, s23
	s_sub_u32 s0, 0, s22
	s_subb_u32 s17, 0, s23
	v_fmac_f32_e32 v3, 0x4f800000, v5
	s_delay_alu instid0(VALU_DEP_1) | instskip(SKIP_2) | instid1(VALU_DEP_1)
	v_rcp_f32_e32 v3, v3
	s_waitcnt_depctr 0xfff
	v_mul_f32_e32 v3, 0x5f7ffffc, v3
	v_mul_f32_e32 v5, 0x2f800000, v3
	s_delay_alu instid0(VALU_DEP_1) | instskip(NEXT) | instid1(VALU_DEP_1)
	v_trunc_f32_e32 v5, v5
	v_fmac_f32_e32 v3, 0xcf800000, v5
	v_cvt_u32_f32_e32 v5, v5
	s_delay_alu instid0(VALU_DEP_2) | instskip(NEXT) | instid1(VALU_DEP_2)
	v_cvt_u32_f32_e32 v3, v3
	v_mul_lo_u32 v8, s0, v5
	s_delay_alu instid0(VALU_DEP_2) | instskip(SKIP_1) | instid1(VALU_DEP_2)
	v_mul_hi_u32 v10, s0, v3
	v_mul_lo_u32 v12, s17, v3
	v_add_nc_u32_e32 v8, v10, v8
	v_mul_lo_u32 v10, s0, v3
	s_delay_alu instid0(VALU_DEP_2) | instskip(NEXT) | instid1(VALU_DEP_2)
	v_add_nc_u32_e32 v8, v8, v12
	v_mul_hi_u32 v12, v3, v10
	s_delay_alu instid0(VALU_DEP_2)
	v_mul_lo_u32 v14, v3, v8
	v_mul_hi_u32 v16, v3, v8
	v_mul_hi_u32 v19, v5, v10
	v_mul_lo_u32 v10, v5, v10
	v_mul_hi_u32 v20, v5, v8
	v_mul_lo_u32 v8, v5, v8
	v_add_co_u32 v12, vcc_lo, v12, v14
	v_add_co_ci_u32_e32 v14, vcc_lo, 0, v16, vcc_lo
	s_delay_alu instid0(VALU_DEP_2) | instskip(NEXT) | instid1(VALU_DEP_2)
	v_add_co_u32 v10, vcc_lo, v12, v10
	v_add_co_ci_u32_e32 v10, vcc_lo, v14, v19, vcc_lo
	v_add_co_ci_u32_e32 v12, vcc_lo, 0, v20, vcc_lo
	s_delay_alu instid0(VALU_DEP_2) | instskip(NEXT) | instid1(VALU_DEP_2)
	v_add_co_u32 v8, vcc_lo, v10, v8
	v_add_co_ci_u32_e32 v10, vcc_lo, 0, v12, vcc_lo
	s_delay_alu instid0(VALU_DEP_2) | instskip(NEXT) | instid1(VALU_DEP_2)
	v_add_co_u32 v3, vcc_lo, v3, v8
	v_add_co_ci_u32_e32 v5, vcc_lo, v5, v10, vcc_lo
	s_delay_alu instid0(VALU_DEP_2) | instskip(SKIP_1) | instid1(VALU_DEP_3)
	v_mul_hi_u32 v8, s0, v3
	v_mul_lo_u32 v12, s17, v3
	v_mul_lo_u32 v10, s0, v5
	s_delay_alu instid0(VALU_DEP_1) | instskip(SKIP_1) | instid1(VALU_DEP_2)
	v_add_nc_u32_e32 v8, v8, v10
	v_mul_lo_u32 v10, s0, v3
	v_add_nc_u32_e32 v8, v8, v12
	s_delay_alu instid0(VALU_DEP_2) | instskip(NEXT) | instid1(VALU_DEP_2)
	v_mul_hi_u32 v12, v3, v10
	v_mul_lo_u32 v14, v3, v8
	v_mul_hi_u32 v16, v3, v8
	v_mul_hi_u32 v19, v5, v10
	v_mul_lo_u32 v10, v5, v10
	v_mul_hi_u32 v20, v5, v8
	v_mul_lo_u32 v8, v5, v8
	v_add_co_u32 v12, vcc_lo, v12, v14
	v_add_co_ci_u32_e32 v14, vcc_lo, 0, v16, vcc_lo
	s_delay_alu instid0(VALU_DEP_2) | instskip(NEXT) | instid1(VALU_DEP_2)
	v_add_co_u32 v10, vcc_lo, v12, v10
	v_add_co_ci_u32_e32 v10, vcc_lo, v14, v19, vcc_lo
	v_add_co_ci_u32_e32 v12, vcc_lo, 0, v20, vcc_lo
	v_add_co_u32 v14, vcc_lo, v17, v24
	v_add_co_ci_u32_e32 v16, vcc_lo, v18, v24, vcc_lo
	s_delay_alu instid0(VALU_DEP_4) | instskip(NEXT) | instid1(VALU_DEP_4)
	v_add_co_u32 v8, vcc_lo, v10, v8
	v_add_co_ci_u32_e32 v10, vcc_lo, 0, v12, vcc_lo
	s_delay_alu instid0(VALU_DEP_4) | instskip(NEXT) | instid1(VALU_DEP_3)
	v_xor_b32_e32 v12, v14, v24
	v_add_co_u32 v3, vcc_lo, v3, v8
	s_delay_alu instid0(VALU_DEP_3) | instskip(SKIP_1) | instid1(VALU_DEP_3)
	v_add_co_ci_u32_e32 v5, vcc_lo, v5, v10, vcc_lo
	v_xor_b32_e32 v8, v16, v24
	v_mul_hi_u32 v10, v12, v3
	s_delay_alu instid0(VALU_DEP_3) | instskip(NEXT) | instid1(VALU_DEP_3)
	v_mad_u64_u32 v[18:19], null, v12, v5, 0
	v_mad_u64_u32 v[20:21], null, v8, v3, 0
	;; [unrolled: 1-line block ×3, first 2 shown]
	s_delay_alu instid0(VALU_DEP_3) | instskip(NEXT) | instid1(VALU_DEP_4)
	v_add_co_u32 v3, vcc_lo, v10, v18
	v_add_co_ci_u32_e32 v5, vcc_lo, 0, v19, vcc_lo
	s_delay_alu instid0(VALU_DEP_2) | instskip(NEXT) | instid1(VALU_DEP_2)
	v_add_co_u32 v3, vcc_lo, v3, v20
	v_add_co_ci_u32_e32 v3, vcc_lo, v5, v21, vcc_lo
	v_add_co_ci_u32_e32 v5, vcc_lo, 0, v23, vcc_lo
	s_delay_alu instid0(VALU_DEP_2) | instskip(NEXT) | instid1(VALU_DEP_2)
	v_add_co_u32 v3, vcc_lo, v3, v22
	v_add_co_ci_u32_e32 v5, vcc_lo, 0, v5, vcc_lo
	s_delay_alu instid0(VALU_DEP_2) | instskip(SKIP_1) | instid1(VALU_DEP_3)
	v_mul_lo_u32 v10, s23, v3
	v_mad_u64_u32 v[18:19], null, s22, v3, 0
	v_mul_lo_u32 v14, s22, v5
	s_delay_alu instid0(VALU_DEP_2) | instskip(NEXT) | instid1(VALU_DEP_2)
	v_sub_co_u32 v12, vcc_lo, v12, v18
	v_add3_u32 v10, v19, v14, v10
	s_delay_alu instid0(VALU_DEP_1) | instskip(NEXT) | instid1(VALU_DEP_1)
	v_sub_nc_u32_e32 v14, v8, v10
	v_subrev_co_ci_u32_e64 v14, s0, s23, v14, vcc_lo
	v_add_co_u32 v16, s0, v3, 2
	s_delay_alu instid0(VALU_DEP_1) | instskip(SKIP_3) | instid1(VALU_DEP_3)
	v_add_co_ci_u32_e64 v18, s0, 0, v5, s0
	v_sub_co_u32 v19, s0, v12, s22
	v_sub_co_ci_u32_e32 v8, vcc_lo, v8, v10, vcc_lo
	v_subrev_co_ci_u32_e64 v14, s0, 0, v14, s0
	v_cmp_le_u32_e32 vcc_lo, s22, v19
	s_delay_alu instid0(VALU_DEP_3) | instskip(SKIP_1) | instid1(VALU_DEP_4)
	v_cmp_eq_u32_e64 s0, s23, v8
	v_cndmask_b32_e64 v10, 0, -1, vcc_lo
	v_cmp_le_u32_e32 vcc_lo, s23, v14
	v_cndmask_b32_e64 v19, 0, -1, vcc_lo
	v_cmp_le_u32_e32 vcc_lo, s22, v12
	;; [unrolled: 2-line block ×3, first 2 shown]
	v_cndmask_b32_e64 v20, 0, -1, vcc_lo
	v_cmp_eq_u32_e32 vcc_lo, s23, v14
	s_delay_alu instid0(VALU_DEP_2) | instskip(SKIP_3) | instid1(VALU_DEP_3)
	v_cndmask_b32_e64 v8, v20, v12, s0
	v_cndmask_b32_e32 v10, v19, v10, vcc_lo
	v_add_co_u32 v14, vcc_lo, v3, 1
	v_add_co_ci_u32_e32 v19, vcc_lo, 0, v5, vcc_lo
	v_cmp_ne_u32_e32 vcc_lo, 0, v10
	s_delay_alu instid0(VALU_DEP_2) | instskip(NEXT) | instid1(VALU_DEP_4)
	v_cndmask_b32_e32 v10, v19, v18, vcc_lo
	v_cndmask_b32_e32 v12, v14, v16, vcc_lo
	v_cmp_ne_u32_e32 vcc_lo, 0, v8
	v_xor_b32_e32 v8, s20, v24
	s_delay_alu instid0(VALU_DEP_4) | instskip(NEXT) | instid1(VALU_DEP_4)
	v_cndmask_b32_e32 v5, v5, v10, vcc_lo
	v_cndmask_b32_e32 v3, v3, v12, vcc_lo
	v_xor_b32_e32 v10, s21, v24
	s_delay_alu instid0(VALU_DEP_2) | instskip(NEXT) | instid1(VALU_DEP_2)
	v_xor_b32_e32 v3, v3, v8
	v_xor_b32_e32 v5, v5, v10
	s_delay_alu instid0(VALU_DEP_2) | instskip(NEXT) | instid1(VALU_DEP_2)
	v_sub_co_u32 v19, vcc_lo, v3, v8
	v_sub_co_ci_u32_e32 v20, vcc_lo, v5, v10, vcc_lo
.LBB20_46:                              ;   in Loop: Header=BB20_24 Depth=2
	s_and_not1_saveexec_b32 s0, s14
	s_cbranch_execz .LBB20_48
; %bb.47:                               ;   in Loop: Header=BB20_24 Depth=2
	v_cvt_f32_u32_e32 v3, s51
	s_sub_i32 s14, 0, s51
	v_mov_b32_e32 v20, v2
	s_delay_alu instid0(VALU_DEP_2) | instskip(SKIP_2) | instid1(VALU_DEP_1)
	v_rcp_iflag_f32_e32 v3, v3
	s_waitcnt_depctr 0xfff
	v_mul_f32_e32 v3, 0x4f7ffffe, v3
	v_cvt_u32_f32_e32 v3, v3
	s_delay_alu instid0(VALU_DEP_1) | instskip(NEXT) | instid1(VALU_DEP_1)
	v_mul_lo_u32 v5, s14, v3
	v_mul_hi_u32 v5, v3, v5
	s_delay_alu instid0(VALU_DEP_1) | instskip(NEXT) | instid1(VALU_DEP_1)
	v_add_nc_u32_e32 v3, v3, v5
	v_mul_hi_u32 v3, v17, v3
	s_delay_alu instid0(VALU_DEP_1) | instskip(NEXT) | instid1(VALU_DEP_1)
	v_mul_lo_u32 v5, v3, s51
	v_sub_nc_u32_e32 v5, v17, v5
	s_delay_alu instid0(VALU_DEP_1) | instskip(SKIP_1) | instid1(VALU_DEP_2)
	v_subrev_nc_u32_e32 v10, s51, v5
	v_cmp_le_u32_e32 vcc_lo, s51, v5
	v_dual_cndmask_b32 v5, v5, v10 :: v_dual_add_nc_u32 v8, 1, v3
	s_delay_alu instid0(VALU_DEP_1) | instskip(NEXT) | instid1(VALU_DEP_2)
	v_cndmask_b32_e32 v3, v3, v8, vcc_lo
	v_cmp_le_u32_e32 vcc_lo, s51, v5
	s_delay_alu instid0(VALU_DEP_2) | instskip(NEXT) | instid1(VALU_DEP_1)
	v_add_nc_u32_e32 v8, 1, v3
	v_cndmask_b32_e32 v19, v3, v8, vcc_lo
.LBB20_48:                              ;   in Loop: Header=BB20_24 Depth=2
	s_or_b32 exec_lo, exec_lo, s0
	s_add_u32 s20, s30, s18
	s_addc_u32 s21, s1, s19
	s_add_i32 s14, s16, 1
	s_mov_b32 s17, exec_lo
	s_lshl_b64 s[18:19], s[14:15], 2
                                        ; implicit-def: $vgpr21_vgpr22
	s_delay_alu instid0(SALU_CYCLE_1)
	s_add_u32 s22, s26, s18
	s_addc_u32 s23, s27, s19
	s_clause 0x1
	s_load_b32 s52, s[22:23], 0x0
	s_load_b32 s14, s[20:21], 0x0
	s_waitcnt lgkmcnt(0)
	s_ashr_i32 s0, s52, 31
	s_delay_alu instid0(SALU_CYCLE_1) | instskip(NEXT) | instid1(VALU_DEP_1)
	v_or_b32_e32 v3, s0, v20
	v_cmpx_ne_u64_e32 0, v[2:3]
	s_xor_b32 s17, exec_lo, s17
	s_cbranch_execz .LBB20_50
; %bb.49:                               ;   in Loop: Header=BB20_24 Depth=2
	s_add_u32 s22, s52, s0
	s_mov_b32 s20, s0
	s_mov_b32 s21, s0
	s_addc_u32 s23, s0, s0
	s_delay_alu instid0(SALU_CYCLE_1) | instskip(NEXT) | instid1(SALU_CYCLE_1)
	s_xor_b64 s[22:23], s[22:23], s[20:21]
	v_cvt_f32_u32_e32 v3, s22
	v_cvt_f32_u32_e32 v5, s23
	s_sub_u32 s0, 0, s22
	s_subb_u32 s53, 0, s23
	s_delay_alu instid0(VALU_DEP_1) | instskip(NEXT) | instid1(VALU_DEP_1)
	v_fmac_f32_e32 v3, 0x4f800000, v5
	v_rcp_f32_e32 v3, v3
	s_waitcnt_depctr 0xfff
	v_mul_f32_e32 v3, 0x5f7ffffc, v3
	s_delay_alu instid0(VALU_DEP_1) | instskip(NEXT) | instid1(VALU_DEP_1)
	v_mul_f32_e32 v5, 0x2f800000, v3
	v_trunc_f32_e32 v5, v5
	s_delay_alu instid0(VALU_DEP_1) | instskip(SKIP_1) | instid1(VALU_DEP_2)
	v_fmac_f32_e32 v3, 0xcf800000, v5
	v_cvt_u32_f32_e32 v5, v5
	v_cvt_u32_f32_e32 v3, v3
	s_delay_alu instid0(VALU_DEP_2) | instskip(NEXT) | instid1(VALU_DEP_2)
	v_mul_lo_u32 v8, s0, v5
	v_mul_hi_u32 v10, s0, v3
	v_mul_lo_u32 v12, s53, v3
	s_delay_alu instid0(VALU_DEP_2) | instskip(SKIP_1) | instid1(VALU_DEP_2)
	v_add_nc_u32_e32 v8, v10, v8
	v_mul_lo_u32 v10, s0, v3
	v_add_nc_u32_e32 v8, v8, v12
	s_delay_alu instid0(VALU_DEP_2) | instskip(NEXT) | instid1(VALU_DEP_2)
	v_mul_hi_u32 v12, v3, v10
	v_mul_lo_u32 v14, v3, v8
	v_mul_hi_u32 v16, v3, v8
	v_mul_hi_u32 v18, v5, v10
	v_mul_lo_u32 v10, v5, v10
	v_mul_hi_u32 v21, v5, v8
	v_mul_lo_u32 v8, v5, v8
	v_add_co_u32 v12, vcc_lo, v12, v14
	v_add_co_ci_u32_e32 v14, vcc_lo, 0, v16, vcc_lo
	s_delay_alu instid0(VALU_DEP_2) | instskip(NEXT) | instid1(VALU_DEP_2)
	v_add_co_u32 v10, vcc_lo, v12, v10
	v_add_co_ci_u32_e32 v10, vcc_lo, v14, v18, vcc_lo
	v_add_co_ci_u32_e32 v12, vcc_lo, 0, v21, vcc_lo
	v_ashrrev_i32_e32 v18, 31, v20
	s_delay_alu instid0(VALU_DEP_3) | instskip(NEXT) | instid1(VALU_DEP_3)
	v_add_co_u32 v8, vcc_lo, v10, v8
	v_add_co_ci_u32_e32 v10, vcc_lo, 0, v12, vcc_lo
	s_delay_alu instid0(VALU_DEP_2) | instskip(NEXT) | instid1(VALU_DEP_2)
	v_add_co_u32 v3, vcc_lo, v3, v8
	v_add_co_ci_u32_e32 v5, vcc_lo, v5, v10, vcc_lo
	s_delay_alu instid0(VALU_DEP_2) | instskip(SKIP_1) | instid1(VALU_DEP_3)
	v_mul_hi_u32 v8, s0, v3
	v_mul_lo_u32 v12, s53, v3
	v_mul_lo_u32 v10, s0, v5
	s_delay_alu instid0(VALU_DEP_1) | instskip(SKIP_1) | instid1(VALU_DEP_2)
	v_add_nc_u32_e32 v8, v8, v10
	v_mul_lo_u32 v10, s0, v3
	v_add_nc_u32_e32 v8, v8, v12
	s_delay_alu instid0(VALU_DEP_2) | instskip(NEXT) | instid1(VALU_DEP_2)
	v_mul_hi_u32 v12, v3, v10
	v_mul_lo_u32 v14, v3, v8
	v_mul_hi_u32 v16, v3, v8
	v_mul_hi_u32 v21, v5, v10
	v_mul_lo_u32 v10, v5, v10
	v_mul_hi_u32 v22, v5, v8
	v_mul_lo_u32 v8, v5, v8
	v_add_co_u32 v12, vcc_lo, v12, v14
	v_add_co_ci_u32_e32 v14, vcc_lo, 0, v16, vcc_lo
	s_delay_alu instid0(VALU_DEP_2) | instskip(NEXT) | instid1(VALU_DEP_2)
	v_add_co_u32 v10, vcc_lo, v12, v10
	v_add_co_ci_u32_e32 v10, vcc_lo, v14, v21, vcc_lo
	v_add_co_ci_u32_e32 v12, vcc_lo, 0, v22, vcc_lo
	v_add_co_u32 v14, vcc_lo, v19, v18
	v_add_co_ci_u32_e32 v16, vcc_lo, v20, v18, vcc_lo
	s_delay_alu instid0(VALU_DEP_4) | instskip(NEXT) | instid1(VALU_DEP_4)
	v_add_co_u32 v8, vcc_lo, v10, v8
	v_add_co_ci_u32_e32 v10, vcc_lo, 0, v12, vcc_lo
	s_delay_alu instid0(VALU_DEP_4) | instskip(NEXT) | instid1(VALU_DEP_3)
	v_xor_b32_e32 v12, v14, v18
	v_add_co_u32 v3, vcc_lo, v3, v8
	s_delay_alu instid0(VALU_DEP_3) | instskip(SKIP_1) | instid1(VALU_DEP_3)
	v_add_co_ci_u32_e32 v5, vcc_lo, v5, v10, vcc_lo
	v_xor_b32_e32 v8, v16, v18
	v_mul_hi_u32 v10, v12, v3
	s_delay_alu instid0(VALU_DEP_3) | instskip(NEXT) | instid1(VALU_DEP_3)
	v_mad_u64_u32 v[20:21], null, v12, v5, 0
	v_mad_u64_u32 v[22:23], null, v8, v3, 0
	;; [unrolled: 1-line block ×3, first 2 shown]
	s_delay_alu instid0(VALU_DEP_3) | instskip(NEXT) | instid1(VALU_DEP_4)
	v_add_co_u32 v3, vcc_lo, v10, v20
	v_add_co_ci_u32_e32 v5, vcc_lo, 0, v21, vcc_lo
	s_delay_alu instid0(VALU_DEP_2) | instskip(NEXT) | instid1(VALU_DEP_2)
	v_add_co_u32 v3, vcc_lo, v3, v22
	v_add_co_ci_u32_e32 v3, vcc_lo, v5, v23, vcc_lo
	v_add_co_ci_u32_e32 v5, vcc_lo, 0, v29, vcc_lo
	s_delay_alu instid0(VALU_DEP_2) | instskip(NEXT) | instid1(VALU_DEP_2)
	v_add_co_u32 v3, vcc_lo, v3, v28
	v_add_co_ci_u32_e32 v5, vcc_lo, 0, v5, vcc_lo
	s_delay_alu instid0(VALU_DEP_2) | instskip(SKIP_1) | instid1(VALU_DEP_3)
	v_mul_lo_u32 v10, s23, v3
	v_mad_u64_u32 v[20:21], null, s22, v3, 0
	v_mul_lo_u32 v14, s22, v5
	s_delay_alu instid0(VALU_DEP_2) | instskip(NEXT) | instid1(VALU_DEP_2)
	v_sub_co_u32 v12, vcc_lo, v12, v20
	v_add3_u32 v10, v21, v14, v10
	s_delay_alu instid0(VALU_DEP_1) | instskip(NEXT) | instid1(VALU_DEP_1)
	v_sub_nc_u32_e32 v14, v8, v10
	v_subrev_co_ci_u32_e64 v14, s0, s23, v14, vcc_lo
	v_add_co_u32 v16, s0, v3, 2
	s_delay_alu instid0(VALU_DEP_1) | instskip(SKIP_3) | instid1(VALU_DEP_3)
	v_add_co_ci_u32_e64 v20, s0, 0, v5, s0
	v_sub_co_u32 v21, s0, v12, s22
	v_sub_co_ci_u32_e32 v8, vcc_lo, v8, v10, vcc_lo
	v_subrev_co_ci_u32_e64 v14, s0, 0, v14, s0
	v_cmp_le_u32_e32 vcc_lo, s22, v21
	s_delay_alu instid0(VALU_DEP_3) | instskip(SKIP_1) | instid1(VALU_DEP_4)
	v_cmp_eq_u32_e64 s0, s23, v8
	v_cndmask_b32_e64 v10, 0, -1, vcc_lo
	v_cmp_le_u32_e32 vcc_lo, s23, v14
	v_cndmask_b32_e64 v21, 0, -1, vcc_lo
	v_cmp_le_u32_e32 vcc_lo, s22, v12
	;; [unrolled: 2-line block ×3, first 2 shown]
	v_cndmask_b32_e64 v22, 0, -1, vcc_lo
	v_cmp_eq_u32_e32 vcc_lo, s23, v14
	s_delay_alu instid0(VALU_DEP_2) | instskip(SKIP_3) | instid1(VALU_DEP_3)
	v_cndmask_b32_e64 v8, v22, v12, s0
	v_cndmask_b32_e32 v10, v21, v10, vcc_lo
	v_add_co_u32 v14, vcc_lo, v3, 1
	v_add_co_ci_u32_e32 v21, vcc_lo, 0, v5, vcc_lo
	v_cmp_ne_u32_e32 vcc_lo, 0, v10
	s_delay_alu instid0(VALU_DEP_2) | instskip(NEXT) | instid1(VALU_DEP_4)
	v_cndmask_b32_e32 v10, v21, v20, vcc_lo
	v_cndmask_b32_e32 v12, v14, v16, vcc_lo
	v_cmp_ne_u32_e32 vcc_lo, 0, v8
	v_xor_b32_e32 v8, s20, v18
	s_delay_alu instid0(VALU_DEP_4) | instskip(NEXT) | instid1(VALU_DEP_4)
	v_cndmask_b32_e32 v5, v5, v10, vcc_lo
	v_cndmask_b32_e32 v3, v3, v12, vcc_lo
	v_xor_b32_e32 v10, s21, v18
	s_delay_alu instid0(VALU_DEP_2) | instskip(NEXT) | instid1(VALU_DEP_2)
	v_xor_b32_e32 v3, v3, v8
	v_xor_b32_e32 v5, v5, v10
	s_delay_alu instid0(VALU_DEP_2) | instskip(NEXT) | instid1(VALU_DEP_2)
	v_sub_co_u32 v21, vcc_lo, v3, v8
	v_sub_co_ci_u32_e32 v22, vcc_lo, v5, v10, vcc_lo
.LBB20_50:                              ;   in Loop: Header=BB20_24 Depth=2
	s_and_not1_saveexec_b32 s0, s17
	s_cbranch_execz .LBB20_52
; %bb.51:                               ;   in Loop: Header=BB20_24 Depth=2
	v_cvt_f32_u32_e32 v3, s52
	s_sub_i32 s17, 0, s52
	v_mov_b32_e32 v22, v2
	s_delay_alu instid0(VALU_DEP_2) | instskip(SKIP_2) | instid1(VALU_DEP_1)
	v_rcp_iflag_f32_e32 v3, v3
	s_waitcnt_depctr 0xfff
	v_mul_f32_e32 v3, 0x4f7ffffe, v3
	v_cvt_u32_f32_e32 v3, v3
	s_delay_alu instid0(VALU_DEP_1) | instskip(NEXT) | instid1(VALU_DEP_1)
	v_mul_lo_u32 v5, s17, v3
	v_mul_hi_u32 v5, v3, v5
	s_delay_alu instid0(VALU_DEP_1) | instskip(NEXT) | instid1(VALU_DEP_1)
	v_add_nc_u32_e32 v3, v3, v5
	v_mul_hi_u32 v3, v19, v3
	s_delay_alu instid0(VALU_DEP_1) | instskip(NEXT) | instid1(VALU_DEP_1)
	v_mul_lo_u32 v5, v3, s52
	v_sub_nc_u32_e32 v5, v19, v5
	s_delay_alu instid0(VALU_DEP_1) | instskip(SKIP_1) | instid1(VALU_DEP_2)
	v_subrev_nc_u32_e32 v10, s52, v5
	v_cmp_le_u32_e32 vcc_lo, s52, v5
	v_dual_cndmask_b32 v5, v5, v10 :: v_dual_add_nc_u32 v8, 1, v3
	s_delay_alu instid0(VALU_DEP_1) | instskip(NEXT) | instid1(VALU_DEP_2)
	v_cndmask_b32_e32 v3, v3, v8, vcc_lo
	v_cmp_le_u32_e32 vcc_lo, s52, v5
	s_delay_alu instid0(VALU_DEP_2) | instskip(NEXT) | instid1(VALU_DEP_1)
	v_add_nc_u32_e32 v8, 1, v3
	v_cndmask_b32_e32 v21, v3, v8, vcc_lo
.LBB20_52:                              ;   in Loop: Header=BB20_24 Depth=2
	s_or_b32 exec_lo, exec_lo, s0
	s_mov_b32 s17, s15
	s_add_u32 s20, s30, s18
	s_addc_u32 s21, s1, s19
	s_lshl_b64 s[18:19], s[16:17], 2
                                        ; implicit-def: $vgpr23_vgpr24
	s_delay_alu instid0(SALU_CYCLE_1)
	s_add_u32 s22, s26, s18
	s_addc_u32 s23, s27, s19
	s_clause 0x1
	s_load_b32 s53, s[22:23], 0x0
	s_load_b32 s17, s[20:21], 0x0
	s_mov_b32 s20, exec_lo
	s_waitcnt lgkmcnt(0)
	s_ashr_i32 s0, s53, 31
	s_delay_alu instid0(SALU_CYCLE_1) | instskip(NEXT) | instid1(VALU_DEP_1)
	v_or_b32_e32 v3, s0, v22
	v_cmpx_ne_u64_e32 0, v[2:3]
	s_xor_b32 s54, exec_lo, s20
	s_cbranch_execz .LBB20_54
; %bb.53:                               ;   in Loop: Header=BB20_24 Depth=2
	s_add_u32 s22, s53, s0
	s_mov_b32 s20, s0
	s_mov_b32 s21, s0
	s_addc_u32 s23, s0, s0
	s_delay_alu instid0(SALU_CYCLE_1) | instskip(NEXT) | instid1(SALU_CYCLE_1)
	s_xor_b64 s[22:23], s[22:23], s[20:21]
	v_cvt_f32_u32_e32 v3, s22
	v_cvt_f32_u32_e32 v5, s23
	s_sub_u32 s0, 0, s22
	s_subb_u32 s55, 0, s23
	s_delay_alu instid0(VALU_DEP_1) | instskip(NEXT) | instid1(VALU_DEP_1)
	v_fmac_f32_e32 v3, 0x4f800000, v5
	v_rcp_f32_e32 v3, v3
	s_waitcnt_depctr 0xfff
	v_mul_f32_e32 v3, 0x5f7ffffc, v3
	s_delay_alu instid0(VALU_DEP_1) | instskip(NEXT) | instid1(VALU_DEP_1)
	v_mul_f32_e32 v5, 0x2f800000, v3
	v_trunc_f32_e32 v5, v5
	s_delay_alu instid0(VALU_DEP_1) | instskip(SKIP_1) | instid1(VALU_DEP_2)
	v_fmac_f32_e32 v3, 0xcf800000, v5
	v_cvt_u32_f32_e32 v5, v5
	v_cvt_u32_f32_e32 v3, v3
	s_delay_alu instid0(VALU_DEP_2) | instskip(NEXT) | instid1(VALU_DEP_2)
	v_mul_lo_u32 v8, s0, v5
	v_mul_hi_u32 v10, s0, v3
	v_mul_lo_u32 v12, s55, v3
	s_delay_alu instid0(VALU_DEP_2) | instskip(SKIP_1) | instid1(VALU_DEP_2)
	v_add_nc_u32_e32 v8, v10, v8
	v_mul_lo_u32 v10, s0, v3
	v_add_nc_u32_e32 v8, v8, v12
	s_delay_alu instid0(VALU_DEP_2) | instskip(NEXT) | instid1(VALU_DEP_2)
	v_mul_hi_u32 v12, v3, v10
	v_mul_lo_u32 v14, v3, v8
	v_mul_hi_u32 v16, v3, v8
	v_mul_hi_u32 v18, v5, v10
	v_mul_lo_u32 v10, v5, v10
	v_mul_hi_u32 v20, v5, v8
	v_mul_lo_u32 v8, v5, v8
	v_add_co_u32 v12, vcc_lo, v12, v14
	v_add_co_ci_u32_e32 v14, vcc_lo, 0, v16, vcc_lo
	s_delay_alu instid0(VALU_DEP_2) | instskip(NEXT) | instid1(VALU_DEP_2)
	v_add_co_u32 v10, vcc_lo, v12, v10
	v_add_co_ci_u32_e32 v10, vcc_lo, v14, v18, vcc_lo
	v_add_co_ci_u32_e32 v12, vcc_lo, 0, v20, vcc_lo
	v_ashrrev_i32_e32 v18, 31, v22
	s_delay_alu instid0(VALU_DEP_3) | instskip(NEXT) | instid1(VALU_DEP_3)
	v_add_co_u32 v8, vcc_lo, v10, v8
	v_add_co_ci_u32_e32 v10, vcc_lo, 0, v12, vcc_lo
	s_delay_alu instid0(VALU_DEP_2) | instskip(NEXT) | instid1(VALU_DEP_2)
	v_add_co_u32 v3, vcc_lo, v3, v8
	v_add_co_ci_u32_e32 v5, vcc_lo, v5, v10, vcc_lo
	s_delay_alu instid0(VALU_DEP_2) | instskip(SKIP_1) | instid1(VALU_DEP_3)
	v_mul_hi_u32 v8, s0, v3
	v_mul_lo_u32 v12, s55, v3
	v_mul_lo_u32 v10, s0, v5
	s_delay_alu instid0(VALU_DEP_1) | instskip(SKIP_1) | instid1(VALU_DEP_2)
	v_add_nc_u32_e32 v8, v8, v10
	v_mul_lo_u32 v10, s0, v3
	v_add_nc_u32_e32 v8, v8, v12
	s_delay_alu instid0(VALU_DEP_2) | instskip(NEXT) | instid1(VALU_DEP_2)
	v_mul_hi_u32 v12, v3, v10
	v_mul_lo_u32 v14, v3, v8
	v_mul_hi_u32 v16, v3, v8
	v_mul_hi_u32 v20, v5, v10
	v_mul_lo_u32 v10, v5, v10
	v_mul_hi_u32 v23, v5, v8
	v_mul_lo_u32 v8, v5, v8
	v_add_co_u32 v12, vcc_lo, v12, v14
	v_add_co_ci_u32_e32 v14, vcc_lo, 0, v16, vcc_lo
	s_delay_alu instid0(VALU_DEP_2) | instskip(NEXT) | instid1(VALU_DEP_2)
	v_add_co_u32 v10, vcc_lo, v12, v10
	v_add_co_ci_u32_e32 v10, vcc_lo, v14, v20, vcc_lo
	v_add_co_ci_u32_e32 v12, vcc_lo, 0, v23, vcc_lo
	v_add_co_u32 v14, vcc_lo, v21, v18
	v_add_co_ci_u32_e32 v16, vcc_lo, v22, v18, vcc_lo
	s_delay_alu instid0(VALU_DEP_4) | instskip(NEXT) | instid1(VALU_DEP_4)
	v_add_co_u32 v8, vcc_lo, v10, v8
	v_add_co_ci_u32_e32 v10, vcc_lo, 0, v12, vcc_lo
	s_delay_alu instid0(VALU_DEP_4) | instskip(NEXT) | instid1(VALU_DEP_3)
	v_xor_b32_e32 v12, v14, v18
	v_add_co_u32 v3, vcc_lo, v3, v8
	s_delay_alu instid0(VALU_DEP_3) | instskip(SKIP_1) | instid1(VALU_DEP_3)
	v_add_co_ci_u32_e32 v5, vcc_lo, v5, v10, vcc_lo
	v_xor_b32_e32 v8, v16, v18
	v_mul_hi_u32 v10, v12, v3
	s_delay_alu instid0(VALU_DEP_3) | instskip(NEXT) | instid1(VALU_DEP_3)
	v_mad_u64_u32 v[22:23], null, v12, v5, 0
	v_mad_u64_u32 v[28:29], null, v8, v3, 0
	;; [unrolled: 1-line block ×3, first 2 shown]
	s_delay_alu instid0(VALU_DEP_3) | instskip(NEXT) | instid1(VALU_DEP_4)
	v_add_co_u32 v3, vcc_lo, v10, v22
	v_add_co_ci_u32_e32 v5, vcc_lo, 0, v23, vcc_lo
	s_delay_alu instid0(VALU_DEP_2) | instskip(NEXT) | instid1(VALU_DEP_2)
	v_add_co_u32 v3, vcc_lo, v3, v28
	v_add_co_ci_u32_e32 v3, vcc_lo, v5, v29, vcc_lo
	v_add_co_ci_u32_e32 v5, vcc_lo, 0, v31, vcc_lo
	s_delay_alu instid0(VALU_DEP_2) | instskip(NEXT) | instid1(VALU_DEP_2)
	v_add_co_u32 v3, vcc_lo, v3, v30
	v_add_co_ci_u32_e32 v5, vcc_lo, 0, v5, vcc_lo
	s_delay_alu instid0(VALU_DEP_2) | instskip(SKIP_1) | instid1(VALU_DEP_3)
	v_mul_lo_u32 v10, s23, v3
	v_mad_u64_u32 v[22:23], null, s22, v3, 0
	v_mul_lo_u32 v14, s22, v5
	s_delay_alu instid0(VALU_DEP_2) | instskip(NEXT) | instid1(VALU_DEP_2)
	v_sub_co_u32 v12, vcc_lo, v12, v22
	v_add3_u32 v10, v23, v14, v10
	s_delay_alu instid0(VALU_DEP_1) | instskip(NEXT) | instid1(VALU_DEP_1)
	v_sub_nc_u32_e32 v14, v8, v10
	v_subrev_co_ci_u32_e64 v14, s0, s23, v14, vcc_lo
	v_add_co_u32 v16, s0, v3, 2
	s_delay_alu instid0(VALU_DEP_1) | instskip(SKIP_3) | instid1(VALU_DEP_3)
	v_add_co_ci_u32_e64 v20, s0, 0, v5, s0
	v_sub_co_u32 v22, s0, v12, s22
	v_sub_co_ci_u32_e32 v8, vcc_lo, v8, v10, vcc_lo
	v_subrev_co_ci_u32_e64 v14, s0, 0, v14, s0
	v_cmp_le_u32_e32 vcc_lo, s22, v22
	s_delay_alu instid0(VALU_DEP_3) | instskip(SKIP_1) | instid1(VALU_DEP_4)
	v_cmp_eq_u32_e64 s0, s23, v8
	v_cndmask_b32_e64 v10, 0, -1, vcc_lo
	v_cmp_le_u32_e32 vcc_lo, s23, v14
	v_cndmask_b32_e64 v22, 0, -1, vcc_lo
	v_cmp_le_u32_e32 vcc_lo, s22, v12
	;; [unrolled: 2-line block ×3, first 2 shown]
	v_cndmask_b32_e64 v23, 0, -1, vcc_lo
	v_cmp_eq_u32_e32 vcc_lo, s23, v14
	s_delay_alu instid0(VALU_DEP_2) | instskip(SKIP_3) | instid1(VALU_DEP_3)
	v_cndmask_b32_e64 v8, v23, v12, s0
	v_cndmask_b32_e32 v10, v22, v10, vcc_lo
	v_add_co_u32 v14, vcc_lo, v3, 1
	v_add_co_ci_u32_e32 v22, vcc_lo, 0, v5, vcc_lo
	v_cmp_ne_u32_e32 vcc_lo, 0, v10
	s_delay_alu instid0(VALU_DEP_2) | instskip(NEXT) | instid1(VALU_DEP_4)
	v_cndmask_b32_e32 v10, v22, v20, vcc_lo
	v_cndmask_b32_e32 v12, v14, v16, vcc_lo
	v_cmp_ne_u32_e32 vcc_lo, 0, v8
	v_xor_b32_e32 v8, s20, v18
	s_delay_alu instid0(VALU_DEP_4) | instskip(NEXT) | instid1(VALU_DEP_4)
	v_cndmask_b32_e32 v5, v5, v10, vcc_lo
	v_cndmask_b32_e32 v3, v3, v12, vcc_lo
	v_xor_b32_e32 v10, s21, v18
	s_delay_alu instid0(VALU_DEP_2) | instskip(NEXT) | instid1(VALU_DEP_2)
	v_xor_b32_e32 v3, v3, v8
	v_xor_b32_e32 v5, v5, v10
	s_delay_alu instid0(VALU_DEP_2) | instskip(NEXT) | instid1(VALU_DEP_2)
	v_sub_co_u32 v23, vcc_lo, v3, v8
	v_sub_co_ci_u32_e32 v24, vcc_lo, v5, v10, vcc_lo
.LBB20_54:                              ;   in Loop: Header=BB20_24 Depth=2
	s_and_not1_saveexec_b32 s0, s54
	s_cbranch_execz .LBB20_56
; %bb.55:                               ;   in Loop: Header=BB20_24 Depth=2
	v_cvt_f32_u32_e32 v3, s53
	s_sub_i32 s20, 0, s53
	v_mov_b32_e32 v24, v2
	s_delay_alu instid0(VALU_DEP_2) | instskip(SKIP_2) | instid1(VALU_DEP_1)
	v_rcp_iflag_f32_e32 v3, v3
	s_waitcnt_depctr 0xfff
	v_mul_f32_e32 v3, 0x4f7ffffe, v3
	v_cvt_u32_f32_e32 v3, v3
	s_delay_alu instid0(VALU_DEP_1) | instskip(NEXT) | instid1(VALU_DEP_1)
	v_mul_lo_u32 v5, s20, v3
	v_mul_hi_u32 v5, v3, v5
	s_delay_alu instid0(VALU_DEP_1) | instskip(NEXT) | instid1(VALU_DEP_1)
	v_add_nc_u32_e32 v3, v3, v5
	v_mul_hi_u32 v3, v21, v3
	s_delay_alu instid0(VALU_DEP_1) | instskip(NEXT) | instid1(VALU_DEP_1)
	v_mul_lo_u32 v5, v3, s53
	v_sub_nc_u32_e32 v5, v21, v5
	s_delay_alu instid0(VALU_DEP_1) | instskip(SKIP_1) | instid1(VALU_DEP_2)
	v_subrev_nc_u32_e32 v10, s53, v5
	v_cmp_le_u32_e32 vcc_lo, s53, v5
	v_dual_cndmask_b32 v5, v5, v10 :: v_dual_add_nc_u32 v8, 1, v3
	s_delay_alu instid0(VALU_DEP_1) | instskip(NEXT) | instid1(VALU_DEP_2)
	v_cndmask_b32_e32 v3, v3, v8, vcc_lo
	v_cmp_le_u32_e32 vcc_lo, s53, v5
	s_delay_alu instid0(VALU_DEP_2) | instskip(NEXT) | instid1(VALU_DEP_1)
	v_add_nc_u32_e32 v8, 1, v3
	v_cndmask_b32_e32 v23, v3, v8, vcc_lo
.LBB20_56:                              ;   in Loop: Header=BB20_24 Depth=2
	s_or_b32 exec_lo, exec_lo, s0
	v_mul_lo_u32 v3, v9, s41
	v_mul_lo_u32 v5, v11, s43
	;; [unrolled: 1-line block ×4, first 2 shown]
	s_add_u32 s18, s30, s18
	s_addc_u32 s19, s1, s19
	v_mul_lo_u32 v12, v17, s49
	s_load_b32 s0, s[18:19], 0x0
	v_sub_nc_u32_e32 v3, v7, v3
	v_sub_nc_u32_e32 v5, v9, v5
	v_mul_lo_u32 v7, v19, s51
	v_sub_nc_u32_e32 v8, v11, v8
	v_sub_nc_u32_e32 v10, v13, v10
	v_mul_lo_u32 v3, s42, v3
	v_mul_lo_u32 v5, s44, v5
	v_mul_lo_u32 v9, v21, s52
	v_mul_lo_u32 v11, v23, s53
	v_sub_nc_u32_e32 v12, v15, v12
	v_sub_nc_u32_e32 v7, v17, v7
	v_mul_lo_u32 v8, s46, v8
	v_mul_lo_u32 v10, s48, v10
	s_add_i32 s16, s16, -8
	v_add3_u32 v3, v3, v4, v5
	v_mul_lo_u32 v4, s50, v12
	v_sub_nc_u32_e32 v5, v19, v9
	v_sub_nc_u32_e32 v9, v21, v11
	v_mul_lo_u32 v7, s14, v7
	s_cmp_eq_u32 s16, -8
	v_add3_u32 v3, v8, v3, v10
	v_mul_lo_u32 v5, s17, v5
	s_waitcnt lgkmcnt(0)
	v_mul_lo_u32 v8, s0, v9
	s_delay_alu instid0(VALU_DEP_3) | instskip(NEXT) | instid1(VALU_DEP_1)
	v_add3_u32 v3, v4, v3, v7
	v_add3_u32 v4, v5, v3, v8
	s_cbranch_scc1 .LBB20_58
; %bb.57:                               ;   in Loop: Header=BB20_24 Depth=2
	v_dual_mov_b32 v7, v23 :: v_dual_mov_b32 v8, v24
	s_branch .LBB20_24
.LBB20_58:                              ;   in Loop: Header=BB20_3 Depth=1
	s_load_b32 s0, s[12:13], 0x0
	s_waitcnt lgkmcnt(0)
	v_cmp_gt_i32_e32 vcc_lo, s0, v27
	s_and_b32 exec_lo, exec_lo, vcc_lo
	s_cbranch_execz .LBB20_2
; %bb.59:                               ;   in Loop: Header=BB20_3 Depth=1
	v_ashrrev_i32_e32 v7, 31, v6
	s_mov_b32 s14, exec_lo
	s_delay_alu instid0(VALU_DEP_1)
	v_cmpx_lt_i64_e64 s[4:5], v[6:7]
	s_cbranch_execz .LBB20_61
; %bb.60:                               ;   in Loop: Header=BB20_3 Depth=1
	v_ashrrev_i32_e32 v5, 31, v4
	v_mov_b32_e32 v3, v2
	s_delay_alu instid0(VALU_DEP_2) | instskip(NEXT) | instid1(VALU_DEP_1)
	v_lshlrev_b64 v[5:6], 3, v[4:5]
	v_add_co_u32 v5, vcc_lo, s2, v5
	s_delay_alu instid0(VALU_DEP_2)
	v_add_co_ci_u32_e32 v6, vcc_lo, s3, v6, vcc_lo
	global_store_b64 v[5:6], v[2:3], off
.LBB20_61:                              ;   in Loop: Header=BB20_3 Depth=1
	s_or_b32 exec_lo, exec_lo, s14
	v_add_nc_u32_e32 v3, 1, v27
	s_delay_alu instid0(VALU_DEP_1)
	v_cmp_gt_i32_e32 vcc_lo, s0, v3
	s_and_b32 exec_lo, exec_lo, vcc_lo
	s_cbranch_execz .LBB20_2
; %bb.62:                               ;   in Loop: Header=BB20_3 Depth=1
	v_sub_nc_u32_e32 v5, v3, v26
	s_delay_alu instid0(VALU_DEP_1) | instskip(NEXT) | instid1(VALU_DEP_1)
	v_ashrrev_i32_e32 v6, 31, v5
	v_cmp_lt_i64_e32 vcc_lo, s[4:5], v[5:6]
	s_and_b32 exec_lo, exec_lo, vcc_lo
	s_cbranch_execz .LBB20_2
; %bb.63:                               ;   in Loop: Header=BB20_3 Depth=1
	v_add_nc_u32_e32 v3, s40, v4
	s_delay_alu instid0(VALU_DEP_1) | instskip(NEXT) | instid1(VALU_DEP_1)
	v_ashrrev_i32_e32 v4, 31, v3
	v_lshlrev_b64 v[3:4], 3, v[3:4]
	s_delay_alu instid0(VALU_DEP_1) | instskip(NEXT) | instid1(VALU_DEP_2)
	v_add_co_u32 v5, vcc_lo, s2, v3
	v_add_co_ci_u32_e32 v6, vcc_lo, s3, v4, vcc_lo
	v_mov_b32_e32 v3, v2
	global_store_b64 v[5:6], v[2:3], off
	s_branch .LBB20_2
.LBB20_64:
	s_nop 0
	s_sendmsg sendmsg(MSG_DEALLOC_VGPRS)
	s_endpgm
	.section	.rodata,"a",@progbits
	.p2align	6, 0x0
	.amdhsa_kernel _ZN2at6native16triu_tril_kernelIdiLb0ELi2ELb1EEEvNS_4cuda6detail10TensorInfoIT_T0_EENS4_IKS5_S6_EEllS6_
		.amdhsa_group_segment_fixed_size 0
		.amdhsa_private_segment_fixed_size 0
		.amdhsa_kernarg_size 712
		.amdhsa_user_sgpr_count 15
		.amdhsa_user_sgpr_dispatch_ptr 0
		.amdhsa_user_sgpr_queue_ptr 0
		.amdhsa_user_sgpr_kernarg_segment_ptr 1
		.amdhsa_user_sgpr_dispatch_id 0
		.amdhsa_user_sgpr_private_segment_size 0
		.amdhsa_wavefront_size32 1
		.amdhsa_uses_dynamic_stack 0
		.amdhsa_enable_private_segment 0
		.amdhsa_system_sgpr_workgroup_id_x 1
		.amdhsa_system_sgpr_workgroup_id_y 0
		.amdhsa_system_sgpr_workgroup_id_z 0
		.amdhsa_system_sgpr_workgroup_info 0
		.amdhsa_system_vgpr_workitem_id 0
		.amdhsa_next_free_vgpr 32
		.amdhsa_next_free_sgpr 56
		.amdhsa_reserve_vcc 1
		.amdhsa_float_round_mode_32 0
		.amdhsa_float_round_mode_16_64 0
		.amdhsa_float_denorm_mode_32 3
		.amdhsa_float_denorm_mode_16_64 3
		.amdhsa_dx10_clamp 1
		.amdhsa_ieee_mode 1
		.amdhsa_fp16_overflow 0
		.amdhsa_workgroup_processor_mode 1
		.amdhsa_memory_ordered 1
		.amdhsa_forward_progress 0
		.amdhsa_shared_vgpr_count 0
		.amdhsa_exception_fp_ieee_invalid_op 0
		.amdhsa_exception_fp_denorm_src 0
		.amdhsa_exception_fp_ieee_div_zero 0
		.amdhsa_exception_fp_ieee_overflow 0
		.amdhsa_exception_fp_ieee_underflow 0
		.amdhsa_exception_fp_ieee_inexact 0
		.amdhsa_exception_int_div_zero 0
	.end_amdhsa_kernel
	.section	.text._ZN2at6native16triu_tril_kernelIdiLb0ELi2ELb1EEEvNS_4cuda6detail10TensorInfoIT_T0_EENS4_IKS5_S6_EEllS6_,"axG",@progbits,_ZN2at6native16triu_tril_kernelIdiLb0ELi2ELb1EEEvNS_4cuda6detail10TensorInfoIT_T0_EENS4_IKS5_S6_EEllS6_,comdat
.Lfunc_end20:
	.size	_ZN2at6native16triu_tril_kernelIdiLb0ELi2ELb1EEEvNS_4cuda6detail10TensorInfoIT_T0_EENS4_IKS5_S6_EEllS6_, .Lfunc_end20-_ZN2at6native16triu_tril_kernelIdiLb0ELi2ELb1EEEvNS_4cuda6detail10TensorInfoIT_T0_EENS4_IKS5_S6_EEllS6_
                                        ; -- End function
	.section	.AMDGPU.csdata,"",@progbits
; Kernel info:
; codeLenInByte = 12424
; NumSgprs: 58
; NumVgprs: 32
; ScratchSize: 0
; MemoryBound: 0
; FloatMode: 240
; IeeeMode: 1
; LDSByteSize: 0 bytes/workgroup (compile time only)
; SGPRBlocks: 7
; VGPRBlocks: 3
; NumSGPRsForWavesPerEU: 58
; NumVGPRsForWavesPerEU: 32
; Occupancy: 16
; WaveLimiterHint : 0
; COMPUTE_PGM_RSRC2:SCRATCH_EN: 0
; COMPUTE_PGM_RSRC2:USER_SGPR: 15
; COMPUTE_PGM_RSRC2:TRAP_HANDLER: 0
; COMPUTE_PGM_RSRC2:TGID_X_EN: 1
; COMPUTE_PGM_RSRC2:TGID_Y_EN: 0
; COMPUTE_PGM_RSRC2:TGID_Z_EN: 0
; COMPUTE_PGM_RSRC2:TIDIG_COMP_CNT: 0
	.section	.text._ZN2at6native16triu_tril_kernelIdiLb0ELi2ELb0EEEvNS_4cuda6detail10TensorInfoIT_T0_EENS4_IKS5_S6_EEllS6_,"axG",@progbits,_ZN2at6native16triu_tril_kernelIdiLb0ELi2ELb0EEEvNS_4cuda6detail10TensorInfoIT_T0_EENS4_IKS5_S6_EEllS6_,comdat
	.protected	_ZN2at6native16triu_tril_kernelIdiLb0ELi2ELb0EEEvNS_4cuda6detail10TensorInfoIT_T0_EENS4_IKS5_S6_EEllS6_ ; -- Begin function _ZN2at6native16triu_tril_kernelIdiLb0ELi2ELb0EEEvNS_4cuda6detail10TensorInfoIT_T0_EENS4_IKS5_S6_EEllS6_
	.globl	_ZN2at6native16triu_tril_kernelIdiLb0ELi2ELb0EEEvNS_4cuda6detail10TensorInfoIT_T0_EENS4_IKS5_S6_EEllS6_
	.p2align	8
	.type	_ZN2at6native16triu_tril_kernelIdiLb0ELi2ELb0EEEvNS_4cuda6detail10TensorInfoIT_T0_EENS4_IKS5_S6_EEllS6_,@function
_ZN2at6native16triu_tril_kernelIdiLb0ELi2ELb0EEEvNS_4cuda6detail10TensorInfoIT_T0_EENS4_IKS5_S6_EEllS6_: ; @_ZN2at6native16triu_tril_kernelIdiLb0ELi2ELb0EEEvNS_4cuda6detail10TensorInfoIT_T0_EENS4_IKS5_S6_EEllS6_
; %bb.0:
	s_clause 0x1
	s_load_b32 s2, s[0:1], 0x1d4
	s_load_b128 s[4:7], s[0:1], 0x1b0
	v_mov_b32_e32 v2, 0
	s_add_u32 s8, s0, 0x1c8
	s_addc_u32 s9, s1, 0
	s_delay_alu instid0(VALU_DEP_1) | instskip(SKIP_3) | instid1(VALU_DEP_1)
	v_mov_b32_e32 v1, v2
	s_waitcnt lgkmcnt(0)
	s_and_b32 s10, s2, 0xffff
	s_mov_b32 s2, exec_lo
	v_mad_u64_u32 v[3:4], null, s10, s15, v[0:1]
	s_delay_alu instid0(VALU_DEP_1) | instskip(NEXT) | instid1(VALU_DEP_1)
	v_lshlrev_b64 v[0:1], 1, v[3:4]
	v_cmpx_gt_i64_e64 s[6:7], v[0:1]
	s_cbranch_execz .LBB21_49
; %bb.1:
	s_clause 0x1
	s_load_b32 s16, s[0:1], 0x1a8
	s_load_b32 s30, s[0:1], 0x1c0
	s_add_u32 s31, s0, 0xd8
	s_addc_u32 s33, s1, 0
	s_load_b32 s11, s[8:9], 0x0
	s_load_b64 s[2:3], s[0:1], 0xd8
	s_waitcnt lgkmcnt(0)
	s_ashr_i32 s17, s16, 31
	s_ashr_i32 s34, s30, 31
	s_lshl_b64 s[8:9], s[16:17], 2
	v_cvt_f32_u32_e32 v3, s30
	s_add_u32 s14, s8, -8
	s_addc_u32 s15, s9, -1
	s_add_u32 s12, s31, s14
	s_addc_u32 s13, s33, s15
	v_rcp_iflag_f32_e32 v3, v3
	s_load_b64 s[8:9], s[12:13], 0x8
	s_mul_i32 s18, s11, s10
	s_load_b64 s[10:11], s[12:13], 0x6c
	s_waitcnt_depctr 0xfff
	v_mul_f32_e32 v3, 0x4f7ffffe, v3
	s_delay_alu instid0(VALU_DEP_1)
	v_cvt_u32_f32_e32 v3, v3
	s_waitcnt lgkmcnt(0)
	s_ashr_i32 s35, s8, 31
	s_add_u32 s36, s0, 0x6c
	s_addc_u32 s37, s1, 0
	s_add_u32 s12, s36, s14
	s_addc_u32 s13, s37, s15
	s_and_b32 s39, s16, 3
	s_add_i32 s38, s16, -3
	s_lshl_b32 s40, s18, 1
	s_cmp_lg_u32 s39, 2
	s_load_b64 s[12:13], s[12:13], 0x0
	s_cselect_b32 s41, -1, 0
	s_cmp_gt_u32 s38, 2
	s_mov_b32 s18, s11
	s_cselect_b32 s42, -1, 0
	s_sub_i32 s14, 0, s30
	s_ashr_i32 s19, s11, 31
	v_mul_lo_u32 v4, s14, v3
	s_load_b64 s[14:15], s[0:1], 0x0
	v_cmp_gt_i64_e64 s1, s[16:17], 2
	s_mov_b32 s17, 0
	s_mov_b32 s11, 0
	s_delay_alu instid0(VALU_DEP_2) | instskip(SKIP_3) | instid1(VALU_DEP_1)
	v_mul_hi_u32 v4, v3, v4
	s_waitcnt lgkmcnt(0)
	s_ashr_i32 s21, s13, 31
	s_mov_b32 s20, s13
	v_add_nc_u32_e32 v18, v3, v4
	s_branch .LBB21_3
.LBB21_2:                               ;   in Loop: Header=BB21_3 Depth=1
	s_or_b32 exec_lo, exec_lo, s0
	v_add_co_u32 v0, vcc_lo, v0, s40
	v_add_co_ci_u32_e32 v1, vcc_lo, 0, v1, vcc_lo
	s_delay_alu instid0(VALU_DEP_1) | instskip(SKIP_1) | instid1(SALU_CYCLE_1)
	v_cmp_le_i64_e32 vcc_lo, s[6:7], v[0:1]
	s_or_b32 s11, vcc_lo, s11
	s_and_not1_b32 exec_lo, exec_lo, s11
	s_cbranch_execz .LBB21_49
.LBB21_3:                               ; =>This Loop Header: Depth=1
                                        ;     Child Loop BB21_14 Depth 2
                                        ;     Child Loop BB21_22 Depth 2
	v_or_b32_e32 v3, s34, v1
                                        ; implicit-def: $vgpr4_vgpr5
	s_mov_b32 s0, exec_lo
	s_delay_alu instid0(VALU_DEP_1)
	v_cmpx_ne_u64_e32 0, v[2:3]
	s_xor_b32 s13, exec_lo, s0
	s_cbranch_execz .LBB21_5
; %bb.4:                                ;   in Loop: Header=BB21_3 Depth=1
	s_add_u32 s24, s30, s34
	s_mov_b32 s22, s34
	s_mov_b32 s23, s34
	s_addc_u32 s25, s34, s34
	s_delay_alu instid0(SALU_CYCLE_1) | instskip(NEXT) | instid1(SALU_CYCLE_1)
	s_xor_b64 s[24:25], s[24:25], s[22:23]
	v_cvt_f32_u32_e32 v3, s24
	v_cvt_f32_u32_e32 v4, s25
	s_sub_u32 s0, 0, s24
	s_subb_u32 s16, 0, s25
	s_delay_alu instid0(VALU_DEP_1) | instskip(NEXT) | instid1(VALU_DEP_1)
	v_fmac_f32_e32 v3, 0x4f800000, v4
	v_rcp_f32_e32 v3, v3
	s_waitcnt_depctr 0xfff
	v_mul_f32_e32 v3, 0x5f7ffffc, v3
	s_delay_alu instid0(VALU_DEP_1) | instskip(NEXT) | instid1(VALU_DEP_1)
	v_mul_f32_e32 v4, 0x2f800000, v3
	v_trunc_f32_e32 v4, v4
	s_delay_alu instid0(VALU_DEP_1) | instskip(SKIP_1) | instid1(VALU_DEP_2)
	v_fmac_f32_e32 v3, 0xcf800000, v4
	v_cvt_u32_f32_e32 v4, v4
	v_cvt_u32_f32_e32 v3, v3
	s_delay_alu instid0(VALU_DEP_2) | instskip(NEXT) | instid1(VALU_DEP_2)
	v_mul_lo_u32 v5, s0, v4
	v_mul_hi_u32 v6, s0, v3
	v_mul_lo_u32 v7, s16, v3
	s_delay_alu instid0(VALU_DEP_2) | instskip(SKIP_1) | instid1(VALU_DEP_2)
	v_add_nc_u32_e32 v5, v6, v5
	v_mul_lo_u32 v6, s0, v3
	v_add_nc_u32_e32 v5, v5, v7
	s_delay_alu instid0(VALU_DEP_2) | instskip(NEXT) | instid1(VALU_DEP_2)
	v_mul_hi_u32 v7, v3, v6
	v_mul_lo_u32 v8, v3, v5
	v_mul_hi_u32 v9, v3, v5
	v_mul_hi_u32 v10, v4, v6
	v_mul_lo_u32 v6, v4, v6
	v_mul_hi_u32 v11, v4, v5
	v_mul_lo_u32 v5, v4, v5
	v_add_co_u32 v7, vcc_lo, v7, v8
	v_add_co_ci_u32_e32 v8, vcc_lo, 0, v9, vcc_lo
	s_delay_alu instid0(VALU_DEP_2) | instskip(NEXT) | instid1(VALU_DEP_2)
	v_add_co_u32 v6, vcc_lo, v7, v6
	v_add_co_ci_u32_e32 v6, vcc_lo, v8, v10, vcc_lo
	v_add_co_ci_u32_e32 v7, vcc_lo, 0, v11, vcc_lo
	v_ashrrev_i32_e32 v10, 31, v1
	s_delay_alu instid0(VALU_DEP_3) | instskip(NEXT) | instid1(VALU_DEP_3)
	v_add_co_u32 v5, vcc_lo, v6, v5
	v_add_co_ci_u32_e32 v6, vcc_lo, 0, v7, vcc_lo
	s_delay_alu instid0(VALU_DEP_2) | instskip(NEXT) | instid1(VALU_DEP_2)
	v_add_co_u32 v3, vcc_lo, v3, v5
	v_add_co_ci_u32_e32 v4, vcc_lo, v4, v6, vcc_lo
	s_delay_alu instid0(VALU_DEP_2) | instskip(SKIP_1) | instid1(VALU_DEP_3)
	v_mul_hi_u32 v5, s0, v3
	v_mul_lo_u32 v7, s16, v3
	v_mul_lo_u32 v6, s0, v4
	s_delay_alu instid0(VALU_DEP_1) | instskip(SKIP_1) | instid1(VALU_DEP_2)
	v_add_nc_u32_e32 v5, v5, v6
	v_mul_lo_u32 v6, s0, v3
	v_add_nc_u32_e32 v5, v5, v7
	s_delay_alu instid0(VALU_DEP_2) | instskip(NEXT) | instid1(VALU_DEP_2)
	v_mul_hi_u32 v7, v3, v6
	v_mul_lo_u32 v8, v3, v5
	v_mul_hi_u32 v9, v3, v5
	v_mul_hi_u32 v11, v4, v6
	v_mul_lo_u32 v6, v4, v6
	v_mul_hi_u32 v12, v4, v5
	v_mul_lo_u32 v5, v4, v5
	v_add_co_u32 v7, vcc_lo, v7, v8
	v_add_co_ci_u32_e32 v8, vcc_lo, 0, v9, vcc_lo
	s_delay_alu instid0(VALU_DEP_2) | instskip(NEXT) | instid1(VALU_DEP_2)
	v_add_co_u32 v6, vcc_lo, v7, v6
	v_add_co_ci_u32_e32 v6, vcc_lo, v8, v11, vcc_lo
	v_add_co_ci_u32_e32 v7, vcc_lo, 0, v12, vcc_lo
	v_add_co_u32 v8, vcc_lo, v0, v10
	v_add_co_ci_u32_e32 v9, vcc_lo, v1, v10, vcc_lo
	s_delay_alu instid0(VALU_DEP_4) | instskip(NEXT) | instid1(VALU_DEP_4)
	v_add_co_u32 v5, vcc_lo, v6, v5
	v_add_co_ci_u32_e32 v6, vcc_lo, 0, v7, vcc_lo
	s_delay_alu instid0(VALU_DEP_4) | instskip(NEXT) | instid1(VALU_DEP_3)
	v_xor_b32_e32 v11, v8, v10
	v_add_co_u32 v7, vcc_lo, v3, v5
	s_delay_alu instid0(VALU_DEP_3) | instskip(SKIP_1) | instid1(VALU_DEP_3)
	v_add_co_ci_u32_e32 v12, vcc_lo, v4, v6, vcc_lo
	v_xor_b32_e32 v9, v9, v10
	v_mul_hi_u32 v13, v11, v7
	s_delay_alu instid0(VALU_DEP_3) | instskip(NEXT) | instid1(VALU_DEP_3)
	v_mad_u64_u32 v[3:4], null, v11, v12, 0
	v_mad_u64_u32 v[5:6], null, v9, v7, 0
	;; [unrolled: 1-line block ×3, first 2 shown]
	s_delay_alu instid0(VALU_DEP_3) | instskip(NEXT) | instid1(VALU_DEP_4)
	v_add_co_u32 v3, vcc_lo, v13, v3
	v_add_co_ci_u32_e32 v4, vcc_lo, 0, v4, vcc_lo
	s_delay_alu instid0(VALU_DEP_2) | instskip(NEXT) | instid1(VALU_DEP_2)
	v_add_co_u32 v3, vcc_lo, v3, v5
	v_add_co_ci_u32_e32 v3, vcc_lo, v4, v6, vcc_lo
	v_add_co_ci_u32_e32 v4, vcc_lo, 0, v8, vcc_lo
	s_delay_alu instid0(VALU_DEP_2) | instskip(NEXT) | instid1(VALU_DEP_2)
	v_add_co_u32 v5, vcc_lo, v3, v7
	v_add_co_ci_u32_e32 v6, vcc_lo, 0, v4, vcc_lo
	s_delay_alu instid0(VALU_DEP_2) | instskip(SKIP_1) | instid1(VALU_DEP_3)
	v_mul_lo_u32 v7, s25, v5
	v_mad_u64_u32 v[3:4], null, s24, v5, 0
	v_mul_lo_u32 v8, s24, v6
	s_delay_alu instid0(VALU_DEP_2) | instskip(NEXT) | instid1(VALU_DEP_2)
	v_sub_co_u32 v3, vcc_lo, v11, v3
	v_add3_u32 v4, v4, v8, v7
	s_delay_alu instid0(VALU_DEP_1) | instskip(NEXT) | instid1(VALU_DEP_1)
	v_sub_nc_u32_e32 v7, v9, v4
	v_subrev_co_ci_u32_e64 v7, s0, s25, v7, vcc_lo
	v_add_co_u32 v8, s0, v5, 2
	s_delay_alu instid0(VALU_DEP_1) | instskip(SKIP_3) | instid1(VALU_DEP_3)
	v_add_co_ci_u32_e64 v11, s0, 0, v6, s0
	v_sub_co_u32 v12, s0, v3, s24
	v_sub_co_ci_u32_e32 v4, vcc_lo, v9, v4, vcc_lo
	v_subrev_co_ci_u32_e64 v7, s0, 0, v7, s0
	v_cmp_le_u32_e32 vcc_lo, s24, v12
	s_delay_alu instid0(VALU_DEP_3) | instskip(SKIP_1) | instid1(VALU_DEP_4)
	v_cmp_eq_u32_e64 s0, s25, v4
	v_cndmask_b32_e64 v9, 0, -1, vcc_lo
	v_cmp_le_u32_e32 vcc_lo, s25, v7
	v_cndmask_b32_e64 v12, 0, -1, vcc_lo
	v_cmp_le_u32_e32 vcc_lo, s24, v3
	;; [unrolled: 2-line block ×3, first 2 shown]
	v_cndmask_b32_e64 v13, 0, -1, vcc_lo
	v_cmp_eq_u32_e32 vcc_lo, s25, v7
	s_delay_alu instid0(VALU_DEP_2) | instskip(SKIP_3) | instid1(VALU_DEP_3)
	v_cndmask_b32_e64 v3, v13, v3, s0
	v_cndmask_b32_e32 v7, v12, v9, vcc_lo
	v_add_co_u32 v9, vcc_lo, v5, 1
	v_add_co_ci_u32_e32 v12, vcc_lo, 0, v6, vcc_lo
	v_cmp_ne_u32_e32 vcc_lo, 0, v7
	s_delay_alu instid0(VALU_DEP_2) | instskip(SKIP_2) | instid1(VALU_DEP_3)
	v_dual_cndmask_b32 v4, v12, v11 :: v_dual_cndmask_b32 v7, v9, v8
	v_cmp_ne_u32_e32 vcc_lo, 0, v3
	v_xor_b32_e32 v3, s22, v10
	v_dual_cndmask_b32 v5, v5, v7 :: v_dual_cndmask_b32 v4, v6, v4
	v_xor_b32_e32 v6, s23, v10
	s_delay_alu instid0(VALU_DEP_2) | instskip(NEXT) | instid1(VALU_DEP_2)
	v_xor_b32_e32 v5, v5, v3
	v_xor_b32_e32 v7, v4, v6
	s_delay_alu instid0(VALU_DEP_2) | instskip(NEXT) | instid1(VALU_DEP_2)
	v_sub_co_u32 v4, vcc_lo, v5, v3
	v_sub_co_ci_u32_e32 v5, vcc_lo, v7, v6, vcc_lo
.LBB21_5:                               ;   in Loop: Header=BB21_3 Depth=1
	s_and_not1_saveexec_b32 s0, s13
; %bb.6:                                ;   in Loop: Header=BB21_3 Depth=1
	v_mul_hi_u32 v3, v0, v18
	s_delay_alu instid0(VALU_DEP_1) | instskip(NEXT) | instid1(VALU_DEP_1)
	v_mul_lo_u32 v4, v3, s30
	v_sub_nc_u32_e32 v4, v0, v4
	s_delay_alu instid0(VALU_DEP_1) | instskip(SKIP_1) | instid1(VALU_DEP_2)
	v_subrev_nc_u32_e32 v6, s30, v4
	v_cmp_le_u32_e32 vcc_lo, s30, v4
	v_dual_cndmask_b32 v4, v4, v6 :: v_dual_add_nc_u32 v5, 1, v3
	s_delay_alu instid0(VALU_DEP_1) | instskip(NEXT) | instid1(VALU_DEP_2)
	v_cndmask_b32_e32 v3, v3, v5, vcc_lo
	v_cmp_le_u32_e32 vcc_lo, s30, v4
	s_delay_alu instid0(VALU_DEP_2) | instskip(NEXT) | instid1(VALU_DEP_1)
	v_add_nc_u32_e32 v5, 1, v3
	v_dual_cndmask_b32 v4, v3, v5 :: v_dual_mov_b32 v5, v2
; %bb.7:                                ;   in Loop: Header=BB21_3 Depth=1
	s_or_b32 exec_lo, exec_lo, s0
	s_delay_alu instid0(VALU_DEP_1) | instskip(SKIP_1) | instid1(VALU_DEP_1)
	v_or_b32_e32 v3, s35, v5
                                        ; implicit-def: $vgpr8_vgpr9
	s_mov_b32 s0, exec_lo
	v_cmpx_ne_u64_e32 0, v[2:3]
	s_xor_b32 s13, exec_lo, s0
	s_cbranch_execz .LBB21_9
; %bb.8:                                ;   in Loop: Header=BB21_3 Depth=1
	s_add_u32 s24, s8, s35
	s_mov_b32 s22, s35
	s_mov_b32 s23, s35
	s_addc_u32 s25, s35, s35
	s_delay_alu instid0(SALU_CYCLE_1) | instskip(NEXT) | instid1(SALU_CYCLE_1)
	s_xor_b64 s[24:25], s[24:25], s[22:23]
	v_cvt_f32_u32_e32 v3, s24
	v_cvt_f32_u32_e32 v6, s25
	s_sub_u32 s0, 0, s24
	s_subb_u32 s16, 0, s25
	s_delay_alu instid0(VALU_DEP_1) | instskip(NEXT) | instid1(VALU_DEP_1)
	v_fmac_f32_e32 v3, 0x4f800000, v6
	v_rcp_f32_e32 v3, v3
	s_waitcnt_depctr 0xfff
	v_mul_f32_e32 v3, 0x5f7ffffc, v3
	s_delay_alu instid0(VALU_DEP_1) | instskip(NEXT) | instid1(VALU_DEP_1)
	v_mul_f32_e32 v6, 0x2f800000, v3
	v_trunc_f32_e32 v6, v6
	s_delay_alu instid0(VALU_DEP_1) | instskip(SKIP_1) | instid1(VALU_DEP_2)
	v_fmac_f32_e32 v3, 0xcf800000, v6
	v_cvt_u32_f32_e32 v6, v6
	v_cvt_u32_f32_e32 v3, v3
	s_delay_alu instid0(VALU_DEP_2) | instskip(NEXT) | instid1(VALU_DEP_2)
	v_mul_lo_u32 v7, s0, v6
	v_mul_hi_u32 v8, s0, v3
	v_mul_lo_u32 v9, s16, v3
	s_delay_alu instid0(VALU_DEP_2) | instskip(SKIP_1) | instid1(VALU_DEP_2)
	v_add_nc_u32_e32 v7, v8, v7
	v_mul_lo_u32 v8, s0, v3
	v_add_nc_u32_e32 v7, v7, v9
	s_delay_alu instid0(VALU_DEP_2) | instskip(NEXT) | instid1(VALU_DEP_2)
	v_mul_hi_u32 v9, v3, v8
	v_mul_lo_u32 v10, v3, v7
	v_mul_hi_u32 v11, v3, v7
	v_mul_hi_u32 v12, v6, v8
	v_mul_lo_u32 v8, v6, v8
	v_mul_hi_u32 v13, v6, v7
	v_mul_lo_u32 v7, v6, v7
	v_add_co_u32 v9, vcc_lo, v9, v10
	v_add_co_ci_u32_e32 v10, vcc_lo, 0, v11, vcc_lo
	s_delay_alu instid0(VALU_DEP_2) | instskip(NEXT) | instid1(VALU_DEP_2)
	v_add_co_u32 v8, vcc_lo, v9, v8
	v_add_co_ci_u32_e32 v8, vcc_lo, v10, v12, vcc_lo
	v_add_co_ci_u32_e32 v9, vcc_lo, 0, v13, vcc_lo
	v_ashrrev_i32_e32 v12, 31, v5
	s_delay_alu instid0(VALU_DEP_3) | instskip(NEXT) | instid1(VALU_DEP_3)
	v_add_co_u32 v7, vcc_lo, v8, v7
	v_add_co_ci_u32_e32 v8, vcc_lo, 0, v9, vcc_lo
	s_delay_alu instid0(VALU_DEP_2) | instskip(NEXT) | instid1(VALU_DEP_2)
	v_add_co_u32 v3, vcc_lo, v3, v7
	v_add_co_ci_u32_e32 v6, vcc_lo, v6, v8, vcc_lo
	s_delay_alu instid0(VALU_DEP_2) | instskip(SKIP_1) | instid1(VALU_DEP_3)
	v_mul_hi_u32 v7, s0, v3
	v_mul_lo_u32 v9, s16, v3
	v_mul_lo_u32 v8, s0, v6
	s_delay_alu instid0(VALU_DEP_1) | instskip(SKIP_1) | instid1(VALU_DEP_2)
	v_add_nc_u32_e32 v7, v7, v8
	v_mul_lo_u32 v8, s0, v3
	v_add_nc_u32_e32 v7, v7, v9
	s_delay_alu instid0(VALU_DEP_2) | instskip(NEXT) | instid1(VALU_DEP_2)
	v_mul_hi_u32 v9, v3, v8
	v_mul_lo_u32 v10, v3, v7
	v_mul_hi_u32 v11, v3, v7
	v_mul_hi_u32 v13, v6, v8
	v_mul_lo_u32 v8, v6, v8
	v_mul_hi_u32 v14, v6, v7
	v_mul_lo_u32 v7, v6, v7
	v_add_co_u32 v9, vcc_lo, v9, v10
	v_add_co_ci_u32_e32 v10, vcc_lo, 0, v11, vcc_lo
	s_delay_alu instid0(VALU_DEP_2) | instskip(NEXT) | instid1(VALU_DEP_2)
	v_add_co_u32 v8, vcc_lo, v9, v8
	v_add_co_ci_u32_e32 v8, vcc_lo, v10, v13, vcc_lo
	v_add_co_ci_u32_e32 v9, vcc_lo, 0, v14, vcc_lo
	v_add_co_u32 v10, vcc_lo, v4, v12
	v_add_co_ci_u32_e32 v5, vcc_lo, v5, v12, vcc_lo
	s_delay_alu instid0(VALU_DEP_4) | instskip(NEXT) | instid1(VALU_DEP_4)
	v_add_co_u32 v7, vcc_lo, v8, v7
	v_add_co_ci_u32_e32 v8, vcc_lo, 0, v9, vcc_lo
	s_delay_alu instid0(VALU_DEP_4) | instskip(NEXT) | instid1(VALU_DEP_3)
	v_xor_b32_e32 v11, v10, v12
	v_add_co_u32 v3, vcc_lo, v3, v7
	s_delay_alu instid0(VALU_DEP_3) | instskip(SKIP_1) | instid1(VALU_DEP_3)
	v_add_co_ci_u32_e32 v13, vcc_lo, v6, v8, vcc_lo
	v_xor_b32_e32 v14, v5, v12
	v_mul_hi_u32 v15, v11, v3
	s_delay_alu instid0(VALU_DEP_3) | instskip(NEXT) | instid1(VALU_DEP_3)
	v_mad_u64_u32 v[5:6], null, v11, v13, 0
	v_mad_u64_u32 v[7:8], null, v14, v3, 0
	;; [unrolled: 1-line block ×3, first 2 shown]
	s_delay_alu instid0(VALU_DEP_3) | instskip(NEXT) | instid1(VALU_DEP_4)
	v_add_co_u32 v3, vcc_lo, v15, v5
	v_add_co_ci_u32_e32 v5, vcc_lo, 0, v6, vcc_lo
	s_delay_alu instid0(VALU_DEP_2) | instskip(NEXT) | instid1(VALU_DEP_2)
	v_add_co_u32 v3, vcc_lo, v3, v7
	v_add_co_ci_u32_e32 v3, vcc_lo, v5, v8, vcc_lo
	v_add_co_ci_u32_e32 v5, vcc_lo, 0, v10, vcc_lo
	s_delay_alu instid0(VALU_DEP_2) | instskip(NEXT) | instid1(VALU_DEP_2)
	v_add_co_u32 v3, vcc_lo, v3, v9
	v_add_co_ci_u32_e32 v7, vcc_lo, 0, v5, vcc_lo
	s_delay_alu instid0(VALU_DEP_2) | instskip(SKIP_1) | instid1(VALU_DEP_3)
	v_mul_lo_u32 v8, s25, v3
	v_mad_u64_u32 v[5:6], null, s24, v3, 0
	v_mul_lo_u32 v9, s24, v7
	s_delay_alu instid0(VALU_DEP_2) | instskip(NEXT) | instid1(VALU_DEP_2)
	v_sub_co_u32 v5, vcc_lo, v11, v5
	v_add3_u32 v6, v6, v9, v8
	s_delay_alu instid0(VALU_DEP_1) | instskip(NEXT) | instid1(VALU_DEP_1)
	v_sub_nc_u32_e32 v8, v14, v6
	v_subrev_co_ci_u32_e64 v8, s0, s25, v8, vcc_lo
	v_add_co_u32 v9, s0, v3, 2
	s_delay_alu instid0(VALU_DEP_1) | instskip(SKIP_3) | instid1(VALU_DEP_3)
	v_add_co_ci_u32_e64 v10, s0, 0, v7, s0
	v_sub_co_u32 v11, s0, v5, s24
	v_sub_co_ci_u32_e32 v6, vcc_lo, v14, v6, vcc_lo
	v_subrev_co_ci_u32_e64 v8, s0, 0, v8, s0
	v_cmp_le_u32_e32 vcc_lo, s24, v11
	s_delay_alu instid0(VALU_DEP_3) | instskip(SKIP_1) | instid1(VALU_DEP_4)
	v_cmp_eq_u32_e64 s0, s25, v6
	v_cndmask_b32_e64 v11, 0, -1, vcc_lo
	v_cmp_le_u32_e32 vcc_lo, s25, v8
	v_cndmask_b32_e64 v13, 0, -1, vcc_lo
	v_cmp_le_u32_e32 vcc_lo, s24, v5
	;; [unrolled: 2-line block ×3, first 2 shown]
	v_cndmask_b32_e64 v14, 0, -1, vcc_lo
	v_cmp_eq_u32_e32 vcc_lo, s25, v8
	s_delay_alu instid0(VALU_DEP_2) | instskip(SKIP_3) | instid1(VALU_DEP_3)
	v_cndmask_b32_e64 v5, v14, v5, s0
	v_cndmask_b32_e32 v8, v13, v11, vcc_lo
	v_add_co_u32 v11, vcc_lo, v3, 1
	v_add_co_ci_u32_e32 v13, vcc_lo, 0, v7, vcc_lo
	v_cmp_ne_u32_e32 vcc_lo, 0, v8
	s_delay_alu instid0(VALU_DEP_3) | instskip(NEXT) | instid1(VALU_DEP_3)
	v_cndmask_b32_e32 v8, v11, v9, vcc_lo
	v_cndmask_b32_e32 v6, v13, v10, vcc_lo
	v_cmp_ne_u32_e32 vcc_lo, 0, v5
	v_xor_b32_e32 v5, s22, v12
	s_delay_alu instid0(VALU_DEP_4) | instskip(NEXT) | instid1(VALU_DEP_4)
	v_cndmask_b32_e32 v3, v3, v8, vcc_lo
	v_cndmask_b32_e32 v6, v7, v6, vcc_lo
	v_xor_b32_e32 v7, s23, v12
	s_delay_alu instid0(VALU_DEP_3) | instskip(NEXT) | instid1(VALU_DEP_2)
	v_xor_b32_e32 v3, v3, v5
	v_xor_b32_e32 v6, v6, v7
	s_delay_alu instid0(VALU_DEP_2) | instskip(NEXT) | instid1(VALU_DEP_2)
	v_sub_co_u32 v8, vcc_lo, v3, v5
	v_sub_co_ci_u32_e32 v9, vcc_lo, v6, v7, vcc_lo
.LBB21_9:                               ;   in Loop: Header=BB21_3 Depth=1
	s_and_not1_saveexec_b32 s0, s13
	s_cbranch_execz .LBB21_11
; %bb.10:                               ;   in Loop: Header=BB21_3 Depth=1
	v_cvt_f32_u32_e32 v3, s8
	s_sub_i32 s13, 0, s8
	v_mov_b32_e32 v9, v2
	s_delay_alu instid0(VALU_DEP_2) | instskip(SKIP_2) | instid1(VALU_DEP_1)
	v_rcp_iflag_f32_e32 v3, v3
	s_waitcnt_depctr 0xfff
	v_mul_f32_e32 v3, 0x4f7ffffe, v3
	v_cvt_u32_f32_e32 v3, v3
	s_delay_alu instid0(VALU_DEP_1) | instskip(NEXT) | instid1(VALU_DEP_1)
	v_mul_lo_u32 v5, s13, v3
	v_mul_hi_u32 v5, v3, v5
	s_delay_alu instid0(VALU_DEP_1) | instskip(NEXT) | instid1(VALU_DEP_1)
	v_add_nc_u32_e32 v3, v3, v5
	v_mul_hi_u32 v3, v4, v3
	s_delay_alu instid0(VALU_DEP_1) | instskip(SKIP_1) | instid1(VALU_DEP_2)
	v_mul_lo_u32 v5, v3, s8
	v_add_nc_u32_e32 v6, 1, v3
	v_sub_nc_u32_e32 v5, v4, v5
	s_delay_alu instid0(VALU_DEP_1) | instskip(SKIP_1) | instid1(VALU_DEP_4)
	v_cmp_le_u32_e32 vcc_lo, s8, v5
	v_subrev_nc_u32_e32 v7, s8, v5
	v_cndmask_b32_e32 v3, v3, v6, vcc_lo
	s_delay_alu instid0(VALU_DEP_1) | instskip(NEXT) | instid1(VALU_DEP_3)
	v_add_nc_u32_e32 v6, 1, v3
	v_cndmask_b32_e32 v5, v5, v7, vcc_lo
	s_delay_alu instid0(VALU_DEP_1) | instskip(NEXT) | instid1(VALU_DEP_3)
	v_cmp_le_u32_e32 vcc_lo, s8, v5
	v_cndmask_b32_e32 v8, v3, v6, vcc_lo
.LBB21_11:                              ;   in Loop: Header=BB21_3 Depth=1
	s_or_b32 exec_lo, exec_lo, s0
	v_mad_u64_u32 v[5:6], null, v4, s30, 0
	s_delay_alu instid0(VALU_DEP_2) | instskip(SKIP_1) | instid1(VALU_DEP_2)
	v_mad_u64_u32 v[6:7], null, v8, s8, 0
	s_and_not1_b32 vcc_lo, exec_lo, s1
	v_sub_co_u32 v19, null, v0, v5
	s_delay_alu instid0(VALU_DEP_2) | instskip(NEXT) | instid1(VALU_DEP_2)
	v_sub_co_u32 v20, null, v4, v6
	v_mul_lo_u32 v3, s18, v19
	v_mul_lo_u32 v10, s20, v19
	s_delay_alu instid0(VALU_DEP_2) | instskip(NEXT) | instid1(VALU_DEP_2)
	v_mad_u64_u32 v[6:7], null, s10, v20, v[3:4]
	v_mad_u64_u32 v[4:5], null, s12, v20, v[10:11]
	s_cbranch_vccnz .LBB21_40
; %bb.12:                               ;   in Loop: Header=BB21_3 Depth=1
	s_and_not1_b32 vcc_lo, exec_lo, s41
	s_mov_b32 s13, 1
	s_cbranch_vccnz .LBB21_20
; %bb.13:                               ;   in Loop: Header=BB21_3 Depth=1
	v_dual_mov_b32 v11, v9 :: v_dual_mov_b32 v10, v8
	s_mov_b32 s16, s38
.LBB21_14:                              ;   Parent Loop BB21_3 Depth=1
                                        ; =>  This Inner Loop Header: Depth=2
	s_delay_alu instid0(SALU_CYCLE_1)
	s_lshl_b64 s[24:25], s[16:17], 2
                                        ; implicit-def: $vgpr8_vgpr9
	s_mov_b32 s26, exec_lo
	s_add_u32 s22, s31, s24
	s_addc_u32 s23, s33, s25
	s_load_b32 s43, s[22:23], 0x8
	s_waitcnt lgkmcnt(0)
	s_ashr_i32 s0, s43, 31
	s_delay_alu instid0(SALU_CYCLE_1) | instskip(NEXT) | instid1(VALU_DEP_1)
	v_or_b32_e32 v3, s0, v11
	v_cmpx_ne_u64_e32 0, v[2:3]
	s_xor_b32 s44, exec_lo, s26
	s_cbranch_execz .LBB21_16
; %bb.15:                               ;   in Loop: Header=BB21_14 Depth=2
	s_add_u32 s28, s43, s0
	s_mov_b32 s26, s0
	s_mov_b32 s27, s0
	s_addc_u32 s29, s0, s0
	s_delay_alu instid0(SALU_CYCLE_1) | instskip(NEXT) | instid1(SALU_CYCLE_1)
	s_xor_b64 s[28:29], s[28:29], s[26:27]
	v_cvt_f32_u32_e32 v3, s28
	v_cvt_f32_u32_e32 v5, s29
	s_sub_u32 s0, 0, s28
	s_subb_u32 s45, 0, s29
	s_delay_alu instid0(VALU_DEP_1) | instskip(NEXT) | instid1(VALU_DEP_1)
	v_fmac_f32_e32 v3, 0x4f800000, v5
	v_rcp_f32_e32 v3, v3
	s_waitcnt_depctr 0xfff
	v_mul_f32_e32 v3, 0x5f7ffffc, v3
	s_delay_alu instid0(VALU_DEP_1) | instskip(NEXT) | instid1(VALU_DEP_1)
	v_mul_f32_e32 v5, 0x2f800000, v3
	v_trunc_f32_e32 v5, v5
	s_delay_alu instid0(VALU_DEP_1) | instskip(SKIP_1) | instid1(VALU_DEP_2)
	v_fmac_f32_e32 v3, 0xcf800000, v5
	v_cvt_u32_f32_e32 v5, v5
	v_cvt_u32_f32_e32 v3, v3
	s_delay_alu instid0(VALU_DEP_2) | instskip(NEXT) | instid1(VALU_DEP_2)
	v_mul_lo_u32 v7, s0, v5
	v_mul_hi_u32 v8, s0, v3
	v_mul_lo_u32 v9, s45, v3
	s_delay_alu instid0(VALU_DEP_2) | instskip(SKIP_1) | instid1(VALU_DEP_2)
	v_add_nc_u32_e32 v7, v8, v7
	v_mul_lo_u32 v8, s0, v3
	v_add_nc_u32_e32 v7, v7, v9
	s_delay_alu instid0(VALU_DEP_2) | instskip(NEXT) | instid1(VALU_DEP_2)
	v_mul_hi_u32 v9, v3, v8
	v_mul_lo_u32 v12, v3, v7
	v_mul_hi_u32 v13, v3, v7
	v_mul_hi_u32 v14, v5, v8
	v_mul_lo_u32 v8, v5, v8
	v_mul_hi_u32 v15, v5, v7
	v_mul_lo_u32 v7, v5, v7
	v_add_co_u32 v9, vcc_lo, v9, v12
	v_add_co_ci_u32_e32 v12, vcc_lo, 0, v13, vcc_lo
	s_delay_alu instid0(VALU_DEP_2) | instskip(NEXT) | instid1(VALU_DEP_2)
	v_add_co_u32 v8, vcc_lo, v9, v8
	v_add_co_ci_u32_e32 v8, vcc_lo, v12, v14, vcc_lo
	v_add_co_ci_u32_e32 v9, vcc_lo, 0, v15, vcc_lo
	v_ashrrev_i32_e32 v15, 31, v11
	s_delay_alu instid0(VALU_DEP_3) | instskip(NEXT) | instid1(VALU_DEP_3)
	v_add_co_u32 v7, vcc_lo, v8, v7
	v_add_co_ci_u32_e32 v8, vcc_lo, 0, v9, vcc_lo
	s_delay_alu instid0(VALU_DEP_2) | instskip(NEXT) | instid1(VALU_DEP_2)
	v_add_co_u32 v3, vcc_lo, v3, v7
	v_add_co_ci_u32_e32 v5, vcc_lo, v5, v8, vcc_lo
	s_delay_alu instid0(VALU_DEP_2) | instskip(SKIP_1) | instid1(VALU_DEP_3)
	v_mul_hi_u32 v7, s0, v3
	v_mul_lo_u32 v9, s45, v3
	v_mul_lo_u32 v8, s0, v5
	s_delay_alu instid0(VALU_DEP_1) | instskip(SKIP_1) | instid1(VALU_DEP_2)
	v_add_nc_u32_e32 v7, v7, v8
	v_mul_lo_u32 v8, s0, v3
	v_add_nc_u32_e32 v7, v7, v9
	s_delay_alu instid0(VALU_DEP_2) | instskip(NEXT) | instid1(VALU_DEP_2)
	v_mul_hi_u32 v9, v3, v8
	v_mul_lo_u32 v12, v3, v7
	v_mul_hi_u32 v13, v3, v7
	v_mul_hi_u32 v14, v5, v8
	v_mul_lo_u32 v8, v5, v8
	v_mul_hi_u32 v16, v5, v7
	v_mul_lo_u32 v7, v5, v7
	v_add_co_u32 v9, vcc_lo, v9, v12
	v_add_co_ci_u32_e32 v12, vcc_lo, 0, v13, vcc_lo
	s_delay_alu instid0(VALU_DEP_2) | instskip(NEXT) | instid1(VALU_DEP_2)
	v_add_co_u32 v8, vcc_lo, v9, v8
	v_add_co_ci_u32_e32 v8, vcc_lo, v12, v14, vcc_lo
	v_add_co_ci_u32_e32 v9, vcc_lo, 0, v16, vcc_lo
	v_add_co_u32 v12, vcc_lo, v10, v15
	v_add_co_ci_u32_e32 v11, vcc_lo, v11, v15, vcc_lo
	s_delay_alu instid0(VALU_DEP_4) | instskip(NEXT) | instid1(VALU_DEP_4)
	v_add_co_u32 v7, vcc_lo, v8, v7
	v_add_co_ci_u32_e32 v8, vcc_lo, 0, v9, vcc_lo
	s_delay_alu instid0(VALU_DEP_4) | instskip(NEXT) | instid1(VALU_DEP_3)
	v_xor_b32_e32 v9, v12, v15
	v_add_co_u32 v3, vcc_lo, v3, v7
	s_delay_alu instid0(VALU_DEP_3) | instskip(SKIP_1) | instid1(VALU_DEP_3)
	v_add_co_ci_u32_e32 v5, vcc_lo, v5, v8, vcc_lo
	v_xor_b32_e32 v16, v11, v15
	v_mul_hi_u32 v17, v9, v3
	s_delay_alu instid0(VALU_DEP_3) | instskip(NEXT) | instid1(VALU_DEP_3)
	v_mad_u64_u32 v[7:8], null, v9, v5, 0
	v_mad_u64_u32 v[11:12], null, v16, v3, 0
	;; [unrolled: 1-line block ×3, first 2 shown]
	s_delay_alu instid0(VALU_DEP_3) | instskip(NEXT) | instid1(VALU_DEP_4)
	v_add_co_u32 v3, vcc_lo, v17, v7
	v_add_co_ci_u32_e32 v5, vcc_lo, 0, v8, vcc_lo
	s_delay_alu instid0(VALU_DEP_2) | instskip(NEXT) | instid1(VALU_DEP_2)
	v_add_co_u32 v3, vcc_lo, v3, v11
	v_add_co_ci_u32_e32 v3, vcc_lo, v5, v12, vcc_lo
	v_add_co_ci_u32_e32 v5, vcc_lo, 0, v14, vcc_lo
	s_delay_alu instid0(VALU_DEP_2) | instskip(NEXT) | instid1(VALU_DEP_2)
	v_add_co_u32 v3, vcc_lo, v3, v13
	v_add_co_ci_u32_e32 v5, vcc_lo, 0, v5, vcc_lo
	s_delay_alu instid0(VALU_DEP_2) | instskip(SKIP_1) | instid1(VALU_DEP_3)
	v_mul_lo_u32 v11, s29, v3
	v_mad_u64_u32 v[7:8], null, s28, v3, 0
	v_mul_lo_u32 v12, s28, v5
	s_delay_alu instid0(VALU_DEP_2) | instskip(NEXT) | instid1(VALU_DEP_2)
	v_sub_co_u32 v7, vcc_lo, v9, v7
	v_add3_u32 v8, v8, v12, v11
	s_delay_alu instid0(VALU_DEP_1) | instskip(NEXT) | instid1(VALU_DEP_1)
	v_sub_nc_u32_e32 v11, v16, v8
	v_subrev_co_ci_u32_e64 v9, s0, s29, v11, vcc_lo
	v_add_co_u32 v11, s0, v3, 2
	s_delay_alu instid0(VALU_DEP_1) | instskip(SKIP_3) | instid1(VALU_DEP_3)
	v_add_co_ci_u32_e64 v12, s0, 0, v5, s0
	v_sub_co_u32 v13, s0, v7, s28
	v_sub_co_ci_u32_e32 v8, vcc_lo, v16, v8, vcc_lo
	v_subrev_co_ci_u32_e64 v9, s0, 0, v9, s0
	v_cmp_le_u32_e32 vcc_lo, s28, v13
	s_delay_alu instid0(VALU_DEP_3) | instskip(SKIP_1) | instid1(VALU_DEP_4)
	v_cmp_eq_u32_e64 s0, s29, v8
	v_cndmask_b32_e64 v13, 0, -1, vcc_lo
	v_cmp_le_u32_e32 vcc_lo, s29, v9
	v_cndmask_b32_e64 v14, 0, -1, vcc_lo
	v_cmp_le_u32_e32 vcc_lo, s28, v7
	;; [unrolled: 2-line block ×3, first 2 shown]
	v_cndmask_b32_e64 v16, 0, -1, vcc_lo
	v_cmp_eq_u32_e32 vcc_lo, s29, v9
	s_delay_alu instid0(VALU_DEP_2) | instskip(SKIP_3) | instid1(VALU_DEP_3)
	v_cndmask_b32_e64 v7, v16, v7, s0
	v_cndmask_b32_e32 v9, v14, v13, vcc_lo
	v_add_co_u32 v13, vcc_lo, v3, 1
	v_add_co_ci_u32_e32 v14, vcc_lo, 0, v5, vcc_lo
	v_cmp_ne_u32_e32 vcc_lo, 0, v9
	s_delay_alu instid0(VALU_DEP_2) | instskip(SKIP_2) | instid1(VALU_DEP_3)
	v_dual_cndmask_b32 v8, v14, v12 :: v_dual_cndmask_b32 v9, v13, v11
	v_cmp_ne_u32_e32 vcc_lo, 0, v7
	v_xor_b32_e32 v7, s26, v15
	v_cndmask_b32_e32 v3, v3, v9, vcc_lo
	s_delay_alu instid0(VALU_DEP_4) | instskip(SKIP_1) | instid1(VALU_DEP_3)
	v_cndmask_b32_e32 v5, v5, v8, vcc_lo
	v_xor_b32_e32 v9, s27, v15
	v_xor_b32_e32 v3, v3, v7
	s_delay_alu instid0(VALU_DEP_2) | instskip(NEXT) | instid1(VALU_DEP_2)
	v_xor_b32_e32 v5, v5, v9
	v_sub_co_u32 v8, vcc_lo, v3, v7
	s_delay_alu instid0(VALU_DEP_2)
	v_sub_co_ci_u32_e32 v9, vcc_lo, v5, v9, vcc_lo
.LBB21_16:                              ;   in Loop: Header=BB21_14 Depth=2
	s_and_not1_saveexec_b32 s0, s44
	s_cbranch_execz .LBB21_18
; %bb.17:                               ;   in Loop: Header=BB21_14 Depth=2
	v_cvt_f32_u32_e32 v3, s43
	s_sub_i32 s26, 0, s43
	v_mov_b32_e32 v9, v2
	s_delay_alu instid0(VALU_DEP_2) | instskip(SKIP_2) | instid1(VALU_DEP_1)
	v_rcp_iflag_f32_e32 v3, v3
	s_waitcnt_depctr 0xfff
	v_mul_f32_e32 v3, 0x4f7ffffe, v3
	v_cvt_u32_f32_e32 v3, v3
	s_delay_alu instid0(VALU_DEP_1) | instskip(NEXT) | instid1(VALU_DEP_1)
	v_mul_lo_u32 v5, s26, v3
	v_mul_hi_u32 v5, v3, v5
	s_delay_alu instid0(VALU_DEP_1) | instskip(NEXT) | instid1(VALU_DEP_1)
	v_add_nc_u32_e32 v3, v3, v5
	v_mul_hi_u32 v3, v10, v3
	s_delay_alu instid0(VALU_DEP_1) | instskip(SKIP_1) | instid1(VALU_DEP_2)
	v_mul_lo_u32 v5, v3, s43
	v_add_nc_u32_e32 v7, 1, v3
	v_sub_nc_u32_e32 v5, v10, v5
	s_delay_alu instid0(VALU_DEP_1) | instskip(SKIP_1) | instid1(VALU_DEP_4)
	v_cmp_le_u32_e32 vcc_lo, s43, v5
	v_subrev_nc_u32_e32 v8, s43, v5
	v_cndmask_b32_e32 v3, v3, v7, vcc_lo
	s_delay_alu instid0(VALU_DEP_1) | instskip(NEXT) | instid1(VALU_DEP_3)
	v_add_nc_u32_e32 v7, 1, v3
	v_cndmask_b32_e32 v5, v5, v8, vcc_lo
	s_delay_alu instid0(VALU_DEP_1) | instskip(NEXT) | instid1(VALU_DEP_3)
	v_cmp_le_u32_e32 vcc_lo, s43, v5
	v_cndmask_b32_e32 v8, v3, v7, vcc_lo
.LBB21_18:                              ;   in Loop: Header=BB21_14 Depth=2
	s_or_b32 exec_lo, exec_lo, s0
	s_add_u32 s24, s36, s24
	s_addc_u32 s25, s37, s25
	s_clause 0x1
	s_load_b32 s0, s[22:23], 0x6c
	s_load_b32 s22, s[24:25], 0x0
	v_mul_lo_u32 v3, v8, s43
	s_add_i32 s16, s16, -1
	s_delay_alu instid0(VALU_DEP_1) | instskip(SKIP_1) | instid1(VALU_DEP_1)
	v_sub_nc_u32_e32 v3, v10, v3
	s_waitcnt lgkmcnt(0)
	v_mad_u64_u32 v[10:11], null, s0, v3, v[6:7]
	v_mad_u64_u32 v[5:6], null, s22, v3, v[4:5]
	s_xor_b32 s0, s39, s13
	s_add_i32 s13, s13, 1
	s_cmp_lg_u32 s0, 2
	s_delay_alu instid0(VALU_DEP_2) | instskip(NEXT) | instid1(VALU_DEP_2)
	v_mov_b32_e32 v6, v10
	v_mov_b32_e32 v4, v5
	s_cbranch_scc0 .LBB21_21
; %bb.19:                               ;   in Loop: Header=BB21_14 Depth=2
	v_dual_mov_b32 v11, v9 :: v_dual_mov_b32 v10, v8
	s_branch .LBB21_14
.LBB21_20:                              ;   in Loop: Header=BB21_3 Depth=1
	s_mov_b32 s16, s38
.LBB21_21:                              ;   in Loop: Header=BB21_3 Depth=1
	s_and_b32 vcc_lo, exec_lo, s42
	s_cbranch_vccz .LBB21_40
.LBB21_22:                              ;   Parent Loop BB21_3 Depth=1
                                        ; =>  This Inner Loop Header: Depth=2
	s_lshl_b64 s[22:23], s[16:17], 2
                                        ; implicit-def: $vgpr10_vgpr11
	s_mov_b32 s26, exec_lo
	s_add_u32 s24, s31, s22
	s_addc_u32 s25, s33, s23
	s_load_b32 s13, s[24:25], 0x8
	s_waitcnt lgkmcnt(0)
	s_ashr_i32 s0, s13, 31
	s_delay_alu instid0(SALU_CYCLE_1) | instskip(NEXT) | instid1(VALU_DEP_1)
	v_or_b32_e32 v3, s0, v9
	v_cmpx_ne_u64_e32 0, v[2:3]
	s_xor_b32 s43, exec_lo, s26
	s_cbranch_execz .LBB21_24
; %bb.23:                               ;   in Loop: Header=BB21_22 Depth=2
	s_add_u32 s28, s13, s0
	s_mov_b32 s26, s0
	s_mov_b32 s27, s0
	s_addc_u32 s29, s0, s0
	s_delay_alu instid0(SALU_CYCLE_1) | instskip(NEXT) | instid1(SALU_CYCLE_1)
	s_xor_b64 s[28:29], s[28:29], s[26:27]
	v_cvt_f32_u32_e32 v3, s28
	v_cvt_f32_u32_e32 v5, s29
	s_sub_u32 s0, 0, s28
	s_subb_u32 s44, 0, s29
	s_delay_alu instid0(VALU_DEP_1) | instskip(NEXT) | instid1(VALU_DEP_1)
	v_fmac_f32_e32 v3, 0x4f800000, v5
	v_rcp_f32_e32 v3, v3
	s_waitcnt_depctr 0xfff
	v_mul_f32_e32 v3, 0x5f7ffffc, v3
	s_delay_alu instid0(VALU_DEP_1) | instskip(NEXT) | instid1(VALU_DEP_1)
	v_mul_f32_e32 v5, 0x2f800000, v3
	v_trunc_f32_e32 v5, v5
	s_delay_alu instid0(VALU_DEP_1) | instskip(SKIP_1) | instid1(VALU_DEP_2)
	v_fmac_f32_e32 v3, 0xcf800000, v5
	v_cvt_u32_f32_e32 v5, v5
	v_cvt_u32_f32_e32 v3, v3
	s_delay_alu instid0(VALU_DEP_2) | instskip(NEXT) | instid1(VALU_DEP_2)
	v_mul_lo_u32 v7, s0, v5
	v_mul_hi_u32 v10, s0, v3
	v_mul_lo_u32 v11, s44, v3
	s_delay_alu instid0(VALU_DEP_2) | instskip(SKIP_1) | instid1(VALU_DEP_2)
	v_add_nc_u32_e32 v7, v10, v7
	v_mul_lo_u32 v10, s0, v3
	v_add_nc_u32_e32 v7, v7, v11
	s_delay_alu instid0(VALU_DEP_2) | instskip(NEXT) | instid1(VALU_DEP_2)
	v_mul_hi_u32 v11, v3, v10
	v_mul_lo_u32 v12, v3, v7
	v_mul_hi_u32 v13, v3, v7
	v_mul_hi_u32 v14, v5, v10
	v_mul_lo_u32 v10, v5, v10
	v_mul_hi_u32 v15, v5, v7
	v_mul_lo_u32 v7, v5, v7
	v_add_co_u32 v11, vcc_lo, v11, v12
	v_add_co_ci_u32_e32 v12, vcc_lo, 0, v13, vcc_lo
	s_delay_alu instid0(VALU_DEP_2) | instskip(NEXT) | instid1(VALU_DEP_2)
	v_add_co_u32 v10, vcc_lo, v11, v10
	v_add_co_ci_u32_e32 v10, vcc_lo, v12, v14, vcc_lo
	v_add_co_ci_u32_e32 v11, vcc_lo, 0, v15, vcc_lo
	v_ashrrev_i32_e32 v15, 31, v9
	s_delay_alu instid0(VALU_DEP_3) | instskip(NEXT) | instid1(VALU_DEP_3)
	v_add_co_u32 v7, vcc_lo, v10, v7
	v_add_co_ci_u32_e32 v10, vcc_lo, 0, v11, vcc_lo
	s_delay_alu instid0(VALU_DEP_2) | instskip(NEXT) | instid1(VALU_DEP_2)
	v_add_co_u32 v3, vcc_lo, v3, v7
	v_add_co_ci_u32_e32 v5, vcc_lo, v5, v10, vcc_lo
	s_delay_alu instid0(VALU_DEP_2) | instskip(SKIP_1) | instid1(VALU_DEP_3)
	v_mul_hi_u32 v7, s0, v3
	v_mul_lo_u32 v11, s44, v3
	v_mul_lo_u32 v10, s0, v5
	s_delay_alu instid0(VALU_DEP_1) | instskip(SKIP_1) | instid1(VALU_DEP_2)
	v_add_nc_u32_e32 v7, v7, v10
	v_mul_lo_u32 v10, s0, v3
	v_add_nc_u32_e32 v7, v7, v11
	s_delay_alu instid0(VALU_DEP_2) | instskip(NEXT) | instid1(VALU_DEP_2)
	v_mul_hi_u32 v11, v3, v10
	v_mul_lo_u32 v12, v3, v7
	v_mul_hi_u32 v13, v3, v7
	v_mul_hi_u32 v14, v5, v10
	v_mul_lo_u32 v10, v5, v10
	v_mul_hi_u32 v16, v5, v7
	v_mul_lo_u32 v7, v5, v7
	v_add_co_u32 v11, vcc_lo, v11, v12
	v_add_co_ci_u32_e32 v12, vcc_lo, 0, v13, vcc_lo
	s_delay_alu instid0(VALU_DEP_2) | instskip(NEXT) | instid1(VALU_DEP_2)
	v_add_co_u32 v10, vcc_lo, v11, v10
	v_add_co_ci_u32_e32 v10, vcc_lo, v12, v14, vcc_lo
	v_add_co_ci_u32_e32 v11, vcc_lo, 0, v16, vcc_lo
	v_add_co_u32 v12, vcc_lo, v8, v15
	v_add_co_ci_u32_e32 v9, vcc_lo, v9, v15, vcc_lo
	s_delay_alu instid0(VALU_DEP_4) | instskip(NEXT) | instid1(VALU_DEP_4)
	v_add_co_u32 v7, vcc_lo, v10, v7
	v_add_co_ci_u32_e32 v10, vcc_lo, 0, v11, vcc_lo
	s_delay_alu instid0(VALU_DEP_4) | instskip(NEXT) | instid1(VALU_DEP_3)
	v_xor_b32_e32 v16, v12, v15
	v_add_co_u32 v3, vcc_lo, v3, v7
	s_delay_alu instid0(VALU_DEP_3) | instskip(SKIP_1) | instid1(VALU_DEP_3)
	v_add_co_ci_u32_e32 v5, vcc_lo, v5, v10, vcc_lo
	v_xor_b32_e32 v7, v9, v15
	v_mul_hi_u32 v17, v16, v3
	s_delay_alu instid0(VALU_DEP_3) | instskip(NEXT) | instid1(VALU_DEP_3)
	v_mad_u64_u32 v[9:10], null, v16, v5, 0
	v_mad_u64_u32 v[11:12], null, v7, v3, 0
	;; [unrolled: 1-line block ×3, first 2 shown]
	s_delay_alu instid0(VALU_DEP_3) | instskip(NEXT) | instid1(VALU_DEP_4)
	v_add_co_u32 v3, vcc_lo, v17, v9
	v_add_co_ci_u32_e32 v5, vcc_lo, 0, v10, vcc_lo
	s_delay_alu instid0(VALU_DEP_2) | instskip(NEXT) | instid1(VALU_DEP_2)
	v_add_co_u32 v3, vcc_lo, v3, v11
	v_add_co_ci_u32_e32 v3, vcc_lo, v5, v12, vcc_lo
	v_add_co_ci_u32_e32 v5, vcc_lo, 0, v14, vcc_lo
	s_delay_alu instid0(VALU_DEP_2) | instskip(NEXT) | instid1(VALU_DEP_2)
	v_add_co_u32 v3, vcc_lo, v3, v13
	v_add_co_ci_u32_e32 v5, vcc_lo, 0, v5, vcc_lo
	s_delay_alu instid0(VALU_DEP_2) | instskip(SKIP_1) | instid1(VALU_DEP_3)
	v_mul_lo_u32 v11, s29, v3
	v_mad_u64_u32 v[9:10], null, s28, v3, 0
	v_mul_lo_u32 v12, s28, v5
	s_delay_alu instid0(VALU_DEP_2) | instskip(NEXT) | instid1(VALU_DEP_2)
	v_sub_co_u32 v9, vcc_lo, v16, v9
	v_add3_u32 v10, v10, v12, v11
	s_delay_alu instid0(VALU_DEP_1) | instskip(NEXT) | instid1(VALU_DEP_1)
	v_sub_nc_u32_e32 v11, v7, v10
	v_subrev_co_ci_u32_e64 v11, s0, s29, v11, vcc_lo
	v_add_co_u32 v12, s0, v3, 2
	s_delay_alu instid0(VALU_DEP_1) | instskip(SKIP_3) | instid1(VALU_DEP_3)
	v_add_co_ci_u32_e64 v13, s0, 0, v5, s0
	v_sub_co_u32 v14, s0, v9, s28
	v_sub_co_ci_u32_e32 v7, vcc_lo, v7, v10, vcc_lo
	v_subrev_co_ci_u32_e64 v11, s0, 0, v11, s0
	v_cmp_le_u32_e32 vcc_lo, s28, v14
	s_delay_alu instid0(VALU_DEP_3) | instskip(SKIP_1) | instid1(VALU_DEP_4)
	v_cmp_eq_u32_e64 s0, s29, v7
	v_cndmask_b32_e64 v10, 0, -1, vcc_lo
	v_cmp_le_u32_e32 vcc_lo, s29, v11
	v_cndmask_b32_e64 v14, 0, -1, vcc_lo
	v_cmp_le_u32_e32 vcc_lo, s28, v9
	;; [unrolled: 2-line block ×3, first 2 shown]
	v_cndmask_b32_e64 v16, 0, -1, vcc_lo
	v_cmp_eq_u32_e32 vcc_lo, s29, v11
	s_delay_alu instid0(VALU_DEP_2) | instskip(SKIP_3) | instid1(VALU_DEP_3)
	v_cndmask_b32_e64 v7, v16, v9, s0
	v_cndmask_b32_e32 v10, v14, v10, vcc_lo
	v_add_co_u32 v11, vcc_lo, v3, 1
	v_add_co_ci_u32_e32 v14, vcc_lo, 0, v5, vcc_lo
	v_cmp_ne_u32_e32 vcc_lo, 0, v10
	s_delay_alu instid0(VALU_DEP_2) | instskip(SKIP_2) | instid1(VALU_DEP_3)
	v_dual_cndmask_b32 v10, v11, v12 :: v_dual_cndmask_b32 v9, v14, v13
	v_cmp_ne_u32_e32 vcc_lo, 0, v7
	v_xor_b32_e32 v7, s26, v15
	v_cndmask_b32_e32 v3, v3, v10, vcc_lo
	s_delay_alu instid0(VALU_DEP_4) | instskip(SKIP_1) | instid1(VALU_DEP_3)
	v_cndmask_b32_e32 v5, v5, v9, vcc_lo
	v_xor_b32_e32 v9, s27, v15
	v_xor_b32_e32 v3, v3, v7
	s_delay_alu instid0(VALU_DEP_2) | instskip(NEXT) | instid1(VALU_DEP_2)
	v_xor_b32_e32 v5, v5, v9
	v_sub_co_u32 v10, vcc_lo, v3, v7
	s_delay_alu instid0(VALU_DEP_2)
	v_sub_co_ci_u32_e32 v11, vcc_lo, v5, v9, vcc_lo
.LBB21_24:                              ;   in Loop: Header=BB21_22 Depth=2
	s_and_not1_saveexec_b32 s0, s43
	s_cbranch_execz .LBB21_26
; %bb.25:                               ;   in Loop: Header=BB21_22 Depth=2
	v_cvt_f32_u32_e32 v3, s13
	s_sub_i32 s26, 0, s13
	v_mov_b32_e32 v11, v2
	s_delay_alu instid0(VALU_DEP_2) | instskip(SKIP_2) | instid1(VALU_DEP_1)
	v_rcp_iflag_f32_e32 v3, v3
	s_waitcnt_depctr 0xfff
	v_mul_f32_e32 v3, 0x4f7ffffe, v3
	v_cvt_u32_f32_e32 v3, v3
	s_delay_alu instid0(VALU_DEP_1) | instskip(NEXT) | instid1(VALU_DEP_1)
	v_mul_lo_u32 v5, s26, v3
	v_mul_hi_u32 v5, v3, v5
	s_delay_alu instid0(VALU_DEP_1) | instskip(NEXT) | instid1(VALU_DEP_1)
	v_add_nc_u32_e32 v3, v3, v5
	v_mul_hi_u32 v3, v8, v3
	s_delay_alu instid0(VALU_DEP_1) | instskip(SKIP_1) | instid1(VALU_DEP_2)
	v_mul_lo_u32 v5, v3, s13
	v_add_nc_u32_e32 v7, 1, v3
	v_sub_nc_u32_e32 v5, v8, v5
	s_delay_alu instid0(VALU_DEP_1) | instskip(SKIP_1) | instid1(VALU_DEP_4)
	v_cmp_le_u32_e32 vcc_lo, s13, v5
	v_subrev_nc_u32_e32 v9, s13, v5
	v_cndmask_b32_e32 v3, v3, v7, vcc_lo
	s_delay_alu instid0(VALU_DEP_1) | instskip(NEXT) | instid1(VALU_DEP_3)
	v_add_nc_u32_e32 v7, 1, v3
	v_cndmask_b32_e32 v5, v5, v9, vcc_lo
	s_delay_alu instid0(VALU_DEP_1) | instskip(NEXT) | instid1(VALU_DEP_3)
	v_cmp_le_u32_e32 vcc_lo, s13, v5
	v_cndmask_b32_e32 v10, v3, v7, vcc_lo
.LBB21_26:                              ;   in Loop: Header=BB21_22 Depth=2
	s_or_b32 exec_lo, exec_lo, s0
	s_add_u32 s28, s36, s22
	s_addc_u32 s29, s37, s23
	s_add_i32 s22, s16, -1
	s_mov_b32 s23, s17
                                        ; implicit-def: $vgpr12_vgpr13
	s_delay_alu instid0(SALU_CYCLE_1) | instskip(NEXT) | instid1(SALU_CYCLE_1)
	s_lshl_b64 s[26:27], s[22:23], 2
	s_add_u32 s22, s31, s26
	s_addc_u32 s23, s33, s27
	s_clause 0x2
	s_load_b32 s45, s[22:23], 0x8
	s_load_b32 s43, s[24:25], 0x6c
	s_load_b32 s44, s[28:29], 0x0
	s_mov_b32 s24, exec_lo
	s_waitcnt lgkmcnt(0)
	s_ashr_i32 s0, s45, 31
	s_delay_alu instid0(SALU_CYCLE_1) | instskip(NEXT) | instid1(VALU_DEP_1)
	v_or_b32_e32 v3, s0, v11
	v_cmpx_ne_u64_e32 0, v[2:3]
	s_xor_b32 s46, exec_lo, s24
	s_cbranch_execz .LBB21_28
; %bb.27:                               ;   in Loop: Header=BB21_22 Depth=2
	s_add_u32 s28, s45, s0
	s_mov_b32 s24, s0
	s_mov_b32 s25, s0
	s_addc_u32 s29, s0, s0
	v_ashrrev_i32_e32 v17, 31, v11
	s_xor_b64 s[28:29], s[28:29], s[24:25]
	s_delay_alu instid0(SALU_CYCLE_1) | instskip(SKIP_3) | instid1(VALU_DEP_1)
	v_cvt_f32_u32_e32 v3, s28
	v_cvt_f32_u32_e32 v5, s29
	s_sub_u32 s0, 0, s28
	s_subb_u32 s47, 0, s29
	v_fmac_f32_e32 v3, 0x4f800000, v5
	s_delay_alu instid0(VALU_DEP_1) | instskip(SKIP_2) | instid1(VALU_DEP_1)
	v_rcp_f32_e32 v3, v3
	s_waitcnt_depctr 0xfff
	v_mul_f32_e32 v3, 0x5f7ffffc, v3
	v_mul_f32_e32 v5, 0x2f800000, v3
	s_delay_alu instid0(VALU_DEP_1) | instskip(NEXT) | instid1(VALU_DEP_1)
	v_trunc_f32_e32 v5, v5
	v_fmac_f32_e32 v3, 0xcf800000, v5
	v_cvt_u32_f32_e32 v5, v5
	s_delay_alu instid0(VALU_DEP_2) | instskip(NEXT) | instid1(VALU_DEP_2)
	v_cvt_u32_f32_e32 v3, v3
	v_mul_lo_u32 v7, s0, v5
	s_delay_alu instid0(VALU_DEP_2) | instskip(SKIP_1) | instid1(VALU_DEP_2)
	v_mul_hi_u32 v9, s0, v3
	v_mul_lo_u32 v12, s47, v3
	v_add_nc_u32_e32 v7, v9, v7
	v_mul_lo_u32 v9, s0, v3
	s_delay_alu instid0(VALU_DEP_2) | instskip(NEXT) | instid1(VALU_DEP_2)
	v_add_nc_u32_e32 v7, v7, v12
	v_mul_hi_u32 v12, v3, v9
	s_delay_alu instid0(VALU_DEP_2)
	v_mul_lo_u32 v13, v3, v7
	v_mul_hi_u32 v14, v3, v7
	v_mul_hi_u32 v15, v5, v9
	v_mul_lo_u32 v9, v5, v9
	v_mul_hi_u32 v16, v5, v7
	v_mul_lo_u32 v7, v5, v7
	v_add_co_u32 v12, vcc_lo, v12, v13
	v_add_co_ci_u32_e32 v13, vcc_lo, 0, v14, vcc_lo
	s_delay_alu instid0(VALU_DEP_2) | instskip(NEXT) | instid1(VALU_DEP_2)
	v_add_co_u32 v9, vcc_lo, v12, v9
	v_add_co_ci_u32_e32 v9, vcc_lo, v13, v15, vcc_lo
	v_add_co_ci_u32_e32 v12, vcc_lo, 0, v16, vcc_lo
	s_delay_alu instid0(VALU_DEP_2) | instskip(NEXT) | instid1(VALU_DEP_2)
	v_add_co_u32 v7, vcc_lo, v9, v7
	v_add_co_ci_u32_e32 v9, vcc_lo, 0, v12, vcc_lo
	s_delay_alu instid0(VALU_DEP_2) | instskip(NEXT) | instid1(VALU_DEP_2)
	v_add_co_u32 v3, vcc_lo, v3, v7
	v_add_co_ci_u32_e32 v5, vcc_lo, v5, v9, vcc_lo
	s_delay_alu instid0(VALU_DEP_2) | instskip(SKIP_1) | instid1(VALU_DEP_3)
	v_mul_hi_u32 v7, s0, v3
	v_mul_lo_u32 v12, s47, v3
	v_mul_lo_u32 v9, s0, v5
	s_delay_alu instid0(VALU_DEP_1) | instskip(SKIP_1) | instid1(VALU_DEP_2)
	v_add_nc_u32_e32 v7, v7, v9
	v_mul_lo_u32 v9, s0, v3
	v_add_nc_u32_e32 v7, v7, v12
	s_delay_alu instid0(VALU_DEP_2) | instskip(NEXT) | instid1(VALU_DEP_2)
	v_mul_hi_u32 v12, v3, v9
	v_mul_lo_u32 v13, v3, v7
	v_mul_hi_u32 v14, v3, v7
	v_mul_hi_u32 v15, v5, v9
	v_mul_lo_u32 v9, v5, v9
	v_mul_hi_u32 v16, v5, v7
	v_mul_lo_u32 v7, v5, v7
	v_add_co_u32 v12, vcc_lo, v12, v13
	v_add_co_ci_u32_e32 v13, vcc_lo, 0, v14, vcc_lo
	s_delay_alu instid0(VALU_DEP_2) | instskip(NEXT) | instid1(VALU_DEP_2)
	v_add_co_u32 v9, vcc_lo, v12, v9
	v_add_co_ci_u32_e32 v9, vcc_lo, v13, v15, vcc_lo
	v_add_co_ci_u32_e32 v12, vcc_lo, 0, v16, vcc_lo
	v_add_co_u32 v13, vcc_lo, v10, v17
	v_add_co_ci_u32_e32 v11, vcc_lo, v11, v17, vcc_lo
	s_delay_alu instid0(VALU_DEP_4) | instskip(NEXT) | instid1(VALU_DEP_4)
	v_add_co_u32 v7, vcc_lo, v9, v7
	v_add_co_ci_u32_e32 v9, vcc_lo, 0, v12, vcc_lo
	s_delay_alu instid0(VALU_DEP_4) | instskip(NEXT) | instid1(VALU_DEP_3)
	v_xor_b32_e32 v21, v13, v17
	v_add_co_u32 v3, vcc_lo, v3, v7
	s_delay_alu instid0(VALU_DEP_3) | instskip(SKIP_1) | instid1(VALU_DEP_3)
	v_add_co_ci_u32_e32 v5, vcc_lo, v5, v9, vcc_lo
	v_xor_b32_e32 v7, v11, v17
	v_mul_hi_u32 v9, v21, v3
	s_delay_alu instid0(VALU_DEP_3) | instskip(NEXT) | instid1(VALU_DEP_3)
	v_mad_u64_u32 v[11:12], null, v21, v5, 0
	v_mad_u64_u32 v[13:14], null, v7, v3, 0
	;; [unrolled: 1-line block ×3, first 2 shown]
	s_delay_alu instid0(VALU_DEP_3) | instskip(NEXT) | instid1(VALU_DEP_4)
	v_add_co_u32 v3, vcc_lo, v9, v11
	v_add_co_ci_u32_e32 v5, vcc_lo, 0, v12, vcc_lo
	s_delay_alu instid0(VALU_DEP_2) | instskip(NEXT) | instid1(VALU_DEP_2)
	v_add_co_u32 v3, vcc_lo, v3, v13
	v_add_co_ci_u32_e32 v3, vcc_lo, v5, v14, vcc_lo
	v_add_co_ci_u32_e32 v5, vcc_lo, 0, v16, vcc_lo
	s_delay_alu instid0(VALU_DEP_2) | instskip(NEXT) | instid1(VALU_DEP_2)
	v_add_co_u32 v3, vcc_lo, v3, v15
	v_add_co_ci_u32_e32 v5, vcc_lo, 0, v5, vcc_lo
	s_delay_alu instid0(VALU_DEP_2) | instskip(SKIP_1) | instid1(VALU_DEP_3)
	v_mul_lo_u32 v9, s29, v3
	v_mad_u64_u32 v[11:12], null, s28, v3, 0
	v_mul_lo_u32 v13, s28, v5
	s_delay_alu instid0(VALU_DEP_2) | instskip(NEXT) | instid1(VALU_DEP_2)
	v_sub_co_u32 v11, vcc_lo, v21, v11
	v_add3_u32 v9, v12, v13, v9
	s_delay_alu instid0(VALU_DEP_1) | instskip(NEXT) | instid1(VALU_DEP_1)
	v_sub_nc_u32_e32 v12, v7, v9
	v_subrev_co_ci_u32_e64 v12, s0, s29, v12, vcc_lo
	v_add_co_u32 v13, s0, v3, 2
	s_delay_alu instid0(VALU_DEP_1) | instskip(SKIP_3) | instid1(VALU_DEP_3)
	v_add_co_ci_u32_e64 v14, s0, 0, v5, s0
	v_sub_co_u32 v15, s0, v11, s28
	v_sub_co_ci_u32_e32 v7, vcc_lo, v7, v9, vcc_lo
	v_subrev_co_ci_u32_e64 v12, s0, 0, v12, s0
	v_cmp_le_u32_e32 vcc_lo, s28, v15
	s_delay_alu instid0(VALU_DEP_3) | instskip(SKIP_1) | instid1(VALU_DEP_4)
	v_cmp_eq_u32_e64 s0, s29, v7
	v_cndmask_b32_e64 v9, 0, -1, vcc_lo
	v_cmp_le_u32_e32 vcc_lo, s29, v12
	v_cndmask_b32_e64 v15, 0, -1, vcc_lo
	v_cmp_le_u32_e32 vcc_lo, s28, v11
	;; [unrolled: 2-line block ×3, first 2 shown]
	v_cndmask_b32_e64 v16, 0, -1, vcc_lo
	v_cmp_eq_u32_e32 vcc_lo, s29, v12
	s_delay_alu instid0(VALU_DEP_2) | instskip(SKIP_3) | instid1(VALU_DEP_3)
	v_cndmask_b32_e64 v7, v16, v11, s0
	v_cndmask_b32_e32 v9, v15, v9, vcc_lo
	v_add_co_u32 v12, vcc_lo, v3, 1
	v_add_co_ci_u32_e32 v15, vcc_lo, 0, v5, vcc_lo
	v_cmp_ne_u32_e32 vcc_lo, 0, v9
	s_delay_alu instid0(VALU_DEP_2) | instskip(NEXT) | instid1(VALU_DEP_4)
	v_cndmask_b32_e32 v9, v15, v14, vcc_lo
	v_cndmask_b32_e32 v11, v12, v13, vcc_lo
	v_cmp_ne_u32_e32 vcc_lo, 0, v7
	v_xor_b32_e32 v7, s24, v17
	s_delay_alu instid0(VALU_DEP_3) | instskip(SKIP_2) | instid1(VALU_DEP_3)
	v_cndmask_b32_e32 v3, v3, v11, vcc_lo
	v_cndmask_b32_e32 v5, v5, v9, vcc_lo
	v_xor_b32_e32 v9, s25, v17
	v_xor_b32_e32 v3, v3, v7
	s_delay_alu instid0(VALU_DEP_2) | instskip(NEXT) | instid1(VALU_DEP_2)
	v_xor_b32_e32 v5, v5, v9
	v_sub_co_u32 v12, vcc_lo, v3, v7
	s_delay_alu instid0(VALU_DEP_2)
	v_sub_co_ci_u32_e32 v13, vcc_lo, v5, v9, vcc_lo
.LBB21_28:                              ;   in Loop: Header=BB21_22 Depth=2
	s_and_not1_saveexec_b32 s0, s46
	s_cbranch_execz .LBB21_30
; %bb.29:                               ;   in Loop: Header=BB21_22 Depth=2
	v_cvt_f32_u32_e32 v3, s45
	s_sub_i32 s24, 0, s45
	v_mov_b32_e32 v13, v2
	s_delay_alu instid0(VALU_DEP_2) | instskip(SKIP_2) | instid1(VALU_DEP_1)
	v_rcp_iflag_f32_e32 v3, v3
	s_waitcnt_depctr 0xfff
	v_mul_f32_e32 v3, 0x4f7ffffe, v3
	v_cvt_u32_f32_e32 v3, v3
	s_delay_alu instid0(VALU_DEP_1) | instskip(NEXT) | instid1(VALU_DEP_1)
	v_mul_lo_u32 v5, s24, v3
	v_mul_hi_u32 v5, v3, v5
	s_delay_alu instid0(VALU_DEP_1) | instskip(NEXT) | instid1(VALU_DEP_1)
	v_add_nc_u32_e32 v3, v3, v5
	v_mul_hi_u32 v3, v10, v3
	s_delay_alu instid0(VALU_DEP_1) | instskip(SKIP_1) | instid1(VALU_DEP_2)
	v_mul_lo_u32 v5, v3, s45
	v_add_nc_u32_e32 v7, 1, v3
	v_sub_nc_u32_e32 v5, v10, v5
	s_delay_alu instid0(VALU_DEP_1) | instskip(SKIP_1) | instid1(VALU_DEP_4)
	v_cmp_le_u32_e32 vcc_lo, s45, v5
	v_subrev_nc_u32_e32 v9, s45, v5
	v_cndmask_b32_e32 v3, v3, v7, vcc_lo
	s_delay_alu instid0(VALU_DEP_1) | instskip(NEXT) | instid1(VALU_DEP_3)
	v_add_nc_u32_e32 v7, 1, v3
	v_cndmask_b32_e32 v5, v5, v9, vcc_lo
	s_delay_alu instid0(VALU_DEP_1) | instskip(NEXT) | instid1(VALU_DEP_3)
	v_cmp_le_u32_e32 vcc_lo, s45, v5
	v_cndmask_b32_e32 v12, v3, v7, vcc_lo
.LBB21_30:                              ;   in Loop: Header=BB21_22 Depth=2
	s_or_b32 exec_lo, exec_lo, s0
	s_add_u32 s28, s36, s26
	s_addc_u32 s29, s37, s27
	s_add_i32 s24, s16, -2
	s_mov_b32 s25, s17
                                        ; implicit-def: $vgpr14_vgpr15
	s_delay_alu instid0(SALU_CYCLE_1) | instskip(NEXT) | instid1(SALU_CYCLE_1)
	s_lshl_b64 s[24:25], s[24:25], 2
	s_add_u32 s26, s31, s24
	s_addc_u32 s27, s33, s25
	s_clause 0x2
	s_load_b32 s48, s[26:27], 0x8
	s_load_b32 s46, s[22:23], 0x6c
	;; [unrolled: 1-line block ×3, first 2 shown]
	s_mov_b32 s22, exec_lo
	s_waitcnt lgkmcnt(0)
	s_ashr_i32 s0, s48, 31
	s_delay_alu instid0(SALU_CYCLE_1) | instskip(NEXT) | instid1(VALU_DEP_1)
	v_or_b32_e32 v3, s0, v13
	v_cmpx_ne_u64_e32 0, v[2:3]
	s_xor_b32 s49, exec_lo, s22
	s_cbranch_execz .LBB21_32
; %bb.31:                               ;   in Loop: Header=BB21_22 Depth=2
	s_add_u32 s28, s48, s0
	s_mov_b32 s22, s0
	s_mov_b32 s23, s0
	s_addc_u32 s29, s0, s0
	s_delay_alu instid0(SALU_CYCLE_1) | instskip(NEXT) | instid1(SALU_CYCLE_1)
	s_xor_b64 s[28:29], s[28:29], s[22:23]
	v_cvt_f32_u32_e32 v3, s28
	v_cvt_f32_u32_e32 v5, s29
	s_sub_u32 s0, 0, s28
	s_subb_u32 s50, 0, s29
	s_delay_alu instid0(VALU_DEP_1) | instskip(NEXT) | instid1(VALU_DEP_1)
	v_fmac_f32_e32 v3, 0x4f800000, v5
	v_rcp_f32_e32 v3, v3
	s_waitcnt_depctr 0xfff
	v_mul_f32_e32 v3, 0x5f7ffffc, v3
	s_delay_alu instid0(VALU_DEP_1) | instskip(NEXT) | instid1(VALU_DEP_1)
	v_mul_f32_e32 v5, 0x2f800000, v3
	v_trunc_f32_e32 v5, v5
	s_delay_alu instid0(VALU_DEP_1) | instskip(SKIP_1) | instid1(VALU_DEP_2)
	v_fmac_f32_e32 v3, 0xcf800000, v5
	v_cvt_u32_f32_e32 v5, v5
	v_cvt_u32_f32_e32 v3, v3
	s_delay_alu instid0(VALU_DEP_2) | instskip(NEXT) | instid1(VALU_DEP_2)
	v_mul_lo_u32 v7, s0, v5
	v_mul_hi_u32 v9, s0, v3
	v_mul_lo_u32 v11, s50, v3
	s_delay_alu instid0(VALU_DEP_2) | instskip(SKIP_1) | instid1(VALU_DEP_2)
	v_add_nc_u32_e32 v7, v9, v7
	v_mul_lo_u32 v9, s0, v3
	v_add_nc_u32_e32 v7, v7, v11
	s_delay_alu instid0(VALU_DEP_2) | instskip(NEXT) | instid1(VALU_DEP_2)
	v_mul_hi_u32 v11, v3, v9
	v_mul_lo_u32 v14, v3, v7
	v_mul_hi_u32 v15, v3, v7
	v_mul_hi_u32 v16, v5, v9
	v_mul_lo_u32 v9, v5, v9
	v_mul_hi_u32 v17, v5, v7
	v_mul_lo_u32 v7, v5, v7
	v_add_co_u32 v11, vcc_lo, v11, v14
	v_add_co_ci_u32_e32 v14, vcc_lo, 0, v15, vcc_lo
	s_delay_alu instid0(VALU_DEP_2) | instskip(NEXT) | instid1(VALU_DEP_2)
	v_add_co_u32 v9, vcc_lo, v11, v9
	v_add_co_ci_u32_e32 v9, vcc_lo, v14, v16, vcc_lo
	v_add_co_ci_u32_e32 v11, vcc_lo, 0, v17, vcc_lo
	v_ashrrev_i32_e32 v17, 31, v13
	s_delay_alu instid0(VALU_DEP_3) | instskip(NEXT) | instid1(VALU_DEP_3)
	v_add_co_u32 v7, vcc_lo, v9, v7
	v_add_co_ci_u32_e32 v9, vcc_lo, 0, v11, vcc_lo
	s_delay_alu instid0(VALU_DEP_2) | instskip(NEXT) | instid1(VALU_DEP_2)
	v_add_co_u32 v3, vcc_lo, v3, v7
	v_add_co_ci_u32_e32 v5, vcc_lo, v5, v9, vcc_lo
	s_delay_alu instid0(VALU_DEP_2) | instskip(SKIP_1) | instid1(VALU_DEP_3)
	v_mul_hi_u32 v7, s0, v3
	v_mul_lo_u32 v11, s50, v3
	v_mul_lo_u32 v9, s0, v5
	s_delay_alu instid0(VALU_DEP_1) | instskip(SKIP_1) | instid1(VALU_DEP_2)
	v_add_nc_u32_e32 v7, v7, v9
	v_mul_lo_u32 v9, s0, v3
	v_add_nc_u32_e32 v7, v7, v11
	s_delay_alu instid0(VALU_DEP_2) | instskip(NEXT) | instid1(VALU_DEP_2)
	v_mul_hi_u32 v11, v3, v9
	v_mul_lo_u32 v14, v3, v7
	v_mul_hi_u32 v15, v3, v7
	v_mul_hi_u32 v16, v5, v9
	v_mul_lo_u32 v9, v5, v9
	v_mul_hi_u32 v21, v5, v7
	v_mul_lo_u32 v7, v5, v7
	v_add_co_u32 v11, vcc_lo, v11, v14
	v_add_co_ci_u32_e32 v14, vcc_lo, 0, v15, vcc_lo
	s_delay_alu instid0(VALU_DEP_2) | instskip(NEXT) | instid1(VALU_DEP_2)
	v_add_co_u32 v9, vcc_lo, v11, v9
	v_add_co_ci_u32_e32 v9, vcc_lo, v14, v16, vcc_lo
	v_add_co_ci_u32_e32 v11, vcc_lo, 0, v21, vcc_lo
	v_add_co_u32 v14, vcc_lo, v12, v17
	v_add_co_ci_u32_e32 v13, vcc_lo, v13, v17, vcc_lo
	s_delay_alu instid0(VALU_DEP_4) | instskip(NEXT) | instid1(VALU_DEP_4)
	v_add_co_u32 v7, vcc_lo, v9, v7
	v_add_co_ci_u32_e32 v9, vcc_lo, 0, v11, vcc_lo
	s_delay_alu instid0(VALU_DEP_4) | instskip(NEXT) | instid1(VALU_DEP_3)
	v_xor_b32_e32 v11, v14, v17
	v_add_co_u32 v3, vcc_lo, v3, v7
	s_delay_alu instid0(VALU_DEP_3) | instskip(SKIP_1) | instid1(VALU_DEP_3)
	v_add_co_ci_u32_e32 v5, vcc_lo, v5, v9, vcc_lo
	v_xor_b32_e32 v7, v13, v17
	v_mul_hi_u32 v9, v11, v3
	s_delay_alu instid0(VALU_DEP_3) | instskip(NEXT) | instid1(VALU_DEP_3)
	v_mad_u64_u32 v[13:14], null, v11, v5, 0
	v_mad_u64_u32 v[15:16], null, v7, v3, 0
	;; [unrolled: 1-line block ×3, first 2 shown]
	s_delay_alu instid0(VALU_DEP_3) | instskip(NEXT) | instid1(VALU_DEP_4)
	v_add_co_u32 v3, vcc_lo, v9, v13
	v_add_co_ci_u32_e32 v5, vcc_lo, 0, v14, vcc_lo
	s_delay_alu instid0(VALU_DEP_2) | instskip(NEXT) | instid1(VALU_DEP_2)
	v_add_co_u32 v3, vcc_lo, v3, v15
	v_add_co_ci_u32_e32 v3, vcc_lo, v5, v16, vcc_lo
	v_add_co_ci_u32_e32 v5, vcc_lo, 0, v22, vcc_lo
	s_delay_alu instid0(VALU_DEP_2) | instskip(NEXT) | instid1(VALU_DEP_2)
	v_add_co_u32 v3, vcc_lo, v3, v21
	v_add_co_ci_u32_e32 v5, vcc_lo, 0, v5, vcc_lo
	s_delay_alu instid0(VALU_DEP_2) | instskip(SKIP_1) | instid1(VALU_DEP_3)
	v_mul_lo_u32 v9, s29, v3
	v_mad_u64_u32 v[13:14], null, s28, v3, 0
	v_mul_lo_u32 v15, s28, v5
	s_delay_alu instid0(VALU_DEP_2) | instskip(NEXT) | instid1(VALU_DEP_2)
	v_sub_co_u32 v11, vcc_lo, v11, v13
	v_add3_u32 v9, v14, v15, v9
	s_delay_alu instid0(VALU_DEP_1) | instskip(NEXT) | instid1(VALU_DEP_1)
	v_sub_nc_u32_e32 v14, v7, v9
	v_subrev_co_ci_u32_e64 v13, s0, s29, v14, vcc_lo
	v_add_co_u32 v14, s0, v3, 2
	s_delay_alu instid0(VALU_DEP_1) | instskip(SKIP_3) | instid1(VALU_DEP_3)
	v_add_co_ci_u32_e64 v15, s0, 0, v5, s0
	v_sub_co_u32 v16, s0, v11, s28
	v_sub_co_ci_u32_e32 v7, vcc_lo, v7, v9, vcc_lo
	v_subrev_co_ci_u32_e64 v13, s0, 0, v13, s0
	v_cmp_le_u32_e32 vcc_lo, s28, v16
	s_delay_alu instid0(VALU_DEP_3) | instskip(SKIP_1) | instid1(VALU_DEP_4)
	v_cmp_eq_u32_e64 s0, s29, v7
	v_cndmask_b32_e64 v9, 0, -1, vcc_lo
	v_cmp_le_u32_e32 vcc_lo, s29, v13
	v_cndmask_b32_e64 v16, 0, -1, vcc_lo
	v_cmp_le_u32_e32 vcc_lo, s28, v11
	;; [unrolled: 2-line block ×3, first 2 shown]
	v_cndmask_b32_e64 v21, 0, -1, vcc_lo
	v_cmp_eq_u32_e32 vcc_lo, s29, v13
	s_delay_alu instid0(VALU_DEP_2) | instskip(SKIP_3) | instid1(VALU_DEP_3)
	v_cndmask_b32_e64 v7, v21, v11, s0
	v_cndmask_b32_e32 v9, v16, v9, vcc_lo
	v_add_co_u32 v13, vcc_lo, v3, 1
	v_add_co_ci_u32_e32 v16, vcc_lo, 0, v5, vcc_lo
	v_cmp_ne_u32_e32 vcc_lo, 0, v9
	s_delay_alu instid0(VALU_DEP_2) | instskip(NEXT) | instid1(VALU_DEP_4)
	v_cndmask_b32_e32 v9, v16, v15, vcc_lo
	v_cndmask_b32_e32 v11, v13, v14, vcc_lo
	v_cmp_ne_u32_e32 vcc_lo, 0, v7
	v_xor_b32_e32 v7, s22, v17
	s_delay_alu instid0(VALU_DEP_3) | instskip(SKIP_2) | instid1(VALU_DEP_3)
	v_cndmask_b32_e32 v3, v3, v11, vcc_lo
	v_cndmask_b32_e32 v5, v5, v9, vcc_lo
	v_xor_b32_e32 v9, s23, v17
	v_xor_b32_e32 v3, v3, v7
	s_delay_alu instid0(VALU_DEP_2) | instskip(NEXT) | instid1(VALU_DEP_2)
	v_xor_b32_e32 v5, v5, v9
	v_sub_co_u32 v14, vcc_lo, v3, v7
	s_delay_alu instid0(VALU_DEP_2)
	v_sub_co_ci_u32_e32 v15, vcc_lo, v5, v9, vcc_lo
.LBB21_32:                              ;   in Loop: Header=BB21_22 Depth=2
	s_and_not1_saveexec_b32 s0, s49
	s_cbranch_execz .LBB21_34
; %bb.33:                               ;   in Loop: Header=BB21_22 Depth=2
	v_cvt_f32_u32_e32 v3, s48
	s_sub_i32 s22, 0, s48
	v_mov_b32_e32 v15, v2
	s_delay_alu instid0(VALU_DEP_2) | instskip(SKIP_2) | instid1(VALU_DEP_1)
	v_rcp_iflag_f32_e32 v3, v3
	s_waitcnt_depctr 0xfff
	v_mul_f32_e32 v3, 0x4f7ffffe, v3
	v_cvt_u32_f32_e32 v3, v3
	s_delay_alu instid0(VALU_DEP_1) | instskip(NEXT) | instid1(VALU_DEP_1)
	v_mul_lo_u32 v5, s22, v3
	v_mul_hi_u32 v5, v3, v5
	s_delay_alu instid0(VALU_DEP_1) | instskip(NEXT) | instid1(VALU_DEP_1)
	v_add_nc_u32_e32 v3, v3, v5
	v_mul_hi_u32 v3, v12, v3
	s_delay_alu instid0(VALU_DEP_1) | instskip(SKIP_1) | instid1(VALU_DEP_2)
	v_mul_lo_u32 v5, v3, s48
	v_add_nc_u32_e32 v7, 1, v3
	v_sub_nc_u32_e32 v5, v12, v5
	s_delay_alu instid0(VALU_DEP_1) | instskip(SKIP_1) | instid1(VALU_DEP_4)
	v_cmp_le_u32_e32 vcc_lo, s48, v5
	v_subrev_nc_u32_e32 v9, s48, v5
	v_cndmask_b32_e32 v3, v3, v7, vcc_lo
	s_delay_alu instid0(VALU_DEP_1) | instskip(NEXT) | instid1(VALU_DEP_3)
	v_add_nc_u32_e32 v7, 1, v3
	v_cndmask_b32_e32 v5, v5, v9, vcc_lo
	s_delay_alu instid0(VALU_DEP_1) | instskip(NEXT) | instid1(VALU_DEP_3)
	v_cmp_le_u32_e32 vcc_lo, s48, v5
	v_cndmask_b32_e32 v14, v3, v7, vcc_lo
.LBB21_34:                              ;   in Loop: Header=BB21_22 Depth=2
	s_or_b32 exec_lo, exec_lo, s0
	s_add_u32 s28, s36, s24
	s_addc_u32 s29, s37, s25
	s_add_i32 s22, s16, -3
	s_mov_b32 s23, s17
                                        ; implicit-def: $vgpr16_vgpr17
	s_delay_alu instid0(SALU_CYCLE_1) | instskip(NEXT) | instid1(SALU_CYCLE_1)
	s_lshl_b64 s[24:25], s[22:23], 2
	s_add_u32 s22, s31, s24
	s_addc_u32 s23, s33, s25
	s_clause 0x2
	s_load_b32 s51, s[22:23], 0x8
	s_load_b32 s49, s[26:27], 0x6c
	;; [unrolled: 1-line block ×3, first 2 shown]
	s_mov_b32 s26, exec_lo
	s_waitcnt lgkmcnt(0)
	s_ashr_i32 s0, s51, 31
	s_delay_alu instid0(SALU_CYCLE_1) | instskip(NEXT) | instid1(VALU_DEP_1)
	v_or_b32_e32 v3, s0, v15
	v_cmpx_ne_u64_e32 0, v[2:3]
	s_xor_b32 s52, exec_lo, s26
	s_cbranch_execz .LBB21_36
; %bb.35:                               ;   in Loop: Header=BB21_22 Depth=2
	s_add_u32 s28, s51, s0
	s_mov_b32 s26, s0
	s_mov_b32 s27, s0
	s_addc_u32 s29, s0, s0
	s_delay_alu instid0(SALU_CYCLE_1) | instskip(NEXT) | instid1(SALU_CYCLE_1)
	s_xor_b64 s[28:29], s[28:29], s[26:27]
	v_cvt_f32_u32_e32 v3, s28
	v_cvt_f32_u32_e32 v5, s29
	s_sub_u32 s0, 0, s28
	s_subb_u32 s53, 0, s29
	s_delay_alu instid0(VALU_DEP_1) | instskip(NEXT) | instid1(VALU_DEP_1)
	v_fmac_f32_e32 v3, 0x4f800000, v5
	v_rcp_f32_e32 v3, v3
	s_waitcnt_depctr 0xfff
	v_mul_f32_e32 v3, 0x5f7ffffc, v3
	s_delay_alu instid0(VALU_DEP_1) | instskip(NEXT) | instid1(VALU_DEP_1)
	v_mul_f32_e32 v5, 0x2f800000, v3
	v_trunc_f32_e32 v5, v5
	s_delay_alu instid0(VALU_DEP_1) | instskip(SKIP_1) | instid1(VALU_DEP_2)
	v_fmac_f32_e32 v3, 0xcf800000, v5
	v_cvt_u32_f32_e32 v5, v5
	v_cvt_u32_f32_e32 v3, v3
	s_delay_alu instid0(VALU_DEP_2) | instskip(NEXT) | instid1(VALU_DEP_2)
	v_mul_lo_u32 v7, s0, v5
	v_mul_hi_u32 v9, s0, v3
	v_mul_lo_u32 v11, s53, v3
	s_delay_alu instid0(VALU_DEP_2) | instskip(SKIP_1) | instid1(VALU_DEP_2)
	v_add_nc_u32_e32 v7, v9, v7
	v_mul_lo_u32 v9, s0, v3
	v_add_nc_u32_e32 v7, v7, v11
	s_delay_alu instid0(VALU_DEP_2) | instskip(NEXT) | instid1(VALU_DEP_2)
	v_mul_hi_u32 v11, v3, v9
	v_mul_lo_u32 v13, v3, v7
	v_mul_hi_u32 v16, v3, v7
	v_mul_hi_u32 v17, v5, v9
	v_mul_lo_u32 v9, v5, v9
	v_mul_hi_u32 v21, v5, v7
	v_mul_lo_u32 v7, v5, v7
	v_add_co_u32 v11, vcc_lo, v11, v13
	v_add_co_ci_u32_e32 v13, vcc_lo, 0, v16, vcc_lo
	s_delay_alu instid0(VALU_DEP_2) | instskip(NEXT) | instid1(VALU_DEP_2)
	v_add_co_u32 v9, vcc_lo, v11, v9
	v_add_co_ci_u32_e32 v9, vcc_lo, v13, v17, vcc_lo
	v_add_co_ci_u32_e32 v11, vcc_lo, 0, v21, vcc_lo
	v_ashrrev_i32_e32 v17, 31, v15
	s_delay_alu instid0(VALU_DEP_3) | instskip(NEXT) | instid1(VALU_DEP_3)
	v_add_co_u32 v7, vcc_lo, v9, v7
	v_add_co_ci_u32_e32 v9, vcc_lo, 0, v11, vcc_lo
	s_delay_alu instid0(VALU_DEP_2) | instskip(NEXT) | instid1(VALU_DEP_2)
	v_add_co_u32 v3, vcc_lo, v3, v7
	v_add_co_ci_u32_e32 v5, vcc_lo, v5, v9, vcc_lo
	s_delay_alu instid0(VALU_DEP_2) | instskip(SKIP_1) | instid1(VALU_DEP_3)
	v_mul_hi_u32 v7, s0, v3
	v_mul_lo_u32 v11, s53, v3
	v_mul_lo_u32 v9, s0, v5
	s_delay_alu instid0(VALU_DEP_1) | instskip(SKIP_1) | instid1(VALU_DEP_2)
	v_add_nc_u32_e32 v7, v7, v9
	v_mul_lo_u32 v9, s0, v3
	v_add_nc_u32_e32 v7, v7, v11
	s_delay_alu instid0(VALU_DEP_2) | instskip(NEXT) | instid1(VALU_DEP_2)
	v_mul_hi_u32 v11, v3, v9
	v_mul_lo_u32 v13, v3, v7
	v_mul_hi_u32 v16, v3, v7
	v_mul_hi_u32 v21, v5, v9
	v_mul_lo_u32 v9, v5, v9
	v_mul_hi_u32 v22, v5, v7
	v_mul_lo_u32 v7, v5, v7
	v_add_co_u32 v11, vcc_lo, v11, v13
	v_add_co_ci_u32_e32 v13, vcc_lo, 0, v16, vcc_lo
	s_delay_alu instid0(VALU_DEP_2) | instskip(NEXT) | instid1(VALU_DEP_2)
	v_add_co_u32 v9, vcc_lo, v11, v9
	v_add_co_ci_u32_e32 v9, vcc_lo, v13, v21, vcc_lo
	v_add_co_ci_u32_e32 v11, vcc_lo, 0, v22, vcc_lo
	v_add_co_u32 v13, vcc_lo, v14, v17
	v_add_co_ci_u32_e32 v15, vcc_lo, v15, v17, vcc_lo
	s_delay_alu instid0(VALU_DEP_4) | instskip(NEXT) | instid1(VALU_DEP_4)
	v_add_co_u32 v7, vcc_lo, v9, v7
	v_add_co_ci_u32_e32 v9, vcc_lo, 0, v11, vcc_lo
	s_delay_alu instid0(VALU_DEP_4) | instskip(NEXT) | instid1(VALU_DEP_3)
	v_xor_b32_e32 v11, v13, v17
	v_add_co_u32 v3, vcc_lo, v3, v7
	s_delay_alu instid0(VALU_DEP_3) | instskip(SKIP_1) | instid1(VALU_DEP_3)
	v_add_co_ci_u32_e32 v5, vcc_lo, v5, v9, vcc_lo
	v_xor_b32_e32 v7, v15, v17
	v_mul_hi_u32 v9, v11, v3
	s_delay_alu instid0(VALU_DEP_3) | instskip(NEXT) | instid1(VALU_DEP_3)
	v_mad_u64_u32 v[15:16], null, v11, v5, 0
	v_mad_u64_u32 v[21:22], null, v7, v3, 0
	;; [unrolled: 1-line block ×3, first 2 shown]
	s_delay_alu instid0(VALU_DEP_3) | instskip(NEXT) | instid1(VALU_DEP_4)
	v_add_co_u32 v3, vcc_lo, v9, v15
	v_add_co_ci_u32_e32 v5, vcc_lo, 0, v16, vcc_lo
	s_delay_alu instid0(VALU_DEP_2) | instskip(NEXT) | instid1(VALU_DEP_2)
	v_add_co_u32 v3, vcc_lo, v3, v21
	v_add_co_ci_u32_e32 v3, vcc_lo, v5, v22, vcc_lo
	v_add_co_ci_u32_e32 v5, vcc_lo, 0, v24, vcc_lo
	s_delay_alu instid0(VALU_DEP_2) | instskip(NEXT) | instid1(VALU_DEP_2)
	v_add_co_u32 v3, vcc_lo, v3, v23
	v_add_co_ci_u32_e32 v5, vcc_lo, 0, v5, vcc_lo
	s_delay_alu instid0(VALU_DEP_2) | instskip(SKIP_1) | instid1(VALU_DEP_3)
	v_mul_lo_u32 v9, s29, v3
	v_mad_u64_u32 v[15:16], null, s28, v3, 0
	v_mul_lo_u32 v13, s28, v5
	s_delay_alu instid0(VALU_DEP_2) | instskip(NEXT) | instid1(VALU_DEP_2)
	v_sub_co_u32 v11, vcc_lo, v11, v15
	v_add3_u32 v9, v16, v13, v9
	s_delay_alu instid0(VALU_DEP_1) | instskip(NEXT) | instid1(VALU_DEP_1)
	v_sub_nc_u32_e32 v13, v7, v9
	v_subrev_co_ci_u32_e64 v13, s0, s29, v13, vcc_lo
	v_add_co_u32 v15, s0, v3, 2
	s_delay_alu instid0(VALU_DEP_1) | instskip(SKIP_3) | instid1(VALU_DEP_3)
	v_add_co_ci_u32_e64 v16, s0, 0, v5, s0
	v_sub_co_u32 v21, s0, v11, s28
	v_sub_co_ci_u32_e32 v7, vcc_lo, v7, v9, vcc_lo
	v_subrev_co_ci_u32_e64 v13, s0, 0, v13, s0
	v_cmp_le_u32_e32 vcc_lo, s28, v21
	s_delay_alu instid0(VALU_DEP_3) | instskip(SKIP_1) | instid1(VALU_DEP_4)
	v_cmp_eq_u32_e64 s0, s29, v7
	v_cndmask_b32_e64 v9, 0, -1, vcc_lo
	v_cmp_le_u32_e32 vcc_lo, s29, v13
	v_cndmask_b32_e64 v21, 0, -1, vcc_lo
	v_cmp_le_u32_e32 vcc_lo, s28, v11
	;; [unrolled: 2-line block ×3, first 2 shown]
	v_cndmask_b32_e64 v22, 0, -1, vcc_lo
	v_cmp_eq_u32_e32 vcc_lo, s29, v13
	s_delay_alu instid0(VALU_DEP_2) | instskip(SKIP_3) | instid1(VALU_DEP_3)
	v_cndmask_b32_e64 v7, v22, v11, s0
	v_cndmask_b32_e32 v9, v21, v9, vcc_lo
	v_add_co_u32 v13, vcc_lo, v3, 1
	v_add_co_ci_u32_e32 v21, vcc_lo, 0, v5, vcc_lo
	v_cmp_ne_u32_e32 vcc_lo, 0, v9
	s_delay_alu instid0(VALU_DEP_2) | instskip(NEXT) | instid1(VALU_DEP_4)
	v_cndmask_b32_e32 v9, v21, v16, vcc_lo
	v_cndmask_b32_e32 v11, v13, v15, vcc_lo
	v_cmp_ne_u32_e32 vcc_lo, 0, v7
	v_xor_b32_e32 v7, s26, v17
	s_delay_alu instid0(VALU_DEP_3) | instskip(SKIP_2) | instid1(VALU_DEP_3)
	v_cndmask_b32_e32 v3, v3, v11, vcc_lo
	v_cndmask_b32_e32 v5, v5, v9, vcc_lo
	v_xor_b32_e32 v9, s27, v17
	v_xor_b32_e32 v3, v3, v7
	s_delay_alu instid0(VALU_DEP_2) | instskip(NEXT) | instid1(VALU_DEP_2)
	v_xor_b32_e32 v5, v5, v9
	v_sub_co_u32 v16, vcc_lo, v3, v7
	s_delay_alu instid0(VALU_DEP_2)
	v_sub_co_ci_u32_e32 v17, vcc_lo, v5, v9, vcc_lo
.LBB21_36:                              ;   in Loop: Header=BB21_22 Depth=2
	s_and_not1_saveexec_b32 s0, s52
	s_cbranch_execz .LBB21_38
; %bb.37:                               ;   in Loop: Header=BB21_22 Depth=2
	v_cvt_f32_u32_e32 v3, s51
	s_sub_i32 s26, 0, s51
	v_mov_b32_e32 v17, v2
	s_delay_alu instid0(VALU_DEP_2) | instskip(SKIP_2) | instid1(VALU_DEP_1)
	v_rcp_iflag_f32_e32 v3, v3
	s_waitcnt_depctr 0xfff
	v_mul_f32_e32 v3, 0x4f7ffffe, v3
	v_cvt_u32_f32_e32 v3, v3
	s_delay_alu instid0(VALU_DEP_1) | instskip(NEXT) | instid1(VALU_DEP_1)
	v_mul_lo_u32 v5, s26, v3
	v_mul_hi_u32 v5, v3, v5
	s_delay_alu instid0(VALU_DEP_1) | instskip(NEXT) | instid1(VALU_DEP_1)
	v_add_nc_u32_e32 v3, v3, v5
	v_mul_hi_u32 v3, v14, v3
	s_delay_alu instid0(VALU_DEP_1) | instskip(SKIP_1) | instid1(VALU_DEP_2)
	v_mul_lo_u32 v5, v3, s51
	v_add_nc_u32_e32 v7, 1, v3
	v_sub_nc_u32_e32 v5, v14, v5
	s_delay_alu instid0(VALU_DEP_1) | instskip(SKIP_1) | instid1(VALU_DEP_4)
	v_cmp_le_u32_e32 vcc_lo, s51, v5
	v_subrev_nc_u32_e32 v9, s51, v5
	v_cndmask_b32_e32 v3, v3, v7, vcc_lo
	s_delay_alu instid0(VALU_DEP_1) | instskip(NEXT) | instid1(VALU_DEP_3)
	v_add_nc_u32_e32 v7, 1, v3
	v_cndmask_b32_e32 v5, v5, v9, vcc_lo
	s_delay_alu instid0(VALU_DEP_1) | instskip(NEXT) | instid1(VALU_DEP_3)
	v_cmp_le_u32_e32 vcc_lo, s51, v5
	v_cndmask_b32_e32 v16, v3, v7, vcc_lo
.LBB21_38:                              ;   in Loop: Header=BB21_22 Depth=2
	s_or_b32 exec_lo, exec_lo, s0
	s_add_u32 s24, s36, s24
	s_addc_u32 s25, s37, s25
	v_mul_lo_u32 v3, v10, s13
	s_clause 0x1
	s_load_b32 s0, s[22:23], 0x6c
	s_load_b32 s13, s[24:25], 0x0
	v_mul_lo_u32 v5, v12, s45
	v_mul_lo_u32 v7, v14, s48
	;; [unrolled: 1-line block ×3, first 2 shown]
	s_add_i32 s16, s16, -4
	s_delay_alu instid0(SALU_CYCLE_1) | instskip(SKIP_1) | instid1(VALU_DEP_4)
	s_cmp_eq_u32 s16, -1
	v_sub_nc_u32_e32 v3, v8, v3
	v_sub_nc_u32_e32 v5, v10, v5
	s_delay_alu instid0(VALU_DEP_4) | instskip(NEXT) | instid1(VALU_DEP_4)
	v_sub_nc_u32_e32 v7, v12, v7
	v_sub_nc_u32_e32 v8, v14, v9
	s_delay_alu instid0(VALU_DEP_4)
	v_mul_lo_u32 v9, s43, v3
	v_mul_lo_u32 v3, s44, v3
	;; [unrolled: 1-line block ×6, first 2 shown]
	s_waitcnt lgkmcnt(0)
	v_mul_lo_u32 v12, s0, v8
	v_mul_lo_u32 v8, s13, v8
	v_add3_u32 v6, v9, v6, v10
	v_add3_u32 v3, v3, v4, v5
	s_delay_alu instid0(VALU_DEP_2) | instskip(NEXT) | instid1(VALU_DEP_2)
	v_add3_u32 v6, v11, v6, v12
	v_add3_u32 v4, v7, v3, v8
	s_cbranch_scc1 .LBB21_40
; %bb.39:                               ;   in Loop: Header=BB21_22 Depth=2
	v_dual_mov_b32 v8, v16 :: v_dual_mov_b32 v9, v17
	s_branch .LBB21_22
.LBB21_40:                              ;   in Loop: Header=BB21_3 Depth=1
	v_mov_b32_e32 v10, 0
	v_sub_nc_u32_e32 v8, v19, v20
	v_mov_b32_e32 v11, 0
	s_mov_b32 s13, exec_lo
	s_delay_alu instid0(VALU_DEP_2) | instskip(NEXT) | instid1(VALU_DEP_2)
	v_ashrrev_i32_e32 v9, 31, v8
	v_dual_mov_b32 v15, v11 :: v_dual_mov_b32 v14, v10
	s_delay_alu instid0(VALU_DEP_2)
	v_cmpx_ge_i64_e64 s[4:5], v[8:9]
	s_cbranch_execz .LBB21_46
; %bb.41:                               ;   in Loop: Header=BB21_3 Depth=1
	v_mov_b32_e32 v10, 0
	v_mov_b32_e32 v11, 0
	s_mov_b32 s0, exec_lo
	s_delay_alu instid0(VALU_DEP_1)
	v_dual_mov_b32 v13, v11 :: v_dual_mov_b32 v12, v10
	v_cmpx_gt_i32_e64 s9, v19
	s_cbranch_execz .LBB21_45
; %bb.42:                               ;   in Loop: Header=BB21_3 Depth=1
	v_ashrrev_i32_e32 v7, 31, v6
	v_dual_mov_b32 v12, 0 :: v_dual_add_nc_u32 v3, 1, v19
	v_mov_b32_e32 v13, 0
	s_mov_b32 s16, exec_lo
	s_delay_alu instid0(VALU_DEP_3) | instskip(NEXT) | instid1(VALU_DEP_1)
	v_lshlrev_b64 v[5:6], 3, v[6:7]
	v_add_co_u32 v5, vcc_lo, s2, v5
	s_delay_alu instid0(VALU_DEP_2)
	v_add_co_ci_u32_e32 v6, vcc_lo, s3, v6, vcc_lo
	global_load_b64 v[10:11], v[5:6], off
	v_cmpx_gt_i32_e64 s9, v3
	s_xor_b32 s16, exec_lo, s16
	s_cbranch_execz .LBB21_44
; %bb.43:                               ;   in Loop: Header=BB21_3 Depth=1
	s_lshl_b64 s[22:23], s[18:19], 3
	s_delay_alu instid0(SALU_CYCLE_1)
	v_add_co_u32 v5, vcc_lo, v5, s22
	v_add_co_ci_u32_e32 v6, vcc_lo, s23, v6, vcc_lo
	global_load_b64 v[12:13], v[5:6], off
.LBB21_44:                              ;   in Loop: Header=BB21_3 Depth=1
	s_or_b32 exec_lo, exec_lo, s16
.LBB21_45:                              ;   in Loop: Header=BB21_3 Depth=1
	s_delay_alu instid0(SALU_CYCLE_1) | instskip(SKIP_3) | instid1(VALU_DEP_1)
	s_or_b32 exec_lo, exec_lo, s0
	v_cmp_ge_i64_e32 vcc_lo, s[4:5], v[8:9]
	s_waitcnt vmcnt(0)
	v_dual_cndmask_b32 v14, 0, v10 :: v_dual_add_nc_u32 v5, 1, v8
	v_ashrrev_i32_e32 v6, 31, v5
	v_cndmask_b32_e32 v15, 0, v11, vcc_lo
	s_delay_alu instid0(VALU_DEP_2) | instskip(NEXT) | instid1(VALU_DEP_1)
	v_cmp_ge_i64_e64 s0, s[4:5], v[5:6]
	v_cndmask_b32_e64 v11, 0, v13, s0
	v_cndmask_b32_e64 v10, 0, v12, s0
.LBB21_46:                              ;   in Loop: Header=BB21_3 Depth=1
	s_or_b32 exec_lo, exec_lo, s13
	s_delay_alu instid0(SALU_CYCLE_1)
	s_mov_b32 s0, exec_lo
	v_cmpx_gt_i32_e64 s9, v19
	s_cbranch_execz .LBB21_2
; %bb.47:                               ;   in Loop: Header=BB21_3 Depth=1
	v_ashrrev_i32_e32 v5, 31, v4
	s_mov_b32 s13, exec_lo
	s_delay_alu instid0(VALU_DEP_1) | instskip(SKIP_1) | instid1(VALU_DEP_2)
	v_lshlrev_b64 v[3:4], 3, v[4:5]
	v_add_nc_u32_e32 v5, 1, v19
	v_add_co_u32 v3, vcc_lo, s14, v3
	s_delay_alu instid0(VALU_DEP_3)
	v_add_co_ci_u32_e32 v4, vcc_lo, s15, v4, vcc_lo
	global_store_b64 v[3:4], v[14:15], off
	v_cmpx_gt_i32_e64 s9, v5
	s_xor_b32 s13, exec_lo, s13
	s_cbranch_execz .LBB21_2
; %bb.48:                               ;   in Loop: Header=BB21_3 Depth=1
	s_lshl_b64 s[22:23], s[20:21], 3
	s_delay_alu instid0(SALU_CYCLE_1)
	v_add_co_u32 v3, vcc_lo, v3, s22
	v_add_co_ci_u32_e32 v4, vcc_lo, s23, v4, vcc_lo
	global_store_b64 v[3:4], v[10:11], off
	s_branch .LBB21_2
.LBB21_49:
	s_nop 0
	s_sendmsg sendmsg(MSG_DEALLOC_VGPRS)
	s_endpgm
	.section	.rodata,"a",@progbits
	.p2align	6, 0x0
	.amdhsa_kernel _ZN2at6native16triu_tril_kernelIdiLb0ELi2ELb0EEEvNS_4cuda6detail10TensorInfoIT_T0_EENS4_IKS5_S6_EEllS6_
		.amdhsa_group_segment_fixed_size 0
		.amdhsa_private_segment_fixed_size 0
		.amdhsa_kernarg_size 712
		.amdhsa_user_sgpr_count 15
		.amdhsa_user_sgpr_dispatch_ptr 0
		.amdhsa_user_sgpr_queue_ptr 0
		.amdhsa_user_sgpr_kernarg_segment_ptr 1
		.amdhsa_user_sgpr_dispatch_id 0
		.amdhsa_user_sgpr_private_segment_size 0
		.amdhsa_wavefront_size32 1
		.amdhsa_uses_dynamic_stack 0
		.amdhsa_enable_private_segment 0
		.amdhsa_system_sgpr_workgroup_id_x 1
		.amdhsa_system_sgpr_workgroup_id_y 0
		.amdhsa_system_sgpr_workgroup_id_z 0
		.amdhsa_system_sgpr_workgroup_info 0
		.amdhsa_system_vgpr_workitem_id 0
		.amdhsa_next_free_vgpr 25
		.amdhsa_next_free_sgpr 54
		.amdhsa_reserve_vcc 1
		.amdhsa_float_round_mode_32 0
		.amdhsa_float_round_mode_16_64 0
		.amdhsa_float_denorm_mode_32 3
		.amdhsa_float_denorm_mode_16_64 3
		.amdhsa_dx10_clamp 1
		.amdhsa_ieee_mode 1
		.amdhsa_fp16_overflow 0
		.amdhsa_workgroup_processor_mode 1
		.amdhsa_memory_ordered 1
		.amdhsa_forward_progress 0
		.amdhsa_shared_vgpr_count 0
		.amdhsa_exception_fp_ieee_invalid_op 0
		.amdhsa_exception_fp_denorm_src 0
		.amdhsa_exception_fp_ieee_div_zero 0
		.amdhsa_exception_fp_ieee_overflow 0
		.amdhsa_exception_fp_ieee_underflow 0
		.amdhsa_exception_fp_ieee_inexact 0
		.amdhsa_exception_int_div_zero 0
	.end_amdhsa_kernel
	.section	.text._ZN2at6native16triu_tril_kernelIdiLb0ELi2ELb0EEEvNS_4cuda6detail10TensorInfoIT_T0_EENS4_IKS5_S6_EEllS6_,"axG",@progbits,_ZN2at6native16triu_tril_kernelIdiLb0ELi2ELb0EEEvNS_4cuda6detail10TensorInfoIT_T0_EENS4_IKS5_S6_EEllS6_,comdat
.Lfunc_end21:
	.size	_ZN2at6native16triu_tril_kernelIdiLb0ELi2ELb0EEEvNS_4cuda6detail10TensorInfoIT_T0_EENS4_IKS5_S6_EEllS6_, .Lfunc_end21-_ZN2at6native16triu_tril_kernelIdiLb0ELi2ELb0EEEvNS_4cuda6detail10TensorInfoIT_T0_EENS4_IKS5_S6_EEllS6_
                                        ; -- End function
	.section	.AMDGPU.csdata,"",@progbits
; Kernel info:
; codeLenInByte = 8388
; NumSgprs: 56
; NumVgprs: 25
; ScratchSize: 0
; MemoryBound: 0
; FloatMode: 240
; IeeeMode: 1
; LDSByteSize: 0 bytes/workgroup (compile time only)
; SGPRBlocks: 6
; VGPRBlocks: 3
; NumSGPRsForWavesPerEU: 56
; NumVGPRsForWavesPerEU: 25
; Occupancy: 16
; WaveLimiterHint : 0
; COMPUTE_PGM_RSRC2:SCRATCH_EN: 0
; COMPUTE_PGM_RSRC2:USER_SGPR: 15
; COMPUTE_PGM_RSRC2:TRAP_HANDLER: 0
; COMPUTE_PGM_RSRC2:TGID_X_EN: 1
; COMPUTE_PGM_RSRC2:TGID_Y_EN: 0
; COMPUTE_PGM_RSRC2:TGID_Z_EN: 0
; COMPUTE_PGM_RSRC2:TIDIG_COMP_CNT: 0
	.section	.text._ZN2at6native16triu_tril_kernelIdlLb0ELi2ELb1EEEvNS_4cuda6detail10TensorInfoIT_T0_EENS4_IKS5_S6_EEllS6_,"axG",@progbits,_ZN2at6native16triu_tril_kernelIdlLb0ELi2ELb1EEEvNS_4cuda6detail10TensorInfoIT_T0_EENS4_IKS5_S6_EEllS6_,comdat
	.protected	_ZN2at6native16triu_tril_kernelIdlLb0ELi2ELb1EEEvNS_4cuda6detail10TensorInfoIT_T0_EENS4_IKS5_S6_EEllS6_ ; -- Begin function _ZN2at6native16triu_tril_kernelIdlLb0ELi2ELb1EEEvNS_4cuda6detail10TensorInfoIT_T0_EENS4_IKS5_S6_EEllS6_
	.globl	_ZN2at6native16triu_tril_kernelIdlLb0ELi2ELb1EEEvNS_4cuda6detail10TensorInfoIT_T0_EENS4_IKS5_S6_EEllS6_
	.p2align	8
	.type	_ZN2at6native16triu_tril_kernelIdlLb0ELi2ELb1EEEvNS_4cuda6detail10TensorInfoIT_T0_EENS4_IKS5_S6_EEllS6_,@function
_ZN2at6native16triu_tril_kernelIdlLb0ELi2ELb1EEEvNS_4cuda6detail10TensorInfoIT_T0_EENS4_IKS5_S6_EEllS6_: ; @_ZN2at6native16triu_tril_kernelIdlLb0ELi2ELb1EEEvNS_4cuda6detail10TensorInfoIT_T0_EENS4_IKS5_S6_EEllS6_
; %bb.0:
	s_clause 0x1
	s_load_b32 s2, s[0:1], 0x364
	s_load_b128 s[4:7], s[0:1], 0x340
	v_mov_b32_e32 v2, 0
	s_add_u32 s8, s0, 0x358
	s_addc_u32 s9, s1, 0
	s_delay_alu instid0(VALU_DEP_1) | instskip(SKIP_3) | instid1(VALU_DEP_1)
	v_mov_b32_e32 v1, v2
	s_waitcnt lgkmcnt(0)
	s_and_b32 s10, s2, 0xffff
	s_mov_b32 s2, exec_lo
	v_mad_u64_u32 v[3:4], null, s10, s15, v[0:1]
	s_delay_alu instid0(VALU_DEP_1) | instskip(NEXT) | instid1(VALU_DEP_1)
	v_lshlrev_b64 v[0:1], 1, v[3:4]
	v_cmpx_gt_i64_e64 s[6:7], v[0:1]
	s_cbranch_execz .LBB22_23
; %bb.1:
	s_clause 0x1
	s_load_b32 s24, s[0:1], 0x338
	s_load_b64 s[2:3], s[0:1], 0x350
	s_load_b32 s11, s[8:9], 0x0
	s_load_b64 s[8:9], s[0:1], 0x0
	s_mov_b32 s44, 0
	s_waitcnt lgkmcnt(0)
	s_ashr_i32 s25, s24, 31
	s_add_u32 s26, s0, 0x1a8
	s_addc_u32 s27, s1, 0
	s_lshl_b64 s[12:13], s[24:25], 3
	v_cvt_f32_u32_e32 v3, s2
	s_add_u32 s14, s12, -16
	s_addc_u32 s15, s13, -1
	s_add_u32 s22, s26, s14
	s_addc_u32 s23, s27, s15
	v_rcp_iflag_f32_e32 v3, v3
	s_add_u32 s17, s12, -8
	s_addc_u32 s18, s13, -1
	s_add_u32 s0, s0, 0xd0
	s_addc_u32 s28, s1, 0
	s_mul_i32 s16, s11, s10
	s_add_u32 s10, s0, s17
	s_addc_u32 s11, s28, s18
	s_add_u32 s12, s0, s14
	s_addc_u32 s13, s28, s15
	s_add_i32 s20, s24, -3
	s_waitcnt_depctr 0xfff
	v_mul_f32_e32 v3, 0x4f7ffffe, v3
	s_ashr_i32 s21, s20, 31
	s_add_u32 s14, s26, s17
	s_addc_u32 s15, s27, s18
	s_lshl_b64 s[18:19], s[20:21], 3
	s_lshl_b32 s1, s16, 1
	s_add_u32 s16, s0, s18
	s_addc_u32 s17, s28, s19
	v_cvt_u32_f32_e32 v3, v3
	s_add_u32 s18, s26, s18
	s_addc_u32 s19, s27, s19
	s_add_u32 s20, s20, 1
	s_addc_u32 s21, s21, 0
	s_sub_i32 s0, 0, s2
	s_load_b64 s[22:23], s[22:23], 0x0
	v_mul_lo_u32 v4, s0, v3
	v_cmp_gt_i64_e64 s33, s[24:25], 2
	s_ashr_i32 s24, s3, 31
	s_delay_alu instid0(VALU_DEP_2) | instskip(NEXT) | instid1(VALU_DEP_1)
	v_mul_hi_u32 v4, v3, v4
	v_add_nc_u32_e32 v16, v3, v4
	s_waitcnt lgkmcnt(0)
	s_ashr_i32 s26, s23, 31
	s_branch .LBB22_3
.LBB22_2:                               ;   in Loop: Header=BB22_3 Depth=1
	s_or_b32 exec_lo, exec_lo, s25
	v_add_co_u32 v0, vcc_lo, v0, s1
	v_add_co_ci_u32_e32 v1, vcc_lo, 0, v1, vcc_lo
	s_delay_alu instid0(VALU_DEP_1) | instskip(SKIP_1) | instid1(SALU_CYCLE_1)
	v_cmp_le_i64_e32 vcc_lo, s[6:7], v[0:1]
	s_or_b32 s44, vcc_lo, s44
	s_and_not1_b32 exec_lo, exec_lo, s44
	s_cbranch_execz .LBB22_23
.LBB22_3:                               ; =>This Loop Header: Depth=1
                                        ;     Child Loop BB22_19 Depth 2
	v_or_b32_e32 v3, s3, v1
                                        ; implicit-def: $vgpr6_vgpr7
	s_mov_b32 s0, exec_lo
	s_delay_alu instid0(VALU_DEP_1)
	v_cmpx_ne_u64_e32 0, v[2:3]
	s_xor_b32 s27, exec_lo, s0
	s_cbranch_execz .LBB22_5
; %bb.4:                                ;   in Loop: Header=BB22_3 Depth=1
	s_add_u32 s28, s2, s24
	s_mov_b32 s25, s24
	s_addc_u32 s29, s3, s24
	s_delay_alu instid0(SALU_CYCLE_1) | instskip(NEXT) | instid1(SALU_CYCLE_1)
	s_xor_b64 s[28:29], s[28:29], s[24:25]
	v_cvt_f32_u32_e32 v3, s28
	v_cvt_f32_u32_e32 v4, s29
	s_sub_u32 s0, 0, s28
	s_subb_u32 s25, 0, s29
	s_delay_alu instid0(VALU_DEP_1) | instskip(NEXT) | instid1(VALU_DEP_1)
	v_fmac_f32_e32 v3, 0x4f800000, v4
	v_rcp_f32_e32 v3, v3
	s_waitcnt_depctr 0xfff
	v_mul_f32_e32 v3, 0x5f7ffffc, v3
	s_delay_alu instid0(VALU_DEP_1) | instskip(NEXT) | instid1(VALU_DEP_1)
	v_mul_f32_e32 v4, 0x2f800000, v3
	v_trunc_f32_e32 v4, v4
	s_delay_alu instid0(VALU_DEP_1) | instskip(SKIP_1) | instid1(VALU_DEP_2)
	v_fmac_f32_e32 v3, 0xcf800000, v4
	v_cvt_u32_f32_e32 v4, v4
	v_cvt_u32_f32_e32 v3, v3
	s_delay_alu instid0(VALU_DEP_2) | instskip(NEXT) | instid1(VALU_DEP_2)
	v_mul_lo_u32 v5, s0, v4
	v_mul_hi_u32 v6, s0, v3
	v_mul_lo_u32 v7, s25, v3
	s_delay_alu instid0(VALU_DEP_2) | instskip(SKIP_1) | instid1(VALU_DEP_2)
	v_add_nc_u32_e32 v5, v6, v5
	v_mul_lo_u32 v6, s0, v3
	v_add_nc_u32_e32 v5, v5, v7
	s_delay_alu instid0(VALU_DEP_2) | instskip(NEXT) | instid1(VALU_DEP_2)
	v_mul_hi_u32 v7, v3, v6
	v_mul_lo_u32 v8, v3, v5
	v_mul_hi_u32 v9, v3, v5
	v_mul_hi_u32 v10, v4, v6
	v_mul_lo_u32 v6, v4, v6
	v_mul_hi_u32 v11, v4, v5
	v_mul_lo_u32 v5, v4, v5
	v_add_co_u32 v7, vcc_lo, v7, v8
	v_add_co_ci_u32_e32 v8, vcc_lo, 0, v9, vcc_lo
	s_delay_alu instid0(VALU_DEP_2) | instskip(NEXT) | instid1(VALU_DEP_2)
	v_add_co_u32 v6, vcc_lo, v7, v6
	v_add_co_ci_u32_e32 v6, vcc_lo, v8, v10, vcc_lo
	v_add_co_ci_u32_e32 v7, vcc_lo, 0, v11, vcc_lo
	v_ashrrev_i32_e32 v10, 31, v1
	s_delay_alu instid0(VALU_DEP_3) | instskip(NEXT) | instid1(VALU_DEP_3)
	v_add_co_u32 v5, vcc_lo, v6, v5
	v_add_co_ci_u32_e32 v6, vcc_lo, 0, v7, vcc_lo
	s_delay_alu instid0(VALU_DEP_2) | instskip(NEXT) | instid1(VALU_DEP_2)
	v_add_co_u32 v3, vcc_lo, v3, v5
	v_add_co_ci_u32_e32 v4, vcc_lo, v4, v6, vcc_lo
	s_delay_alu instid0(VALU_DEP_2) | instskip(SKIP_1) | instid1(VALU_DEP_3)
	v_mul_hi_u32 v5, s0, v3
	v_mul_lo_u32 v7, s25, v3
	v_mul_lo_u32 v6, s0, v4
	s_delay_alu instid0(VALU_DEP_1) | instskip(SKIP_1) | instid1(VALU_DEP_2)
	v_add_nc_u32_e32 v5, v5, v6
	v_mul_lo_u32 v6, s0, v3
	v_add_nc_u32_e32 v5, v5, v7
	s_delay_alu instid0(VALU_DEP_2) | instskip(NEXT) | instid1(VALU_DEP_2)
	v_mul_hi_u32 v7, v3, v6
	v_mul_lo_u32 v8, v3, v5
	v_mul_hi_u32 v9, v3, v5
	v_mul_hi_u32 v11, v4, v6
	v_mul_lo_u32 v6, v4, v6
	v_mul_hi_u32 v12, v4, v5
	v_mul_lo_u32 v5, v4, v5
	v_add_co_u32 v7, vcc_lo, v7, v8
	v_add_co_ci_u32_e32 v8, vcc_lo, 0, v9, vcc_lo
	s_delay_alu instid0(VALU_DEP_2) | instskip(NEXT) | instid1(VALU_DEP_2)
	v_add_co_u32 v6, vcc_lo, v7, v6
	v_add_co_ci_u32_e32 v6, vcc_lo, v8, v11, vcc_lo
	v_add_co_ci_u32_e32 v7, vcc_lo, 0, v12, vcc_lo
	v_add_co_u32 v8, vcc_lo, v0, v10
	v_add_co_ci_u32_e32 v9, vcc_lo, v1, v10, vcc_lo
	s_delay_alu instid0(VALU_DEP_4) | instskip(NEXT) | instid1(VALU_DEP_4)
	v_add_co_u32 v5, vcc_lo, v6, v5
	v_add_co_ci_u32_e32 v6, vcc_lo, 0, v7, vcc_lo
	s_delay_alu instid0(VALU_DEP_4) | instskip(NEXT) | instid1(VALU_DEP_3)
	v_xor_b32_e32 v11, v8, v10
	v_add_co_u32 v7, vcc_lo, v3, v5
	s_delay_alu instid0(VALU_DEP_3) | instskip(SKIP_1) | instid1(VALU_DEP_3)
	v_add_co_ci_u32_e32 v12, vcc_lo, v4, v6, vcc_lo
	v_xor_b32_e32 v9, v9, v10
	v_mul_hi_u32 v13, v11, v7
	s_delay_alu instid0(VALU_DEP_3) | instskip(NEXT) | instid1(VALU_DEP_3)
	v_mad_u64_u32 v[3:4], null, v11, v12, 0
	v_mad_u64_u32 v[5:6], null, v9, v7, 0
	;; [unrolled: 1-line block ×3, first 2 shown]
	s_delay_alu instid0(VALU_DEP_3) | instskip(NEXT) | instid1(VALU_DEP_4)
	v_add_co_u32 v3, vcc_lo, v13, v3
	v_add_co_ci_u32_e32 v4, vcc_lo, 0, v4, vcc_lo
	s_delay_alu instid0(VALU_DEP_2) | instskip(NEXT) | instid1(VALU_DEP_2)
	v_add_co_u32 v3, vcc_lo, v3, v5
	v_add_co_ci_u32_e32 v3, vcc_lo, v4, v6, vcc_lo
	v_add_co_ci_u32_e32 v4, vcc_lo, 0, v8, vcc_lo
	s_delay_alu instid0(VALU_DEP_2) | instskip(NEXT) | instid1(VALU_DEP_2)
	v_add_co_u32 v5, vcc_lo, v3, v7
	v_add_co_ci_u32_e32 v6, vcc_lo, 0, v4, vcc_lo
	s_delay_alu instid0(VALU_DEP_2) | instskip(SKIP_1) | instid1(VALU_DEP_3)
	v_mul_lo_u32 v7, s29, v5
	v_mad_u64_u32 v[3:4], null, s28, v5, 0
	v_mul_lo_u32 v8, s28, v6
	s_delay_alu instid0(VALU_DEP_2) | instskip(NEXT) | instid1(VALU_DEP_2)
	v_sub_co_u32 v3, vcc_lo, v11, v3
	v_add3_u32 v4, v4, v8, v7
	s_delay_alu instid0(VALU_DEP_1) | instskip(NEXT) | instid1(VALU_DEP_1)
	v_sub_nc_u32_e32 v7, v9, v4
	v_subrev_co_ci_u32_e64 v7, s0, s29, v7, vcc_lo
	v_add_co_u32 v8, s0, v5, 2
	s_delay_alu instid0(VALU_DEP_1) | instskip(SKIP_3) | instid1(VALU_DEP_3)
	v_add_co_ci_u32_e64 v11, s0, 0, v6, s0
	v_sub_co_u32 v12, s0, v3, s28
	v_sub_co_ci_u32_e32 v4, vcc_lo, v9, v4, vcc_lo
	v_subrev_co_ci_u32_e64 v7, s0, 0, v7, s0
	v_cmp_le_u32_e32 vcc_lo, s28, v12
	s_delay_alu instid0(VALU_DEP_3) | instskip(SKIP_1) | instid1(VALU_DEP_4)
	v_cmp_eq_u32_e64 s0, s29, v4
	v_cndmask_b32_e64 v9, 0, -1, vcc_lo
	v_cmp_le_u32_e32 vcc_lo, s29, v7
	v_cndmask_b32_e64 v12, 0, -1, vcc_lo
	v_cmp_le_u32_e32 vcc_lo, s28, v3
	;; [unrolled: 2-line block ×3, first 2 shown]
	v_cndmask_b32_e64 v13, 0, -1, vcc_lo
	v_cmp_eq_u32_e32 vcc_lo, s29, v7
	s_delay_alu instid0(VALU_DEP_2) | instskip(SKIP_3) | instid1(VALU_DEP_3)
	v_cndmask_b32_e64 v3, v13, v3, s0
	v_cndmask_b32_e32 v7, v12, v9, vcc_lo
	v_add_co_u32 v9, vcc_lo, v5, 1
	v_add_co_ci_u32_e32 v12, vcc_lo, 0, v6, vcc_lo
	v_cmp_ne_u32_e32 vcc_lo, 0, v7
	s_delay_alu instid0(VALU_DEP_2) | instskip(SKIP_2) | instid1(VALU_DEP_3)
	v_dual_cndmask_b32 v4, v12, v11 :: v_dual_cndmask_b32 v7, v9, v8
	v_cmp_ne_u32_e32 vcc_lo, 0, v3
	v_xor_b32_e32 v3, s24, v10
	v_dual_cndmask_b32 v5, v5, v7 :: v_dual_cndmask_b32 v4, v6, v4
	s_delay_alu instid0(VALU_DEP_1) | instskip(NEXT) | instid1(VALU_DEP_2)
	v_xor_b32_e32 v5, v5, v3
	v_xor_b32_e32 v4, v4, v3
	s_delay_alu instid0(VALU_DEP_2) | instskip(NEXT) | instid1(VALU_DEP_2)
	v_sub_co_u32 v6, vcc_lo, v5, v3
	v_sub_co_ci_u32_e32 v7, vcc_lo, v4, v3, vcc_lo
.LBB22_5:                               ;   in Loop: Header=BB22_3 Depth=1
	s_and_not1_saveexec_b32 s0, s27
; %bb.6:                                ;   in Loop: Header=BB22_3 Depth=1
	v_mul_hi_u32 v3, v0, v16
	v_mov_b32_e32 v7, v2
	s_delay_alu instid0(VALU_DEP_2) | instskip(NEXT) | instid1(VALU_DEP_1)
	v_mul_lo_u32 v4, v3, s2
	v_sub_nc_u32_e32 v4, v0, v4
	s_delay_alu instid0(VALU_DEP_1) | instskip(SKIP_1) | instid1(VALU_DEP_2)
	v_subrev_nc_u32_e32 v6, s2, v4
	v_cmp_le_u32_e32 vcc_lo, s2, v4
	v_dual_cndmask_b32 v4, v4, v6 :: v_dual_add_nc_u32 v5, 1, v3
	s_delay_alu instid0(VALU_DEP_1) | instskip(NEXT) | instid1(VALU_DEP_2)
	v_cndmask_b32_e32 v3, v3, v5, vcc_lo
	v_cmp_le_u32_e32 vcc_lo, s2, v4
	s_delay_alu instid0(VALU_DEP_2) | instskip(NEXT) | instid1(VALU_DEP_1)
	v_add_nc_u32_e32 v5, 1, v3
	v_cndmask_b32_e32 v6, v3, v5, vcc_lo
; %bb.7:                                ;   in Loop: Header=BB22_3 Depth=1
	s_or_b32 exec_lo, exec_lo, s0
	v_or_b32_e32 v3, s23, v7
                                        ; implicit-def: $vgpr8_vgpr9
	s_mov_b32 s0, exec_lo
	s_delay_alu instid0(VALU_DEP_1)
	v_cmpx_ne_u64_e32 0, v[2:3]
	s_xor_b32 s25, exec_lo, s0
	s_cbranch_execz .LBB22_9
; %bb.8:                                ;   in Loop: Header=BB22_3 Depth=1
	s_add_u32 s28, s22, s26
	s_mov_b32 s27, s26
	s_addc_u32 s29, s23, s26
	s_delay_alu instid0(SALU_CYCLE_1) | instskip(NEXT) | instid1(SALU_CYCLE_1)
	s_xor_b64 s[28:29], s[28:29], s[26:27]
	v_cvt_f32_u32_e32 v3, s28
	v_cvt_f32_u32_e32 v4, s29
	s_sub_u32 s0, 0, s28
	s_subb_u32 s27, 0, s29
	s_delay_alu instid0(VALU_DEP_1) | instskip(NEXT) | instid1(VALU_DEP_1)
	v_fmac_f32_e32 v3, 0x4f800000, v4
	v_rcp_f32_e32 v3, v3
	s_waitcnt_depctr 0xfff
	v_mul_f32_e32 v3, 0x5f7ffffc, v3
	s_delay_alu instid0(VALU_DEP_1) | instskip(NEXT) | instid1(VALU_DEP_1)
	v_mul_f32_e32 v4, 0x2f800000, v3
	v_trunc_f32_e32 v4, v4
	s_delay_alu instid0(VALU_DEP_1) | instskip(SKIP_1) | instid1(VALU_DEP_2)
	v_fmac_f32_e32 v3, 0xcf800000, v4
	v_cvt_u32_f32_e32 v4, v4
	v_cvt_u32_f32_e32 v3, v3
	s_delay_alu instid0(VALU_DEP_2) | instskip(NEXT) | instid1(VALU_DEP_2)
	v_mul_lo_u32 v5, s0, v4
	v_mul_hi_u32 v8, s0, v3
	v_mul_lo_u32 v9, s27, v3
	s_delay_alu instid0(VALU_DEP_2) | instskip(SKIP_1) | instid1(VALU_DEP_2)
	v_add_nc_u32_e32 v5, v8, v5
	v_mul_lo_u32 v8, s0, v3
	v_add_nc_u32_e32 v5, v5, v9
	s_delay_alu instid0(VALU_DEP_2) | instskip(NEXT) | instid1(VALU_DEP_2)
	v_mul_hi_u32 v9, v3, v8
	v_mul_lo_u32 v10, v3, v5
	v_mul_hi_u32 v11, v3, v5
	v_mul_hi_u32 v12, v4, v8
	v_mul_lo_u32 v8, v4, v8
	v_mul_hi_u32 v13, v4, v5
	v_mul_lo_u32 v5, v4, v5
	v_add_co_u32 v9, vcc_lo, v9, v10
	v_add_co_ci_u32_e32 v10, vcc_lo, 0, v11, vcc_lo
	s_delay_alu instid0(VALU_DEP_2) | instskip(NEXT) | instid1(VALU_DEP_2)
	v_add_co_u32 v8, vcc_lo, v9, v8
	v_add_co_ci_u32_e32 v8, vcc_lo, v10, v12, vcc_lo
	v_add_co_ci_u32_e32 v9, vcc_lo, 0, v13, vcc_lo
	v_ashrrev_i32_e32 v12, 31, v7
	s_delay_alu instid0(VALU_DEP_3) | instskip(NEXT) | instid1(VALU_DEP_3)
	v_add_co_u32 v5, vcc_lo, v8, v5
	v_add_co_ci_u32_e32 v8, vcc_lo, 0, v9, vcc_lo
	s_delay_alu instid0(VALU_DEP_2) | instskip(NEXT) | instid1(VALU_DEP_2)
	v_add_co_u32 v3, vcc_lo, v3, v5
	v_add_co_ci_u32_e32 v4, vcc_lo, v4, v8, vcc_lo
	s_delay_alu instid0(VALU_DEP_2) | instskip(SKIP_1) | instid1(VALU_DEP_3)
	v_mul_hi_u32 v5, s0, v3
	v_mul_lo_u32 v9, s27, v3
	v_mul_lo_u32 v8, s0, v4
	s_delay_alu instid0(VALU_DEP_1) | instskip(SKIP_1) | instid1(VALU_DEP_2)
	v_add_nc_u32_e32 v5, v5, v8
	v_mul_lo_u32 v8, s0, v3
	v_add_nc_u32_e32 v5, v5, v9
	s_delay_alu instid0(VALU_DEP_2) | instskip(NEXT) | instid1(VALU_DEP_2)
	v_mul_hi_u32 v9, v3, v8
	v_mul_lo_u32 v10, v3, v5
	v_mul_hi_u32 v11, v3, v5
	v_mul_hi_u32 v13, v4, v8
	v_mul_lo_u32 v8, v4, v8
	v_mul_hi_u32 v14, v4, v5
	v_mul_lo_u32 v5, v4, v5
	v_add_co_u32 v9, vcc_lo, v9, v10
	v_add_co_ci_u32_e32 v10, vcc_lo, 0, v11, vcc_lo
	s_delay_alu instid0(VALU_DEP_2) | instskip(NEXT) | instid1(VALU_DEP_2)
	v_add_co_u32 v8, vcc_lo, v9, v8
	v_add_co_ci_u32_e32 v8, vcc_lo, v10, v13, vcc_lo
	v_add_co_ci_u32_e32 v9, vcc_lo, 0, v14, vcc_lo
	v_add_co_u32 v10, vcc_lo, v6, v12
	v_add_co_ci_u32_e32 v11, vcc_lo, v7, v12, vcc_lo
	s_delay_alu instid0(VALU_DEP_4) | instskip(NEXT) | instid1(VALU_DEP_4)
	v_add_co_u32 v5, vcc_lo, v8, v5
	v_add_co_ci_u32_e32 v8, vcc_lo, 0, v9, vcc_lo
	s_delay_alu instid0(VALU_DEP_4) | instskip(NEXT) | instid1(VALU_DEP_3)
	v_xor_b32_e32 v13, v10, v12
	v_add_co_u32 v5, vcc_lo, v3, v5
	s_delay_alu instid0(VALU_DEP_3) | instskip(SKIP_1) | instid1(VALU_DEP_3)
	v_add_co_ci_u32_e32 v14, vcc_lo, v4, v8, vcc_lo
	v_xor_b32_e32 v15, v11, v12
	v_mul_hi_u32 v17, v13, v5
	s_delay_alu instid0(VALU_DEP_3) | instskip(NEXT) | instid1(VALU_DEP_3)
	v_mad_u64_u32 v[3:4], null, v13, v14, 0
	v_mad_u64_u32 v[8:9], null, v15, v5, 0
	;; [unrolled: 1-line block ×3, first 2 shown]
	s_delay_alu instid0(VALU_DEP_3) | instskip(NEXT) | instid1(VALU_DEP_4)
	v_add_co_u32 v3, vcc_lo, v17, v3
	v_add_co_ci_u32_e32 v4, vcc_lo, 0, v4, vcc_lo
	s_delay_alu instid0(VALU_DEP_2) | instskip(NEXT) | instid1(VALU_DEP_2)
	v_add_co_u32 v3, vcc_lo, v3, v8
	v_add_co_ci_u32_e32 v3, vcc_lo, v4, v9, vcc_lo
	v_add_co_ci_u32_e32 v4, vcc_lo, 0, v11, vcc_lo
	s_delay_alu instid0(VALU_DEP_2) | instskip(NEXT) | instid1(VALU_DEP_2)
	v_add_co_u32 v5, vcc_lo, v3, v10
	v_add_co_ci_u32_e32 v8, vcc_lo, 0, v4, vcc_lo
	s_delay_alu instid0(VALU_DEP_2) | instskip(SKIP_1) | instid1(VALU_DEP_3)
	v_mul_lo_u32 v9, s29, v5
	v_mad_u64_u32 v[3:4], null, s28, v5, 0
	v_mul_lo_u32 v10, s28, v8
	s_delay_alu instid0(VALU_DEP_2) | instskip(NEXT) | instid1(VALU_DEP_2)
	v_sub_co_u32 v3, vcc_lo, v13, v3
	v_add3_u32 v4, v4, v10, v9
	s_delay_alu instid0(VALU_DEP_1) | instskip(NEXT) | instid1(VALU_DEP_1)
	v_sub_nc_u32_e32 v9, v15, v4
	v_subrev_co_ci_u32_e64 v9, s0, s29, v9, vcc_lo
	v_add_co_u32 v10, s0, v5, 2
	s_delay_alu instid0(VALU_DEP_1) | instskip(SKIP_3) | instid1(VALU_DEP_3)
	v_add_co_ci_u32_e64 v11, s0, 0, v8, s0
	v_sub_co_u32 v13, s0, v3, s28
	v_sub_co_ci_u32_e32 v4, vcc_lo, v15, v4, vcc_lo
	v_subrev_co_ci_u32_e64 v9, s0, 0, v9, s0
	v_cmp_le_u32_e32 vcc_lo, s28, v13
	s_delay_alu instid0(VALU_DEP_3) | instskip(SKIP_1) | instid1(VALU_DEP_4)
	v_cmp_eq_u32_e64 s0, s29, v4
	v_cndmask_b32_e64 v13, 0, -1, vcc_lo
	v_cmp_le_u32_e32 vcc_lo, s29, v9
	v_cndmask_b32_e64 v14, 0, -1, vcc_lo
	v_cmp_le_u32_e32 vcc_lo, s28, v3
	;; [unrolled: 2-line block ×3, first 2 shown]
	v_cndmask_b32_e64 v15, 0, -1, vcc_lo
	v_cmp_eq_u32_e32 vcc_lo, s29, v9
	s_delay_alu instid0(VALU_DEP_2) | instskip(SKIP_3) | instid1(VALU_DEP_3)
	v_cndmask_b32_e64 v3, v15, v3, s0
	v_cndmask_b32_e32 v9, v14, v13, vcc_lo
	v_add_co_u32 v13, vcc_lo, v5, 1
	v_add_co_ci_u32_e32 v14, vcc_lo, 0, v8, vcc_lo
	v_cmp_ne_u32_e32 vcc_lo, 0, v9
	s_delay_alu instid0(VALU_DEP_2) | instskip(SKIP_2) | instid1(VALU_DEP_3)
	v_dual_cndmask_b32 v4, v14, v11 :: v_dual_cndmask_b32 v9, v13, v10
	v_cmp_ne_u32_e32 vcc_lo, 0, v3
	v_xor_b32_e32 v3, s26, v12
	v_dual_cndmask_b32 v5, v5, v9 :: v_dual_cndmask_b32 v4, v8, v4
	s_delay_alu instid0(VALU_DEP_1) | instskip(NEXT) | instid1(VALU_DEP_2)
	v_xor_b32_e32 v5, v5, v3
	v_xor_b32_e32 v4, v4, v3
	s_delay_alu instid0(VALU_DEP_2) | instskip(NEXT) | instid1(VALU_DEP_2)
	v_sub_co_u32 v8, vcc_lo, v5, v3
	v_sub_co_ci_u32_e32 v9, vcc_lo, v4, v3, vcc_lo
.LBB22_9:                               ;   in Loop: Header=BB22_3 Depth=1
	s_and_not1_saveexec_b32 s0, s25
	s_cbranch_execz .LBB22_11
; %bb.10:                               ;   in Loop: Header=BB22_3 Depth=1
	v_cvt_f32_u32_e32 v3, s22
	s_sub_i32 s25, 0, s22
	v_mov_b32_e32 v9, v2
	s_delay_alu instid0(VALU_DEP_2) | instskip(SKIP_2) | instid1(VALU_DEP_1)
	v_rcp_iflag_f32_e32 v3, v3
	s_waitcnt_depctr 0xfff
	v_mul_f32_e32 v3, 0x4f7ffffe, v3
	v_cvt_u32_f32_e32 v3, v3
	s_delay_alu instid0(VALU_DEP_1) | instskip(NEXT) | instid1(VALU_DEP_1)
	v_mul_lo_u32 v4, s25, v3
	v_mul_hi_u32 v4, v3, v4
	s_delay_alu instid0(VALU_DEP_1) | instskip(NEXT) | instid1(VALU_DEP_1)
	v_add_nc_u32_e32 v3, v3, v4
	v_mul_hi_u32 v3, v6, v3
	s_delay_alu instid0(VALU_DEP_1) | instskip(SKIP_1) | instid1(VALU_DEP_2)
	v_mul_lo_u32 v4, v3, s22
	v_add_nc_u32_e32 v5, 1, v3
	v_sub_nc_u32_e32 v4, v6, v4
	s_delay_alu instid0(VALU_DEP_1) | instskip(SKIP_1) | instid1(VALU_DEP_2)
	v_subrev_nc_u32_e32 v8, s22, v4
	v_cmp_le_u32_e32 vcc_lo, s22, v4
	v_dual_cndmask_b32 v4, v4, v8 :: v_dual_cndmask_b32 v3, v3, v5
	s_delay_alu instid0(VALU_DEP_1) | instskip(NEXT) | instid1(VALU_DEP_2)
	v_cmp_le_u32_e32 vcc_lo, s22, v4
	v_add_nc_u32_e32 v5, 1, v3
	s_delay_alu instid0(VALU_DEP_1)
	v_cndmask_b32_e32 v8, v3, v5, vcc_lo
.LBB22_11:                              ;   in Loop: Header=BB22_3 Depth=1
	s_or_b32 exec_lo, exec_lo, s0
	v_mul_lo_u32 v5, v7, s2
	v_mul_lo_u32 v12, v6, s3
	v_mad_u64_u32 v[3:4], null, v6, s2, 0
	v_mul_lo_u32 v13, v9, s22
	v_mul_lo_u32 v14, v8, s23
	v_mad_u64_u32 v[10:11], null, v8, s22, 0
	s_mov_b32 s25, exec_lo
	s_delay_alu instid0(VALU_DEP_4) | instskip(SKIP_1) | instid1(VALU_DEP_3)
	v_add3_u32 v5, v4, v12, v5
	v_sub_co_u32 v4, vcc_lo, v0, v3
	v_add3_u32 v11, v11, v14, v13
	s_delay_alu instid0(VALU_DEP_3) | instskip(SKIP_1) | instid1(VALU_DEP_3)
	v_sub_co_ci_u32_e32 v5, vcc_lo, v1, v5, vcc_lo
	v_sub_co_u32 v17, vcc_lo, v6, v10
	v_sub_co_ci_u32_e32 v18, vcc_lo, v7, v11, vcc_lo
	s_delay_alu instid0(VALU_DEP_2) | instskip(NEXT) | instid1(VALU_DEP_2)
	v_sub_co_u32 v6, vcc_lo, v4, v17
	v_sub_co_ci_u32_e32 v7, vcc_lo, v5, v18, vcc_lo
	s_delay_alu instid0(VALU_DEP_2) | instskip(NEXT) | instid1(VALU_DEP_2)
	v_add_co_u32 v10, vcc_lo, v6, 2
	v_add_co_ci_u32_e32 v11, vcc_lo, 0, v7, vcc_lo
	s_delay_alu instid0(VALU_DEP_1)
	v_cmpx_lt_i64_e64 s[4:5], v[10:11]
	s_cbranch_execz .LBB22_2
; %bb.12:                               ;   in Loop: Header=BB22_3 Depth=1
	s_clause 0x1
	s_load_b64 s[28:29], s[10:11], 0x0
	s_load_b64 s[30:31], s[12:13], 0x0
	s_and_b32 vcc_lo, exec_lo, s33
	s_mov_b64 s[34:35], s[18:19]
	s_mov_b64 s[36:37], s[16:17]
	s_waitcnt lgkmcnt(0)
	v_mul_lo_u32 v3, s29, v4
	v_mul_lo_u32 v12, s28, v5
	v_mad_u64_u32 v[10:11], null, s28, v4, 0
	s_delay_alu instid0(VALU_DEP_1) | instskip(SKIP_1) | instid1(VALU_DEP_2)
	v_add3_u32 v11, v11, v12, v3
	v_mul_lo_u32 v3, s30, v18
	v_mad_u64_u32 v[14:15], null, s30, v17, v[10:11]
	v_mul_lo_u32 v10, s31, v17
	s_mov_b64 s[30:31], s[20:21]
	s_delay_alu instid0(VALU_DEP_1) | instskip(NEXT) | instid1(VALU_DEP_1)
	v_add3_u32 v15, v10, v15, v3
	v_dual_mov_b32 v10, v14 :: v_dual_mov_b32 v11, v15
	s_cbranch_vccnz .LBB22_19
.LBB22_13:                              ;   in Loop: Header=BB22_3 Depth=1
	s_load_b64 s[30:31], s[14:15], 0x0
	s_waitcnt lgkmcnt(0)
	v_cmp_gt_i64_e32 vcc_lo, s[30:31], v[4:5]
	s_and_b32 exec_lo, exec_lo, vcc_lo
	s_cbranch_execz .LBB22_2
; %bb.14:                               ;   in Loop: Header=BB22_3 Depth=1
	v_lshlrev_b64 v[8:9], 3, v[14:15]
	v_cmp_lt_i64_e32 vcc_lo, s[4:5], v[6:7]
	s_delay_alu instid0(VALU_DEP_2) | instskip(NEXT) | instid1(VALU_DEP_1)
	v_add_co_u32 v6, s0, s8, v8
	v_add_co_ci_u32_e64 v7, s0, s9, v9, s0
	s_and_saveexec_b32 s0, vcc_lo
	s_cbranch_execz .LBB22_16
; %bb.15:                               ;   in Loop: Header=BB22_3 Depth=1
	v_mov_b32_e32 v3, v2
	global_store_b64 v[6:7], v[2:3], off
.LBB22_16:                              ;   in Loop: Header=BB22_3 Depth=1
	s_or_b32 exec_lo, exec_lo, s0
	v_add_co_u32 v3, vcc_lo, v4, 1
	v_add_co_ci_u32_e32 v4, vcc_lo, 0, v5, vcc_lo
	s_delay_alu instid0(VALU_DEP_2) | instskip(NEXT) | instid1(VALU_DEP_2)
	v_sub_co_u32 v8, vcc_lo, v3, v17
	v_sub_co_ci_u32_e32 v9, vcc_lo, v4, v18, vcc_lo
	v_cmp_gt_i64_e32 vcc_lo, s[30:31], v[3:4]
	s_delay_alu instid0(VALU_DEP_2) | instskip(NEXT) | instid1(VALU_DEP_1)
	v_cmp_lt_i64_e64 s0, s[4:5], v[8:9]
	s_and_b32 s0, vcc_lo, s0
	s_delay_alu instid0(SALU_CYCLE_1)
	s_and_b32 exec_lo, exec_lo, s0
	s_cbranch_execz .LBB22_2
; %bb.17:                               ;   in Loop: Header=BB22_3 Depth=1
	s_lshl_b64 s[28:29], s[28:29], 3
	v_mov_b32_e32 v3, v2
	v_add_co_u32 v4, vcc_lo, v6, s28
	v_add_co_ci_u32_e32 v5, vcc_lo, s29, v7, vcc_lo
	global_store_b64 v[4:5], v[2:3], off
	s_branch .LBB22_2
.LBB22_18:                              ;   in Loop: Header=BB22_19 Depth=2
	s_or_b32 exec_lo, exec_lo, s0
	s_load_b64 s[40:41], s[36:37], 0x0
	s_delay_alu instid0(VALU_DEP_1)
	v_mul_lo_u32 v3, v13, s38
	v_mul_lo_u32 v19, v12, s39
	v_mad_u64_u32 v[14:15], null, v12, s38, 0
	s_add_u32 s36, s36, -8
	s_addc_u32 s37, s37, -1
	s_add_u32 s34, s34, -8
	s_addc_u32 s35, s35, -1
	;; [unrolled: 2-line block ×3, first 2 shown]
	s_delay_alu instid0(VALU_DEP_1) | instskip(SKIP_2) | instid1(VALU_DEP_3)
	v_add3_u32 v3, v15, v19, v3
	v_sub_co_u32 v8, vcc_lo, v8, v14
	v_cmp_lt_i64_e64 s0, s[30:31], 1
	v_sub_co_ci_u32_e32 v3, vcc_lo, v9, v3, vcc_lo
	s_delay_alu instid0(VALU_DEP_2) | instskip(SKIP_1) | instid1(VALU_DEP_1)
	s_and_b32 vcc_lo, exec_lo, s0
	s_waitcnt lgkmcnt(0)
	v_mul_lo_u32 v3, s40, v3
	v_mul_lo_u32 v9, s41, v8
	v_mad_u64_u32 v[14:15], null, s40, v8, v[10:11]
	s_delay_alu instid0(VALU_DEP_1) | instskip(NEXT) | instid1(VALU_DEP_2)
	v_add3_u32 v15, v9, v15, v3
	v_mov_b32_e32 v10, v14
	v_dual_mov_b32 v8, v12 :: v_dual_mov_b32 v9, v13
	s_delay_alu instid0(VALU_DEP_3)
	v_mov_b32_e32 v11, v15
	s_cbranch_vccnz .LBB22_13
.LBB22_19:                              ;   Parent Loop BB22_3 Depth=1
                                        ; =>  This Inner Loop Header: Depth=2
	s_load_b64 s[38:39], s[34:35], 0x0
                                        ; implicit-def: $vgpr12_vgpr13
	s_mov_b32 s0, exec_lo
	s_waitcnt lgkmcnt(0)
	v_or_b32_e32 v3, s39, v9
	s_delay_alu instid0(VALU_DEP_1)
	v_cmpx_ne_u64_e32 0, v[2:3]
	s_xor_b32 s27, exec_lo, s0
	s_cbranch_execz .LBB22_21
; %bb.20:                               ;   in Loop: Header=BB22_19 Depth=2
	s_ashr_i32 s40, s39, 31
	s_delay_alu instid0(SALU_CYCLE_1) | instskip(SKIP_2) | instid1(SALU_CYCLE_1)
	s_add_u32 s42, s38, s40
	s_mov_b32 s41, s40
	s_addc_u32 s43, s39, s40
	s_xor_b64 s[42:43], s[42:43], s[40:41]
	s_delay_alu instid0(SALU_CYCLE_1) | instskip(SKIP_3) | instid1(VALU_DEP_1)
	v_cvt_f32_u32_e32 v3, s42
	v_cvt_f32_u32_e32 v12, s43
	s_sub_u32 s0, 0, s42
	s_subb_u32 s41, 0, s43
	v_fmac_f32_e32 v3, 0x4f800000, v12
	s_delay_alu instid0(VALU_DEP_1) | instskip(SKIP_2) | instid1(VALU_DEP_1)
	v_rcp_f32_e32 v3, v3
	s_waitcnt_depctr 0xfff
	v_mul_f32_e32 v3, 0x5f7ffffc, v3
	v_mul_f32_e32 v12, 0x2f800000, v3
	s_delay_alu instid0(VALU_DEP_1) | instskip(NEXT) | instid1(VALU_DEP_1)
	v_trunc_f32_e32 v12, v12
	v_fmac_f32_e32 v3, 0xcf800000, v12
	v_cvt_u32_f32_e32 v12, v12
	s_delay_alu instid0(VALU_DEP_2) | instskip(NEXT) | instid1(VALU_DEP_2)
	v_cvt_u32_f32_e32 v3, v3
	v_mul_lo_u32 v13, s0, v12
	s_delay_alu instid0(VALU_DEP_2) | instskip(SKIP_1) | instid1(VALU_DEP_2)
	v_mul_hi_u32 v14, s0, v3
	v_mul_lo_u32 v15, s41, v3
	v_add_nc_u32_e32 v13, v14, v13
	v_mul_lo_u32 v14, s0, v3
	s_delay_alu instid0(VALU_DEP_2) | instskip(NEXT) | instid1(VALU_DEP_2)
	v_add_nc_u32_e32 v13, v13, v15
	v_mul_hi_u32 v15, v3, v14
	s_delay_alu instid0(VALU_DEP_2)
	v_mul_lo_u32 v19, v3, v13
	v_mul_hi_u32 v20, v3, v13
	v_mul_hi_u32 v21, v12, v14
	v_mul_lo_u32 v14, v12, v14
	v_mul_hi_u32 v22, v12, v13
	v_mul_lo_u32 v13, v12, v13
	v_add_co_u32 v15, vcc_lo, v15, v19
	v_add_co_ci_u32_e32 v19, vcc_lo, 0, v20, vcc_lo
	s_delay_alu instid0(VALU_DEP_2) | instskip(NEXT) | instid1(VALU_DEP_2)
	v_add_co_u32 v14, vcc_lo, v15, v14
	v_add_co_ci_u32_e32 v14, vcc_lo, v19, v21, vcc_lo
	v_add_co_ci_u32_e32 v15, vcc_lo, 0, v22, vcc_lo
	v_ashrrev_i32_e32 v21, 31, v9
	s_delay_alu instid0(VALU_DEP_3) | instskip(NEXT) | instid1(VALU_DEP_3)
	v_add_co_u32 v13, vcc_lo, v14, v13
	v_add_co_ci_u32_e32 v14, vcc_lo, 0, v15, vcc_lo
	s_delay_alu instid0(VALU_DEP_2) | instskip(NEXT) | instid1(VALU_DEP_2)
	v_add_co_u32 v3, vcc_lo, v3, v13
	v_add_co_ci_u32_e32 v12, vcc_lo, v12, v14, vcc_lo
	s_delay_alu instid0(VALU_DEP_2) | instskip(SKIP_1) | instid1(VALU_DEP_3)
	v_mul_hi_u32 v13, s0, v3
	v_mul_lo_u32 v15, s41, v3
	v_mul_lo_u32 v14, s0, v12
	s_delay_alu instid0(VALU_DEP_1) | instskip(SKIP_1) | instid1(VALU_DEP_2)
	v_add_nc_u32_e32 v13, v13, v14
	v_mul_lo_u32 v14, s0, v3
	v_add_nc_u32_e32 v13, v13, v15
	s_delay_alu instid0(VALU_DEP_2) | instskip(NEXT) | instid1(VALU_DEP_2)
	v_mul_hi_u32 v15, v3, v14
	v_mul_lo_u32 v19, v3, v13
	v_mul_hi_u32 v20, v3, v13
	v_mul_hi_u32 v22, v12, v14
	v_mul_lo_u32 v14, v12, v14
	v_mul_hi_u32 v23, v12, v13
	v_mul_lo_u32 v13, v12, v13
	v_add_co_u32 v15, vcc_lo, v15, v19
	v_add_co_ci_u32_e32 v19, vcc_lo, 0, v20, vcc_lo
	s_delay_alu instid0(VALU_DEP_2) | instskip(NEXT) | instid1(VALU_DEP_2)
	v_add_co_u32 v14, vcc_lo, v15, v14
	v_add_co_ci_u32_e32 v14, vcc_lo, v19, v22, vcc_lo
	v_add_co_ci_u32_e32 v15, vcc_lo, 0, v23, vcc_lo
	v_add_co_u32 v19, vcc_lo, v8, v21
	v_add_co_ci_u32_e32 v20, vcc_lo, v9, v21, vcc_lo
	s_delay_alu instid0(VALU_DEP_4) | instskip(NEXT) | instid1(VALU_DEP_4)
	v_add_co_u32 v13, vcc_lo, v14, v13
	v_add_co_ci_u32_e32 v14, vcc_lo, 0, v15, vcc_lo
	s_delay_alu instid0(VALU_DEP_4) | instskip(NEXT) | instid1(VALU_DEP_3)
	v_xor_b32_e32 v22, v19, v21
	v_add_co_u32 v3, vcc_lo, v3, v13
	s_delay_alu instid0(VALU_DEP_3) | instskip(SKIP_1) | instid1(VALU_DEP_3)
	v_add_co_ci_u32_e32 v23, vcc_lo, v12, v14, vcc_lo
	v_xor_b32_e32 v24, v20, v21
	v_mul_hi_u32 v25, v22, v3
	s_delay_alu instid0(VALU_DEP_3) | instskip(NEXT) | instid1(VALU_DEP_3)
	v_mad_u64_u32 v[12:13], null, v22, v23, 0
	v_mad_u64_u32 v[14:15], null, v24, v3, 0
	;; [unrolled: 1-line block ×3, first 2 shown]
	s_delay_alu instid0(VALU_DEP_3) | instskip(NEXT) | instid1(VALU_DEP_4)
	v_add_co_u32 v3, vcc_lo, v25, v12
	v_add_co_ci_u32_e32 v12, vcc_lo, 0, v13, vcc_lo
	s_delay_alu instid0(VALU_DEP_2) | instskip(NEXT) | instid1(VALU_DEP_2)
	v_add_co_u32 v3, vcc_lo, v3, v14
	v_add_co_ci_u32_e32 v3, vcc_lo, v12, v15, vcc_lo
	v_add_co_ci_u32_e32 v12, vcc_lo, 0, v20, vcc_lo
	s_delay_alu instid0(VALU_DEP_2) | instskip(NEXT) | instid1(VALU_DEP_2)
	v_add_co_u32 v3, vcc_lo, v3, v19
	v_add_co_ci_u32_e32 v14, vcc_lo, 0, v12, vcc_lo
	s_delay_alu instid0(VALU_DEP_2) | instskip(SKIP_1) | instid1(VALU_DEP_3)
	v_mul_lo_u32 v15, s43, v3
	v_mad_u64_u32 v[12:13], null, s42, v3, 0
	v_mul_lo_u32 v19, s42, v14
	s_delay_alu instid0(VALU_DEP_2) | instskip(NEXT) | instid1(VALU_DEP_2)
	v_sub_co_u32 v12, vcc_lo, v22, v12
	v_add3_u32 v13, v13, v19, v15
	s_delay_alu instid0(VALU_DEP_1) | instskip(NEXT) | instid1(VALU_DEP_1)
	v_sub_nc_u32_e32 v15, v24, v13
	v_subrev_co_ci_u32_e64 v15, s0, s43, v15, vcc_lo
	v_add_co_u32 v19, s0, v3, 2
	s_delay_alu instid0(VALU_DEP_1) | instskip(SKIP_3) | instid1(VALU_DEP_3)
	v_add_co_ci_u32_e64 v20, s0, 0, v14, s0
	v_sub_co_u32 v22, s0, v12, s42
	v_sub_co_ci_u32_e32 v13, vcc_lo, v24, v13, vcc_lo
	v_subrev_co_ci_u32_e64 v15, s0, 0, v15, s0
	v_cmp_le_u32_e32 vcc_lo, s42, v22
	s_delay_alu instid0(VALU_DEP_3) | instskip(SKIP_1) | instid1(VALU_DEP_4)
	v_cmp_eq_u32_e64 s0, s43, v13
	v_cndmask_b32_e64 v22, 0, -1, vcc_lo
	v_cmp_le_u32_e32 vcc_lo, s43, v15
	v_cndmask_b32_e64 v23, 0, -1, vcc_lo
	v_cmp_le_u32_e32 vcc_lo, s42, v12
	;; [unrolled: 2-line block ×3, first 2 shown]
	v_cndmask_b32_e64 v24, 0, -1, vcc_lo
	v_cmp_eq_u32_e32 vcc_lo, s43, v15
	s_delay_alu instid0(VALU_DEP_2) | instskip(SKIP_3) | instid1(VALU_DEP_3)
	v_cndmask_b32_e64 v12, v24, v12, s0
	v_cndmask_b32_e32 v15, v23, v22, vcc_lo
	v_add_co_u32 v22, vcc_lo, v3, 1
	v_add_co_ci_u32_e32 v23, vcc_lo, 0, v14, vcc_lo
	v_cmp_ne_u32_e32 vcc_lo, 0, v15
	s_delay_alu instid0(VALU_DEP_2) | instskip(NEXT) | instid1(VALU_DEP_4)
	v_cndmask_b32_e32 v13, v23, v20, vcc_lo
	v_cndmask_b32_e32 v15, v22, v19, vcc_lo
	v_cmp_ne_u32_e32 vcc_lo, 0, v12
	v_xor_b32_e32 v19, s40, v21
	s_delay_alu instid0(VALU_DEP_3) | instskip(NEXT) | instid1(VALU_DEP_1)
	v_dual_cndmask_b32 v3, v3, v15 :: v_dual_cndmask_b32 v12, v14, v13
	v_xor_b32_e32 v3, v3, v19
	s_delay_alu instid0(VALU_DEP_2) | instskip(NEXT) | instid1(VALU_DEP_2)
	v_xor_b32_e32 v13, v12, v19
	v_sub_co_u32 v12, vcc_lo, v3, v19
	s_delay_alu instid0(VALU_DEP_2)
	v_sub_co_ci_u32_e32 v13, vcc_lo, v13, v19, vcc_lo
.LBB22_21:                              ;   in Loop: Header=BB22_19 Depth=2
	s_and_not1_saveexec_b32 s0, s27
	s_cbranch_execz .LBB22_18
; %bb.22:                               ;   in Loop: Header=BB22_19 Depth=2
	v_cvt_f32_u32_e32 v3, s38
	s_sub_i32 s27, 0, s38
	s_delay_alu instid0(VALU_DEP_1) | instskip(SKIP_2) | instid1(VALU_DEP_1)
	v_rcp_iflag_f32_e32 v3, v3
	s_waitcnt_depctr 0xfff
	v_mul_f32_e32 v3, 0x4f7ffffe, v3
	v_cvt_u32_f32_e32 v3, v3
	s_delay_alu instid0(VALU_DEP_1) | instskip(NEXT) | instid1(VALU_DEP_1)
	v_mul_lo_u32 v12, s27, v3
	v_mul_hi_u32 v12, v3, v12
	s_delay_alu instid0(VALU_DEP_1) | instskip(NEXT) | instid1(VALU_DEP_1)
	v_add_nc_u32_e32 v3, v3, v12
	v_mul_hi_u32 v3, v8, v3
	s_delay_alu instid0(VALU_DEP_1) | instskip(SKIP_1) | instid1(VALU_DEP_2)
	v_mul_lo_u32 v12, v3, s38
	v_add_nc_u32_e32 v13, 1, v3
	v_sub_nc_u32_e32 v12, v8, v12
	s_delay_alu instid0(VALU_DEP_1) | instskip(SKIP_1) | instid1(VALU_DEP_2)
	v_subrev_nc_u32_e32 v14, s38, v12
	v_cmp_le_u32_e32 vcc_lo, s38, v12
	v_dual_cndmask_b32 v12, v12, v14 :: v_dual_cndmask_b32 v3, v3, v13
	s_delay_alu instid0(VALU_DEP_1) | instskip(NEXT) | instid1(VALU_DEP_2)
	v_cmp_le_u32_e32 vcc_lo, s38, v12
	v_add_nc_u32_e32 v13, 1, v3
	s_delay_alu instid0(VALU_DEP_1)
	v_dual_cndmask_b32 v12, v3, v13 :: v_dual_mov_b32 v13, v2
	s_branch .LBB22_18
.LBB22_23:
	s_nop 0
	s_sendmsg sendmsg(MSG_DEALLOC_VGPRS)
	s_endpgm
	.section	.rodata,"a",@progbits
	.p2align	6, 0x0
	.amdhsa_kernel _ZN2at6native16triu_tril_kernelIdlLb0ELi2ELb1EEEvNS_4cuda6detail10TensorInfoIT_T0_EENS4_IKS5_S6_EEllS6_
		.amdhsa_group_segment_fixed_size 0
		.amdhsa_private_segment_fixed_size 0
		.amdhsa_kernarg_size 1112
		.amdhsa_user_sgpr_count 15
		.amdhsa_user_sgpr_dispatch_ptr 0
		.amdhsa_user_sgpr_queue_ptr 0
		.amdhsa_user_sgpr_kernarg_segment_ptr 1
		.amdhsa_user_sgpr_dispatch_id 0
		.amdhsa_user_sgpr_private_segment_size 0
		.amdhsa_wavefront_size32 1
		.amdhsa_uses_dynamic_stack 0
		.amdhsa_enable_private_segment 0
		.amdhsa_system_sgpr_workgroup_id_x 1
		.amdhsa_system_sgpr_workgroup_id_y 0
		.amdhsa_system_sgpr_workgroup_id_z 0
		.amdhsa_system_sgpr_workgroup_info 0
		.amdhsa_system_vgpr_workitem_id 0
		.amdhsa_next_free_vgpr 26
		.amdhsa_next_free_sgpr 45
		.amdhsa_reserve_vcc 1
		.amdhsa_float_round_mode_32 0
		.amdhsa_float_round_mode_16_64 0
		.amdhsa_float_denorm_mode_32 3
		.amdhsa_float_denorm_mode_16_64 3
		.amdhsa_dx10_clamp 1
		.amdhsa_ieee_mode 1
		.amdhsa_fp16_overflow 0
		.amdhsa_workgroup_processor_mode 1
		.amdhsa_memory_ordered 1
		.amdhsa_forward_progress 0
		.amdhsa_shared_vgpr_count 0
		.amdhsa_exception_fp_ieee_invalid_op 0
		.amdhsa_exception_fp_denorm_src 0
		.amdhsa_exception_fp_ieee_div_zero 0
		.amdhsa_exception_fp_ieee_overflow 0
		.amdhsa_exception_fp_ieee_underflow 0
		.amdhsa_exception_fp_ieee_inexact 0
		.amdhsa_exception_int_div_zero 0
	.end_amdhsa_kernel
	.section	.text._ZN2at6native16triu_tril_kernelIdlLb0ELi2ELb1EEEvNS_4cuda6detail10TensorInfoIT_T0_EENS4_IKS5_S6_EEllS6_,"axG",@progbits,_ZN2at6native16triu_tril_kernelIdlLb0ELi2ELb1EEEvNS_4cuda6detail10TensorInfoIT_T0_EENS4_IKS5_S6_EEllS6_,comdat
.Lfunc_end22:
	.size	_ZN2at6native16triu_tril_kernelIdlLb0ELi2ELb1EEEvNS_4cuda6detail10TensorInfoIT_T0_EENS4_IKS5_S6_EEllS6_, .Lfunc_end22-_ZN2at6native16triu_tril_kernelIdlLb0ELi2ELb1EEEvNS_4cuda6detail10TensorInfoIT_T0_EENS4_IKS5_S6_EEllS6_
                                        ; -- End function
	.section	.AMDGPU.csdata,"",@progbits
; Kernel info:
; codeLenInByte = 3916
; NumSgprs: 47
; NumVgprs: 26
; ScratchSize: 0
; MemoryBound: 0
; FloatMode: 240
; IeeeMode: 1
; LDSByteSize: 0 bytes/workgroup (compile time only)
; SGPRBlocks: 5
; VGPRBlocks: 3
; NumSGPRsForWavesPerEU: 47
; NumVGPRsForWavesPerEU: 26
; Occupancy: 16
; WaveLimiterHint : 0
; COMPUTE_PGM_RSRC2:SCRATCH_EN: 0
; COMPUTE_PGM_RSRC2:USER_SGPR: 15
; COMPUTE_PGM_RSRC2:TRAP_HANDLER: 0
; COMPUTE_PGM_RSRC2:TGID_X_EN: 1
; COMPUTE_PGM_RSRC2:TGID_Y_EN: 0
; COMPUTE_PGM_RSRC2:TGID_Z_EN: 0
; COMPUTE_PGM_RSRC2:TIDIG_COMP_CNT: 0
	.section	.text._ZN2at6native16triu_tril_kernelIdlLb0ELi2ELb0EEEvNS_4cuda6detail10TensorInfoIT_T0_EENS4_IKS5_S6_EEllS6_,"axG",@progbits,_ZN2at6native16triu_tril_kernelIdlLb0ELi2ELb0EEEvNS_4cuda6detail10TensorInfoIT_T0_EENS4_IKS5_S6_EEllS6_,comdat
	.protected	_ZN2at6native16triu_tril_kernelIdlLb0ELi2ELb0EEEvNS_4cuda6detail10TensorInfoIT_T0_EENS4_IKS5_S6_EEllS6_ ; -- Begin function _ZN2at6native16triu_tril_kernelIdlLb0ELi2ELb0EEEvNS_4cuda6detail10TensorInfoIT_T0_EENS4_IKS5_S6_EEllS6_
	.globl	_ZN2at6native16triu_tril_kernelIdlLb0ELi2ELb0EEEvNS_4cuda6detail10TensorInfoIT_T0_EENS4_IKS5_S6_EEllS6_
	.p2align	8
	.type	_ZN2at6native16triu_tril_kernelIdlLb0ELi2ELb0EEEvNS_4cuda6detail10TensorInfoIT_T0_EENS4_IKS5_S6_EEllS6_,@function
_ZN2at6native16triu_tril_kernelIdlLb0ELi2ELb0EEEvNS_4cuda6detail10TensorInfoIT_T0_EENS4_IKS5_S6_EEllS6_: ; @_ZN2at6native16triu_tril_kernelIdlLb0ELi2ELb0EEEvNS_4cuda6detail10TensorInfoIT_T0_EENS4_IKS5_S6_EEllS6_
; %bb.0:
	s_clause 0x1
	s_load_b32 s2, s[0:1], 0x364
	s_load_b128 s[4:7], s[0:1], 0x340
	v_mov_b32_e32 v2, 0
	s_add_u32 s8, s0, 0x358
	s_addc_u32 s9, s1, 0
	s_delay_alu instid0(VALU_DEP_1) | instskip(SKIP_3) | instid1(VALU_DEP_1)
	v_mov_b32_e32 v1, v2
	s_waitcnt lgkmcnt(0)
	s_and_b32 s24, s2, 0xffff
	s_mov_b32 s2, exec_lo
	v_mad_u64_u32 v[3:4], null, s24, s15, v[0:1]
	s_delay_alu instid0(VALU_DEP_1) | instskip(NEXT) | instid1(VALU_DEP_1)
	v_lshlrev_b64 v[0:1], 1, v[3:4]
	v_cmpx_gt_i64_e64 s[6:7], v[0:1]
	s_cbranch_execz .LBB23_26
; %bb.1:
	s_clause 0x1
	s_load_b32 s26, s[0:1], 0x338
	s_load_b64 s[2:3], s[0:1], 0x350
	s_add_u32 s10, s0, 0x1a0
	s_addc_u32 s11, s1, 0
	s_load_b32 s25, s[8:9], 0x0
	s_clause 0x1
	s_load_b64 s[20:21], s[0:1], 0x1a0
	s_load_b64 s[22:23], s[0:1], 0x0
	s_mov_b32 s46, 0
	s_waitcnt lgkmcnt(0)
	s_ashr_i32 s27, s26, 31
	s_add_u32 s30, s0, 0x1a8
	s_addc_u32 s31, s1, 0
	s_lshl_b64 s[8:9], s[26:27], 3
	v_cvt_f32_u32_e32 v3, s2
	s_add_u32 s14, s8, -16
	s_addc_u32 s15, s9, -1
	s_add_u32 s8, s30, s14
	s_addc_u32 s9, s31, s15
	s_add_u32 s12, s10, s14
	s_addc_u32 s13, s11, s15
	;; [unrolled: 2-line block ×4, first 2 shown]
	s_clause 0x2
	s_load_b128 s[8:11], s[8:9], 0x0
	s_load_b128 s[12:15], s[12:13], 0xd0
	;; [unrolled: 1-line block ×3, first 2 shown]
	v_rcp_iflag_f32_e32 v3, v3
	s_add_i32 s28, s26, -3
	s_mul_i32 s25, s25, s24
	s_ashr_i32 s29, s28, 31
	v_cmp_gt_i64_e64 s1, s[26:27], 2
	s_lshl_b64 s[26:27], s[28:29], 3
	s_lshl_b32 s33, s25, 1
	s_add_u32 s24, s34, s26
	s_addc_u32 s25, s35, s27
	s_add_u32 s26, s30, s26
	s_waitcnt_depctr 0xfff
	v_mul_f32_e32 v3, 0x4f7ffffe, v3
	s_addc_u32 s27, s31, s27
	s_add_u32 s28, s28, 1
	s_addc_u32 s29, s29, 0
	s_ashr_i32 s30, s3, 31
	v_cvt_u32_f32_e32 v18, v3
	s_branch .LBB23_3
.LBB23_2:                               ;   in Loop: Header=BB23_3 Depth=1
	s_or_b32 exec_lo, exec_lo, s0
	v_add_co_u32 v0, vcc_lo, v0, s33
	v_add_co_ci_u32_e32 v1, vcc_lo, 0, v1, vcc_lo
	s_delay_alu instid0(VALU_DEP_1) | instskip(SKIP_1) | instid1(SALU_CYCLE_1)
	v_cmp_le_i64_e32 vcc_lo, s[6:7], v[0:1]
	s_or_b32 s46, vcc_lo, s46
	s_and_not1_b32 exec_lo, exec_lo, s46
	s_cbranch_execz .LBB23_26
.LBB23_3:                               ; =>This Loop Header: Depth=1
                                        ;     Child Loop BB23_22 Depth 2
	v_or_b32_e32 v3, s3, v1
                                        ; implicit-def: $vgpr8_vgpr9
	s_mov_b32 s0, exec_lo
	s_delay_alu instid0(VALU_DEP_1)
	v_cmpx_ne_u64_e32 0, v[2:3]
	s_xor_b32 s36, exec_lo, s0
	s_cbranch_execz .LBB23_5
; %bb.4:                                ;   in Loop: Header=BB23_3 Depth=1
	s_add_u32 s34, s2, s30
	s_mov_b32 s31, s30
	s_addc_u32 s35, s3, s30
	s_delay_alu instid0(SALU_CYCLE_1) | instskip(NEXT) | instid1(SALU_CYCLE_1)
	s_xor_b64 s[34:35], s[34:35], s[30:31]
	v_cvt_f32_u32_e32 v3, s34
	v_cvt_f32_u32_e32 v4, s35
	s_sub_u32 s0, 0, s34
	s_subb_u32 s31, 0, s35
	s_delay_alu instid0(VALU_DEP_1) | instskip(NEXT) | instid1(VALU_DEP_1)
	v_fmac_f32_e32 v3, 0x4f800000, v4
	v_rcp_f32_e32 v3, v3
	s_waitcnt_depctr 0xfff
	v_mul_f32_e32 v3, 0x5f7ffffc, v3
	s_delay_alu instid0(VALU_DEP_1) | instskip(NEXT) | instid1(VALU_DEP_1)
	v_mul_f32_e32 v4, 0x2f800000, v3
	v_trunc_f32_e32 v4, v4
	s_delay_alu instid0(VALU_DEP_1) | instskip(SKIP_1) | instid1(VALU_DEP_2)
	v_fmac_f32_e32 v3, 0xcf800000, v4
	v_cvt_u32_f32_e32 v4, v4
	v_cvt_u32_f32_e32 v3, v3
	s_delay_alu instid0(VALU_DEP_2) | instskip(NEXT) | instid1(VALU_DEP_2)
	v_mul_lo_u32 v5, s0, v4
	v_mul_hi_u32 v6, s0, v3
	v_mul_lo_u32 v7, s31, v3
	s_delay_alu instid0(VALU_DEP_2) | instskip(SKIP_1) | instid1(VALU_DEP_2)
	v_add_nc_u32_e32 v5, v6, v5
	v_mul_lo_u32 v6, s0, v3
	v_add_nc_u32_e32 v5, v5, v7
	s_delay_alu instid0(VALU_DEP_2) | instskip(NEXT) | instid1(VALU_DEP_2)
	v_mul_hi_u32 v7, v3, v6
	v_mul_lo_u32 v8, v3, v5
	v_mul_hi_u32 v9, v3, v5
	v_mul_hi_u32 v10, v4, v6
	v_mul_lo_u32 v6, v4, v6
	v_mul_hi_u32 v11, v4, v5
	v_mul_lo_u32 v5, v4, v5
	v_add_co_u32 v7, vcc_lo, v7, v8
	v_add_co_ci_u32_e32 v8, vcc_lo, 0, v9, vcc_lo
	s_delay_alu instid0(VALU_DEP_2) | instskip(NEXT) | instid1(VALU_DEP_2)
	v_add_co_u32 v6, vcc_lo, v7, v6
	v_add_co_ci_u32_e32 v6, vcc_lo, v8, v10, vcc_lo
	v_add_co_ci_u32_e32 v7, vcc_lo, 0, v11, vcc_lo
	v_ashrrev_i32_e32 v10, 31, v1
	s_delay_alu instid0(VALU_DEP_3) | instskip(NEXT) | instid1(VALU_DEP_3)
	v_add_co_u32 v5, vcc_lo, v6, v5
	v_add_co_ci_u32_e32 v6, vcc_lo, 0, v7, vcc_lo
	s_delay_alu instid0(VALU_DEP_2) | instskip(NEXT) | instid1(VALU_DEP_2)
	v_add_co_u32 v3, vcc_lo, v3, v5
	v_add_co_ci_u32_e32 v4, vcc_lo, v4, v6, vcc_lo
	s_delay_alu instid0(VALU_DEP_2) | instskip(SKIP_1) | instid1(VALU_DEP_3)
	v_mul_hi_u32 v5, s0, v3
	v_mul_lo_u32 v7, s31, v3
	v_mul_lo_u32 v6, s0, v4
	s_delay_alu instid0(VALU_DEP_1) | instskip(SKIP_1) | instid1(VALU_DEP_2)
	v_add_nc_u32_e32 v5, v5, v6
	v_mul_lo_u32 v6, s0, v3
	v_add_nc_u32_e32 v5, v5, v7
	s_delay_alu instid0(VALU_DEP_2) | instskip(NEXT) | instid1(VALU_DEP_2)
	v_mul_hi_u32 v7, v3, v6
	v_mul_lo_u32 v8, v3, v5
	v_mul_hi_u32 v9, v3, v5
	v_mul_hi_u32 v11, v4, v6
	v_mul_lo_u32 v6, v4, v6
	v_mul_hi_u32 v12, v4, v5
	v_mul_lo_u32 v5, v4, v5
	v_add_co_u32 v7, vcc_lo, v7, v8
	v_add_co_ci_u32_e32 v8, vcc_lo, 0, v9, vcc_lo
	s_delay_alu instid0(VALU_DEP_2) | instskip(NEXT) | instid1(VALU_DEP_2)
	v_add_co_u32 v6, vcc_lo, v7, v6
	v_add_co_ci_u32_e32 v6, vcc_lo, v8, v11, vcc_lo
	v_add_co_ci_u32_e32 v7, vcc_lo, 0, v12, vcc_lo
	v_add_co_u32 v8, vcc_lo, v0, v10
	v_add_co_ci_u32_e32 v9, vcc_lo, v1, v10, vcc_lo
	s_delay_alu instid0(VALU_DEP_4) | instskip(NEXT) | instid1(VALU_DEP_4)
	v_add_co_u32 v5, vcc_lo, v6, v5
	v_add_co_ci_u32_e32 v6, vcc_lo, 0, v7, vcc_lo
	s_delay_alu instid0(VALU_DEP_4) | instskip(NEXT) | instid1(VALU_DEP_3)
	v_xor_b32_e32 v11, v8, v10
	v_add_co_u32 v7, vcc_lo, v3, v5
	s_delay_alu instid0(VALU_DEP_3) | instskip(SKIP_1) | instid1(VALU_DEP_3)
	v_add_co_ci_u32_e32 v12, vcc_lo, v4, v6, vcc_lo
	v_xor_b32_e32 v9, v9, v10
	v_mul_hi_u32 v13, v11, v7
	s_delay_alu instid0(VALU_DEP_3) | instskip(NEXT) | instid1(VALU_DEP_3)
	v_mad_u64_u32 v[3:4], null, v11, v12, 0
	v_mad_u64_u32 v[5:6], null, v9, v7, 0
	;; [unrolled: 1-line block ×3, first 2 shown]
	s_delay_alu instid0(VALU_DEP_3) | instskip(NEXT) | instid1(VALU_DEP_4)
	v_add_co_u32 v3, vcc_lo, v13, v3
	v_add_co_ci_u32_e32 v4, vcc_lo, 0, v4, vcc_lo
	s_delay_alu instid0(VALU_DEP_2) | instskip(NEXT) | instid1(VALU_DEP_2)
	v_add_co_u32 v3, vcc_lo, v3, v5
	v_add_co_ci_u32_e32 v3, vcc_lo, v4, v6, vcc_lo
	v_add_co_ci_u32_e32 v4, vcc_lo, 0, v8, vcc_lo
	s_delay_alu instid0(VALU_DEP_2) | instskip(NEXT) | instid1(VALU_DEP_2)
	v_add_co_u32 v5, vcc_lo, v3, v7
	v_add_co_ci_u32_e32 v6, vcc_lo, 0, v4, vcc_lo
	s_delay_alu instid0(VALU_DEP_2) | instskip(SKIP_1) | instid1(VALU_DEP_3)
	v_mul_lo_u32 v7, s35, v5
	v_mad_u64_u32 v[3:4], null, s34, v5, 0
	v_mul_lo_u32 v8, s34, v6
	s_delay_alu instid0(VALU_DEP_2) | instskip(NEXT) | instid1(VALU_DEP_2)
	v_sub_co_u32 v3, vcc_lo, v11, v3
	v_add3_u32 v4, v4, v8, v7
	s_delay_alu instid0(VALU_DEP_1) | instskip(NEXT) | instid1(VALU_DEP_1)
	v_sub_nc_u32_e32 v7, v9, v4
	v_subrev_co_ci_u32_e64 v7, s0, s35, v7, vcc_lo
	v_add_co_u32 v8, s0, v5, 2
	s_delay_alu instid0(VALU_DEP_1) | instskip(SKIP_3) | instid1(VALU_DEP_3)
	v_add_co_ci_u32_e64 v11, s0, 0, v6, s0
	v_sub_co_u32 v12, s0, v3, s34
	v_sub_co_ci_u32_e32 v4, vcc_lo, v9, v4, vcc_lo
	v_subrev_co_ci_u32_e64 v7, s0, 0, v7, s0
	v_cmp_le_u32_e32 vcc_lo, s34, v12
	s_delay_alu instid0(VALU_DEP_3) | instskip(SKIP_1) | instid1(VALU_DEP_4)
	v_cmp_eq_u32_e64 s0, s35, v4
	v_cndmask_b32_e64 v9, 0, -1, vcc_lo
	v_cmp_le_u32_e32 vcc_lo, s35, v7
	v_cndmask_b32_e64 v12, 0, -1, vcc_lo
	v_cmp_le_u32_e32 vcc_lo, s34, v3
	;; [unrolled: 2-line block ×3, first 2 shown]
	v_cndmask_b32_e64 v13, 0, -1, vcc_lo
	v_cmp_eq_u32_e32 vcc_lo, s35, v7
	s_delay_alu instid0(VALU_DEP_2) | instskip(SKIP_3) | instid1(VALU_DEP_3)
	v_cndmask_b32_e64 v3, v13, v3, s0
	v_cndmask_b32_e32 v7, v12, v9, vcc_lo
	v_add_co_u32 v9, vcc_lo, v5, 1
	v_add_co_ci_u32_e32 v12, vcc_lo, 0, v6, vcc_lo
	v_cmp_ne_u32_e32 vcc_lo, 0, v7
	s_delay_alu instid0(VALU_DEP_2) | instskip(SKIP_2) | instid1(VALU_DEP_3)
	v_dual_cndmask_b32 v4, v12, v11 :: v_dual_cndmask_b32 v7, v9, v8
	v_cmp_ne_u32_e32 vcc_lo, 0, v3
	v_xor_b32_e32 v3, s30, v10
	v_dual_cndmask_b32 v5, v5, v7 :: v_dual_cndmask_b32 v4, v6, v4
	s_delay_alu instid0(VALU_DEP_1) | instskip(NEXT) | instid1(VALU_DEP_2)
	v_xor_b32_e32 v5, v5, v3
	v_xor_b32_e32 v4, v4, v3
	s_delay_alu instid0(VALU_DEP_2) | instskip(NEXT) | instid1(VALU_DEP_2)
	v_sub_co_u32 v8, vcc_lo, v5, v3
	v_sub_co_ci_u32_e32 v9, vcc_lo, v4, v3, vcc_lo
.LBB23_5:                               ;   in Loop: Header=BB23_3 Depth=1
	s_and_not1_saveexec_b32 s0, s36
	s_cbranch_execz .LBB23_7
; %bb.6:                                ;   in Loop: Header=BB23_3 Depth=1
	s_sub_i32 s31, 0, s2
	v_mov_b32_e32 v9, v2
	v_mul_lo_u32 v3, s31, v18
	s_delay_alu instid0(VALU_DEP_1) | instskip(NEXT) | instid1(VALU_DEP_1)
	v_mul_hi_u32 v3, v18, v3
	v_add_nc_u32_e32 v3, v18, v3
	s_delay_alu instid0(VALU_DEP_1) | instskip(NEXT) | instid1(VALU_DEP_1)
	v_mul_hi_u32 v3, v0, v3
	v_mul_lo_u32 v4, v3, s2
	v_add_nc_u32_e32 v5, 1, v3
	s_delay_alu instid0(VALU_DEP_2) | instskip(NEXT) | instid1(VALU_DEP_1)
	v_sub_nc_u32_e32 v4, v0, v4
	v_subrev_nc_u32_e32 v6, s2, v4
	v_cmp_le_u32_e32 vcc_lo, s2, v4
	s_delay_alu instid0(VALU_DEP_2) | instskip(NEXT) | instid1(VALU_DEP_1)
	v_dual_cndmask_b32 v4, v4, v6 :: v_dual_cndmask_b32 v3, v3, v5
	v_cmp_le_u32_e32 vcc_lo, s2, v4
	s_delay_alu instid0(VALU_DEP_2) | instskip(NEXT) | instid1(VALU_DEP_1)
	v_add_nc_u32_e32 v5, 1, v3
	v_cndmask_b32_e32 v8, v3, v5, vcc_lo
.LBB23_7:                               ;   in Loop: Header=BB23_3 Depth=1
	s_or_b32 exec_lo, exec_lo, s0
	s_waitcnt lgkmcnt(0)
	v_or_b32_e32 v3, s9, v9
                                        ; implicit-def: $vgpr6_vgpr7
	s_mov_b32 s0, exec_lo
	s_delay_alu instid0(VALU_DEP_1)
	v_cmpx_ne_u64_e32 0, v[2:3]
	s_xor_b32 s31, exec_lo, s0
	s_cbranch_execz .LBB23_9
; %bb.8:                                ;   in Loop: Header=BB23_3 Depth=1
	s_ashr_i32 s34, s9, 31
	s_delay_alu instid0(SALU_CYCLE_1) | instskip(SKIP_2) | instid1(SALU_CYCLE_1)
	s_add_u32 s36, s8, s34
	s_mov_b32 s35, s34
	s_addc_u32 s37, s9, s34
	s_xor_b64 s[36:37], s[36:37], s[34:35]
	s_delay_alu instid0(SALU_CYCLE_1) | instskip(SKIP_3) | instid1(VALU_DEP_1)
	v_cvt_f32_u32_e32 v3, s36
	v_cvt_f32_u32_e32 v4, s37
	s_sub_u32 s0, 0, s36
	s_subb_u32 s35, 0, s37
	v_fmac_f32_e32 v3, 0x4f800000, v4
	s_delay_alu instid0(VALU_DEP_1) | instskip(SKIP_2) | instid1(VALU_DEP_1)
	v_rcp_f32_e32 v3, v3
	s_waitcnt_depctr 0xfff
	v_mul_f32_e32 v3, 0x5f7ffffc, v3
	v_mul_f32_e32 v4, 0x2f800000, v3
	s_delay_alu instid0(VALU_DEP_1) | instskip(NEXT) | instid1(VALU_DEP_1)
	v_trunc_f32_e32 v4, v4
	v_fmac_f32_e32 v3, 0xcf800000, v4
	v_cvt_u32_f32_e32 v4, v4
	s_delay_alu instid0(VALU_DEP_2) | instskip(NEXT) | instid1(VALU_DEP_2)
	v_cvt_u32_f32_e32 v3, v3
	v_mul_lo_u32 v5, s0, v4
	s_delay_alu instid0(VALU_DEP_2) | instskip(SKIP_1) | instid1(VALU_DEP_2)
	v_mul_hi_u32 v6, s0, v3
	v_mul_lo_u32 v7, s35, v3
	v_add_nc_u32_e32 v5, v6, v5
	v_mul_lo_u32 v6, s0, v3
	s_delay_alu instid0(VALU_DEP_2) | instskip(NEXT) | instid1(VALU_DEP_2)
	v_add_nc_u32_e32 v5, v5, v7
	v_mul_hi_u32 v7, v3, v6
	s_delay_alu instid0(VALU_DEP_2)
	v_mul_lo_u32 v10, v3, v5
	v_mul_hi_u32 v11, v3, v5
	v_mul_hi_u32 v12, v4, v6
	v_mul_lo_u32 v6, v4, v6
	v_mul_hi_u32 v13, v4, v5
	v_mul_lo_u32 v5, v4, v5
	v_add_co_u32 v7, vcc_lo, v7, v10
	v_add_co_ci_u32_e32 v10, vcc_lo, 0, v11, vcc_lo
	s_delay_alu instid0(VALU_DEP_2) | instskip(NEXT) | instid1(VALU_DEP_2)
	v_add_co_u32 v6, vcc_lo, v7, v6
	v_add_co_ci_u32_e32 v6, vcc_lo, v10, v12, vcc_lo
	v_add_co_ci_u32_e32 v7, vcc_lo, 0, v13, vcc_lo
	v_ashrrev_i32_e32 v12, 31, v9
	s_delay_alu instid0(VALU_DEP_3) | instskip(NEXT) | instid1(VALU_DEP_3)
	v_add_co_u32 v5, vcc_lo, v6, v5
	v_add_co_ci_u32_e32 v6, vcc_lo, 0, v7, vcc_lo
	s_delay_alu instid0(VALU_DEP_2) | instskip(NEXT) | instid1(VALU_DEP_2)
	v_add_co_u32 v3, vcc_lo, v3, v5
	v_add_co_ci_u32_e32 v4, vcc_lo, v4, v6, vcc_lo
	s_delay_alu instid0(VALU_DEP_2) | instskip(SKIP_1) | instid1(VALU_DEP_3)
	v_mul_hi_u32 v5, s0, v3
	v_mul_lo_u32 v7, s35, v3
	v_mul_lo_u32 v6, s0, v4
	s_delay_alu instid0(VALU_DEP_1) | instskip(SKIP_1) | instid1(VALU_DEP_2)
	v_add_nc_u32_e32 v5, v5, v6
	v_mul_lo_u32 v6, s0, v3
	v_add_nc_u32_e32 v5, v5, v7
	s_delay_alu instid0(VALU_DEP_2) | instskip(NEXT) | instid1(VALU_DEP_2)
	v_mul_hi_u32 v7, v3, v6
	v_mul_lo_u32 v10, v3, v5
	v_mul_hi_u32 v11, v3, v5
	v_mul_hi_u32 v13, v4, v6
	v_mul_lo_u32 v6, v4, v6
	v_mul_hi_u32 v14, v4, v5
	v_mul_lo_u32 v5, v4, v5
	v_add_co_u32 v7, vcc_lo, v7, v10
	v_add_co_ci_u32_e32 v10, vcc_lo, 0, v11, vcc_lo
	s_delay_alu instid0(VALU_DEP_2) | instskip(NEXT) | instid1(VALU_DEP_2)
	v_add_co_u32 v6, vcc_lo, v7, v6
	v_add_co_ci_u32_e32 v6, vcc_lo, v10, v13, vcc_lo
	v_add_co_ci_u32_e32 v7, vcc_lo, 0, v14, vcc_lo
	v_add_co_u32 v10, vcc_lo, v8, v12
	v_add_co_ci_u32_e32 v11, vcc_lo, v9, v12, vcc_lo
	s_delay_alu instid0(VALU_DEP_4) | instskip(NEXT) | instid1(VALU_DEP_4)
	v_add_co_u32 v5, vcc_lo, v6, v5
	v_add_co_ci_u32_e32 v6, vcc_lo, 0, v7, vcc_lo
	s_delay_alu instid0(VALU_DEP_4) | instskip(NEXT) | instid1(VALU_DEP_3)
	v_xor_b32_e32 v7, v10, v12
	v_add_co_u32 v10, vcc_lo, v3, v5
	s_delay_alu instid0(VALU_DEP_3) | instskip(SKIP_1) | instid1(VALU_DEP_3)
	v_add_co_ci_u32_e32 v13, vcc_lo, v4, v6, vcc_lo
	v_xor_b32_e32 v14, v11, v12
	v_mul_hi_u32 v15, v7, v10
	s_delay_alu instid0(VALU_DEP_3) | instskip(NEXT) | instid1(VALU_DEP_3)
	v_mad_u64_u32 v[3:4], null, v7, v13, 0
	v_mad_u64_u32 v[5:6], null, v14, v10, 0
	;; [unrolled: 1-line block ×3, first 2 shown]
	s_delay_alu instid0(VALU_DEP_3) | instskip(NEXT) | instid1(VALU_DEP_4)
	v_add_co_u32 v3, vcc_lo, v15, v3
	v_add_co_ci_u32_e32 v4, vcc_lo, 0, v4, vcc_lo
	s_delay_alu instid0(VALU_DEP_2) | instskip(NEXT) | instid1(VALU_DEP_2)
	v_add_co_u32 v3, vcc_lo, v3, v5
	v_add_co_ci_u32_e32 v3, vcc_lo, v4, v6, vcc_lo
	v_add_co_ci_u32_e32 v4, vcc_lo, 0, v11, vcc_lo
	s_delay_alu instid0(VALU_DEP_2) | instskip(NEXT) | instid1(VALU_DEP_2)
	v_add_co_u32 v5, vcc_lo, v3, v10
	v_add_co_ci_u32_e32 v6, vcc_lo, 0, v4, vcc_lo
	s_delay_alu instid0(VALU_DEP_2) | instskip(SKIP_1) | instid1(VALU_DEP_3)
	v_mul_lo_u32 v10, s37, v5
	v_mad_u64_u32 v[3:4], null, s36, v5, 0
	v_mul_lo_u32 v11, s36, v6
	s_delay_alu instid0(VALU_DEP_2) | instskip(NEXT) | instid1(VALU_DEP_2)
	v_sub_co_u32 v3, vcc_lo, v7, v3
	v_add3_u32 v4, v4, v11, v10
	s_delay_alu instid0(VALU_DEP_1) | instskip(NEXT) | instid1(VALU_DEP_1)
	v_sub_nc_u32_e32 v10, v14, v4
	v_subrev_co_ci_u32_e64 v7, s0, s37, v10, vcc_lo
	v_add_co_u32 v10, s0, v5, 2
	s_delay_alu instid0(VALU_DEP_1) | instskip(SKIP_3) | instid1(VALU_DEP_3)
	v_add_co_ci_u32_e64 v11, s0, 0, v6, s0
	v_sub_co_u32 v13, s0, v3, s36
	v_sub_co_ci_u32_e32 v4, vcc_lo, v14, v4, vcc_lo
	v_subrev_co_ci_u32_e64 v7, s0, 0, v7, s0
	v_cmp_le_u32_e32 vcc_lo, s36, v13
	s_delay_alu instid0(VALU_DEP_3) | instskip(SKIP_1) | instid1(VALU_DEP_4)
	v_cmp_eq_u32_e64 s0, s37, v4
	v_cndmask_b32_e64 v13, 0, -1, vcc_lo
	v_cmp_le_u32_e32 vcc_lo, s37, v7
	v_cndmask_b32_e64 v14, 0, -1, vcc_lo
	v_cmp_le_u32_e32 vcc_lo, s36, v3
	;; [unrolled: 2-line block ×3, first 2 shown]
	v_cndmask_b32_e64 v15, 0, -1, vcc_lo
	v_cmp_eq_u32_e32 vcc_lo, s37, v7
	s_delay_alu instid0(VALU_DEP_2) | instskip(SKIP_3) | instid1(VALU_DEP_3)
	v_cndmask_b32_e64 v3, v15, v3, s0
	v_cndmask_b32_e32 v7, v14, v13, vcc_lo
	v_add_co_u32 v13, vcc_lo, v5, 1
	v_add_co_ci_u32_e32 v14, vcc_lo, 0, v6, vcc_lo
	v_cmp_ne_u32_e32 vcc_lo, 0, v7
	s_delay_alu instid0(VALU_DEP_2) | instskip(SKIP_2) | instid1(VALU_DEP_3)
	v_dual_cndmask_b32 v4, v14, v11 :: v_dual_cndmask_b32 v7, v13, v10
	v_cmp_ne_u32_e32 vcc_lo, 0, v3
	v_xor_b32_e32 v3, s34, v12
	v_dual_cndmask_b32 v5, v5, v7 :: v_dual_cndmask_b32 v4, v6, v4
	s_delay_alu instid0(VALU_DEP_1) | instskip(NEXT) | instid1(VALU_DEP_2)
	v_xor_b32_e32 v5, v5, v3
	v_xor_b32_e32 v4, v4, v3
	s_delay_alu instid0(VALU_DEP_2) | instskip(NEXT) | instid1(VALU_DEP_2)
	v_sub_co_u32 v6, vcc_lo, v5, v3
	v_sub_co_ci_u32_e32 v7, vcc_lo, v4, v3, vcc_lo
.LBB23_9:                               ;   in Loop: Header=BB23_3 Depth=1
	s_and_not1_saveexec_b32 s0, s31
	s_cbranch_execz .LBB23_11
; %bb.10:                               ;   in Loop: Header=BB23_3 Depth=1
	v_cvt_f32_u32_e32 v3, s8
	s_sub_i32 s31, 0, s8
	v_mov_b32_e32 v7, v2
	s_delay_alu instid0(VALU_DEP_2) | instskip(SKIP_2) | instid1(VALU_DEP_1)
	v_rcp_iflag_f32_e32 v3, v3
	s_waitcnt_depctr 0xfff
	v_mul_f32_e32 v3, 0x4f7ffffe, v3
	v_cvt_u32_f32_e32 v3, v3
	s_delay_alu instid0(VALU_DEP_1) | instskip(NEXT) | instid1(VALU_DEP_1)
	v_mul_lo_u32 v4, s31, v3
	v_mul_hi_u32 v4, v3, v4
	s_delay_alu instid0(VALU_DEP_1) | instskip(NEXT) | instid1(VALU_DEP_1)
	v_add_nc_u32_e32 v3, v3, v4
	v_mul_hi_u32 v3, v8, v3
	s_delay_alu instid0(VALU_DEP_1) | instskip(SKIP_1) | instid1(VALU_DEP_2)
	v_mul_lo_u32 v4, v3, s8
	v_add_nc_u32_e32 v5, 1, v3
	v_sub_nc_u32_e32 v4, v8, v4
	s_delay_alu instid0(VALU_DEP_1) | instskip(SKIP_1) | instid1(VALU_DEP_2)
	v_subrev_nc_u32_e32 v6, s8, v4
	v_cmp_le_u32_e32 vcc_lo, s8, v4
	v_dual_cndmask_b32 v4, v4, v6 :: v_dual_cndmask_b32 v3, v3, v5
	s_delay_alu instid0(VALU_DEP_1) | instskip(NEXT) | instid1(VALU_DEP_2)
	v_cmp_le_u32_e32 vcc_lo, s8, v4
	v_add_nc_u32_e32 v5, 1, v3
	s_delay_alu instid0(VALU_DEP_1)
	v_cndmask_b32_e32 v6, v3, v5, vcc_lo
.LBB23_11:                              ;   in Loop: Header=BB23_3 Depth=1
	s_or_b32 exec_lo, exec_lo, s0
	v_mul_lo_u32 v5, v9, s2
	v_mul_lo_u32 v12, v8, s3
	v_mad_u64_u32 v[3:4], null, v8, s2, 0
	v_mul_lo_u32 v13, v7, s8
	v_mul_lo_u32 v14, v6, s9
	v_mad_u64_u32 v[10:11], null, v6, s8, 0
	s_mov_b64 s[34:35], s[28:29]
	s_mov_b64 s[36:37], s[26:27]
	s_delay_alu instid0(VALU_DEP_4) | instskip(SKIP_2) | instid1(VALU_DEP_3)
	v_add3_u32 v5, v4, v12, v5
	v_sub_co_u32 v4, vcc_lo, v0, v3
	s_mov_b64 s[38:39], s[24:25]
	v_add3_u32 v3, v11, v14, v13
	s_delay_alu instid0(VALU_DEP_3) | instskip(NEXT) | instid1(VALU_DEP_3)
	v_sub_co_ci_u32_e32 v5, vcc_lo, v1, v5, vcc_lo
	v_mul_lo_u32 v11, s15, v4
	v_mul_lo_u32 v12, s19, v4
	v_mad_u64_u32 v[14:15], null, s18, v4, 0
	s_delay_alu instid0(VALU_DEP_4)
	v_mul_lo_u32 v13, s14, v5
	v_mul_lo_u32 v16, s18, v5
	v_mad_u64_u32 v[21:22], null, s14, v4, 0
	v_sub_co_u32 v19, vcc_lo, v8, v10
	v_sub_co_ci_u32_e32 v20, vcc_lo, v9, v3, vcc_lo
	s_and_b32 vcc_lo, exec_lo, s1
	s_delay_alu instid0(VALU_DEP_4) | instskip(NEXT) | instid1(VALU_DEP_4)
	v_add3_u32 v15, v15, v16, v12
	v_add3_u32 v22, v22, v13, v11
	v_mul_lo_u32 v3, s13, v19
	v_mul_lo_u32 v8, s12, v20
	;; [unrolled: 1-line block ×3, first 2 shown]
	v_mad_u64_u32 v[12:13], null, s16, v19, v[14:15]
	v_mul_lo_u32 v10, s17, v19
	v_mad_u64_u32 v[16:17], null, s12, v19, v[21:22]
	s_delay_alu instid0(VALU_DEP_2) | instskip(NEXT) | instid1(VALU_DEP_2)
	v_add3_u32 v13, v10, v13, v9
	v_add3_u32 v17, v3, v17, v8
	v_mov_b32_e32 v8, v12
	s_delay_alu instid0(VALU_DEP_3) | instskip(NEXT) | instid1(VALU_DEP_3)
	v_dual_mov_b32 v10, v16 :: v_dual_mov_b32 v9, v13
	v_mov_b32_e32 v11, v17
	s_cbranch_vccnz .LBB23_22
.LBB23_12:                              ;   in Loop: Header=BB23_3 Depth=1
	v_mov_b32_e32 v10, 0
	v_mov_b32_e32 v11, 0
	v_sub_co_u32 v8, vcc_lo, v4, v19
	v_sub_co_ci_u32_e32 v9, vcc_lo, v5, v20, vcc_lo
	s_delay_alu instid0(VALU_DEP_3) | instskip(SKIP_1) | instid1(VALU_DEP_2)
	v_dual_mov_b32 v6, v10 :: v_dual_mov_b32 v7, v11
	s_mov_b32 s0, exec_lo
	v_cmpx_ge_i64_e64 s[4:5], v[8:9]
	s_cbranch_execz .LBB23_18
; %bb.13:                               ;   in Loop: Header=BB23_3 Depth=1
	v_mov_b32_e32 v6, 0
	v_mov_b32_e32 v7, 0
	s_mov_b32 s31, exec_lo
	s_delay_alu instid0(VALU_DEP_1)
	v_dual_mov_b32 v11, v7 :: v_dual_mov_b32 v10, v6
	v_cmpx_gt_i64_e64 s[10:11], v[4:5]
	s_cbranch_execz .LBB23_17
; %bb.14:                               ;   in Loop: Header=BB23_3 Depth=1
	v_lshlrev_b64 v[6:7], 3, v[16:17]
	s_delay_alu instid0(VALU_DEP_1) | instskip(NEXT) | instid1(VALU_DEP_2)
	v_add_co_u32 v14, vcc_lo, s20, v6
	v_add_co_ci_u32_e32 v15, vcc_lo, s21, v7, vcc_lo
	v_add_co_u32 v10, vcc_lo, v4, 1
	v_add_co_ci_u32_e32 v11, vcc_lo, 0, v5, vcc_lo
	global_load_b64 v[6:7], v[14:15], off
	v_cmp_gt_i64_e32 vcc_lo, s[10:11], v[10:11]
	v_mov_b32_e32 v10, 0
	v_mov_b32_e32 v11, 0
	s_and_saveexec_b32 s34, vcc_lo
	s_delay_alu instid0(SALU_CYCLE_1)
	s_xor_b32 s34, exec_lo, s34
	s_cbranch_execz .LBB23_16
; %bb.15:                               ;   in Loop: Header=BB23_3 Depth=1
	s_lshl_b64 s[36:37], s[14:15], 3
	s_delay_alu instid0(SALU_CYCLE_1)
	v_add_co_u32 v10, vcc_lo, v14, s36
	v_add_co_ci_u32_e32 v11, vcc_lo, s37, v15, vcc_lo
	global_load_b64 v[10:11], v[10:11], off
.LBB23_16:                              ;   in Loop: Header=BB23_3 Depth=1
	s_or_b32 exec_lo, exec_lo, s34
.LBB23_17:                              ;   in Loop: Header=BB23_3 Depth=1
	s_delay_alu instid0(SALU_CYCLE_1) | instskip(SKIP_2) | instid1(VALU_DEP_1)
	s_or_b32 exec_lo, exec_lo, s31
	v_add_co_u32 v8, vcc_lo, v8, 1
	v_add_co_ci_u32_e32 v9, vcc_lo, 0, v9, vcc_lo
	v_cmp_ge_i64_e32 vcc_lo, s[4:5], v[8:9]
	s_waitcnt vmcnt(0)
	v_dual_cndmask_b32 v11, 0, v11 :: v_dual_cndmask_b32 v10, 0, v10
.LBB23_18:                              ;   in Loop: Header=BB23_3 Depth=1
	s_or_b32 exec_lo, exec_lo, s0
	s_delay_alu instid0(SALU_CYCLE_1)
	s_mov_b32 s0, exec_lo
	v_cmpx_gt_i64_e64 s[10:11], v[4:5]
	s_cbranch_execz .LBB23_2
; %bb.19:                               ;   in Loop: Header=BB23_3 Depth=1
	v_lshlrev_b64 v[8:9], 3, v[12:13]
	v_add_co_u32 v12, vcc_lo, v4, 1
	v_add_co_ci_u32_e32 v13, vcc_lo, 0, v5, vcc_lo
	s_mov_b32 s31, exec_lo
	s_delay_alu instid0(VALU_DEP_3) | instskip(NEXT) | instid1(VALU_DEP_4)
	v_add_co_u32 v3, vcc_lo, s22, v8
	v_add_co_ci_u32_e32 v4, vcc_lo, s23, v9, vcc_lo
	global_store_b64 v[3:4], v[6:7], off
	v_cmpx_gt_i64_e64 s[10:11], v[12:13]
	s_xor_b32 s31, exec_lo, s31
	s_cbranch_execz .LBB23_2
; %bb.20:                               ;   in Loop: Header=BB23_3 Depth=1
	s_lshl_b64 s[34:35], s[18:19], 3
	s_delay_alu instid0(SALU_CYCLE_1)
	v_add_co_u32 v3, vcc_lo, v3, s34
	v_add_co_ci_u32_e32 v4, vcc_lo, s35, v4, vcc_lo
	global_store_b64 v[3:4], v[10:11], off
	s_branch .LBB23_2
.LBB23_21:                              ;   in Loop: Header=BB23_22 Depth=2
	s_or_b32 exec_lo, exec_lo, s0
	s_delay_alu instid0(VALU_DEP_1) | instskip(NEXT) | instid1(VALU_DEP_2)
	v_mul_lo_u32 v3, v15, s40
	v_mul_lo_u32 v16, v14, s41
	s_load_b64 s[42:43], s[36:37], 0xc8
	v_mad_u64_u32 v[12:13], null, v14, s40, 0
	s_load_b64 s[40:41], s[38:39], 0x0
	s_add_u32 s38, s38, -8
	s_addc_u32 s39, s39, -1
	s_add_u32 s36, s36, -8
	s_addc_u32 s37, s37, -1
	s_add_u32 s34, s34, -1
	s_delay_alu instid0(VALU_DEP_1) | instskip(SKIP_2) | instid1(VALU_DEP_2)
	v_add3_u32 v3, v13, v16, v3
	v_sub_co_u32 v6, vcc_lo, v6, v12
	s_addc_u32 s35, s35, -1
	v_sub_co_ci_u32_e32 v3, vcc_lo, v7, v3, vcc_lo
	v_cmp_lt_i64_e64 s0, s[34:35], 1
	s_waitcnt lgkmcnt(0)
	s_delay_alu instid0(VALU_DEP_2)
	v_mul_lo_u32 v7, s42, v3
	v_mul_lo_u32 v21, s43, v6
	v_mad_u64_u32 v[16:17], null, s42, v6, v[10:11]
	v_mul_lo_u32 v3, s40, v3
	v_mul_lo_u32 v10, s41, v6
	v_mad_u64_u32 v[12:13], null, s40, v6, v[8:9]
	s_and_b32 vcc_lo, exec_lo, s0
	s_delay_alu instid0(VALU_DEP_4) | instskip(SKIP_1) | instid1(VALU_DEP_3)
	v_add3_u32 v17, v21, v17, v7
	v_dual_mov_b32 v6, v14 :: v_dual_mov_b32 v7, v15
	v_add3_u32 v13, v10, v13, v3
	s_delay_alu instid0(VALU_DEP_4) | instskip(NEXT) | instid1(VALU_DEP_4)
	v_mov_b32_e32 v8, v12
	v_dual_mov_b32 v10, v16 :: v_dual_mov_b32 v11, v17
	s_delay_alu instid0(VALU_DEP_3)
	v_mov_b32_e32 v9, v13
	s_cbranch_vccnz .LBB23_12
.LBB23_22:                              ;   Parent Loop BB23_3 Depth=1
                                        ; =>  This Inner Loop Header: Depth=2
	s_load_b64 s[40:41], s[36:37], 0x0
                                        ; implicit-def: $vgpr14_vgpr15
	s_mov_b32 s0, exec_lo
	s_waitcnt lgkmcnt(0)
	v_or_b32_e32 v3, s41, v7
	s_delay_alu instid0(VALU_DEP_1)
	v_cmpx_ne_u64_e32 0, v[2:3]
	s_xor_b32 s31, exec_lo, s0
	s_cbranch_execz .LBB23_24
; %bb.23:                               ;   in Loop: Header=BB23_22 Depth=2
	s_ashr_i32 s42, s41, 31
	s_delay_alu instid0(SALU_CYCLE_1) | instskip(SKIP_2) | instid1(SALU_CYCLE_1)
	s_add_u32 s44, s40, s42
	s_mov_b32 s43, s42
	s_addc_u32 s45, s41, s42
	s_xor_b64 s[44:45], s[44:45], s[42:43]
	s_delay_alu instid0(SALU_CYCLE_1) | instskip(SKIP_3) | instid1(VALU_DEP_1)
	v_cvt_f32_u32_e32 v3, s44
	v_cvt_f32_u32_e32 v12, s45
	s_sub_u32 s0, 0, s44
	s_subb_u32 s43, 0, s45
	v_fmac_f32_e32 v3, 0x4f800000, v12
	s_delay_alu instid0(VALU_DEP_1) | instskip(SKIP_2) | instid1(VALU_DEP_1)
	v_rcp_f32_e32 v3, v3
	s_waitcnt_depctr 0xfff
	v_mul_f32_e32 v3, 0x5f7ffffc, v3
	v_mul_f32_e32 v12, 0x2f800000, v3
	s_delay_alu instid0(VALU_DEP_1) | instskip(NEXT) | instid1(VALU_DEP_1)
	v_trunc_f32_e32 v12, v12
	v_fmac_f32_e32 v3, 0xcf800000, v12
	v_cvt_u32_f32_e32 v12, v12
	s_delay_alu instid0(VALU_DEP_2) | instskip(NEXT) | instid1(VALU_DEP_2)
	v_cvt_u32_f32_e32 v3, v3
	v_mul_lo_u32 v13, s0, v12
	s_delay_alu instid0(VALU_DEP_2) | instskip(SKIP_1) | instid1(VALU_DEP_2)
	v_mul_hi_u32 v14, s0, v3
	v_mul_lo_u32 v15, s43, v3
	v_add_nc_u32_e32 v13, v14, v13
	v_mul_lo_u32 v14, s0, v3
	s_delay_alu instid0(VALU_DEP_2) | instskip(NEXT) | instid1(VALU_DEP_2)
	v_add_nc_u32_e32 v13, v13, v15
	v_mul_hi_u32 v15, v3, v14
	s_delay_alu instid0(VALU_DEP_2)
	v_mul_lo_u32 v16, v3, v13
	v_mul_hi_u32 v17, v3, v13
	v_mul_hi_u32 v21, v12, v14
	v_mul_lo_u32 v14, v12, v14
	v_mul_hi_u32 v22, v12, v13
	v_mul_lo_u32 v13, v12, v13
	v_add_co_u32 v15, vcc_lo, v15, v16
	v_add_co_ci_u32_e32 v16, vcc_lo, 0, v17, vcc_lo
	s_delay_alu instid0(VALU_DEP_2) | instskip(NEXT) | instid1(VALU_DEP_2)
	v_add_co_u32 v14, vcc_lo, v15, v14
	v_add_co_ci_u32_e32 v14, vcc_lo, v16, v21, vcc_lo
	v_add_co_ci_u32_e32 v15, vcc_lo, 0, v22, vcc_lo
	v_ashrrev_i32_e32 v21, 31, v7
	s_delay_alu instid0(VALU_DEP_3) | instskip(NEXT) | instid1(VALU_DEP_3)
	v_add_co_u32 v13, vcc_lo, v14, v13
	v_add_co_ci_u32_e32 v14, vcc_lo, 0, v15, vcc_lo
	s_delay_alu instid0(VALU_DEP_2) | instskip(NEXT) | instid1(VALU_DEP_2)
	v_add_co_u32 v3, vcc_lo, v3, v13
	v_add_co_ci_u32_e32 v12, vcc_lo, v12, v14, vcc_lo
	s_delay_alu instid0(VALU_DEP_2) | instskip(SKIP_1) | instid1(VALU_DEP_3)
	v_mul_hi_u32 v13, s0, v3
	v_mul_lo_u32 v15, s43, v3
	v_mul_lo_u32 v14, s0, v12
	s_delay_alu instid0(VALU_DEP_1) | instskip(SKIP_1) | instid1(VALU_DEP_2)
	v_add_nc_u32_e32 v13, v13, v14
	v_mul_lo_u32 v14, s0, v3
	v_add_nc_u32_e32 v13, v13, v15
	s_delay_alu instid0(VALU_DEP_2) | instskip(NEXT) | instid1(VALU_DEP_2)
	v_mul_hi_u32 v15, v3, v14
	v_mul_lo_u32 v16, v3, v13
	v_mul_hi_u32 v17, v3, v13
	v_mul_hi_u32 v22, v12, v14
	v_mul_lo_u32 v14, v12, v14
	v_mul_hi_u32 v23, v12, v13
	v_mul_lo_u32 v13, v12, v13
	v_add_co_u32 v15, vcc_lo, v15, v16
	v_add_co_ci_u32_e32 v16, vcc_lo, 0, v17, vcc_lo
	s_delay_alu instid0(VALU_DEP_2) | instskip(NEXT) | instid1(VALU_DEP_2)
	v_add_co_u32 v14, vcc_lo, v15, v14
	v_add_co_ci_u32_e32 v14, vcc_lo, v16, v22, vcc_lo
	v_add_co_ci_u32_e32 v15, vcc_lo, 0, v23, vcc_lo
	v_add_co_u32 v16, vcc_lo, v6, v21
	v_add_co_ci_u32_e32 v17, vcc_lo, v7, v21, vcc_lo
	s_delay_alu instid0(VALU_DEP_4) | instskip(NEXT) | instid1(VALU_DEP_4)
	v_add_co_u32 v13, vcc_lo, v14, v13
	v_add_co_ci_u32_e32 v14, vcc_lo, 0, v15, vcc_lo
	s_delay_alu instid0(VALU_DEP_4) | instskip(NEXT) | instid1(VALU_DEP_3)
	v_xor_b32_e32 v22, v16, v21
	v_add_co_u32 v3, vcc_lo, v3, v13
	s_delay_alu instid0(VALU_DEP_3) | instskip(SKIP_1) | instid1(VALU_DEP_3)
	v_add_co_ci_u32_e32 v23, vcc_lo, v12, v14, vcc_lo
	v_xor_b32_e32 v24, v17, v21
	v_mul_hi_u32 v25, v22, v3
	s_delay_alu instid0(VALU_DEP_3) | instskip(NEXT) | instid1(VALU_DEP_3)
	v_mad_u64_u32 v[12:13], null, v22, v23, 0
	v_mad_u64_u32 v[14:15], null, v24, v3, 0
	;; [unrolled: 1-line block ×3, first 2 shown]
	s_delay_alu instid0(VALU_DEP_3) | instskip(NEXT) | instid1(VALU_DEP_4)
	v_add_co_u32 v3, vcc_lo, v25, v12
	v_add_co_ci_u32_e32 v12, vcc_lo, 0, v13, vcc_lo
	s_delay_alu instid0(VALU_DEP_2) | instskip(NEXT) | instid1(VALU_DEP_2)
	v_add_co_u32 v3, vcc_lo, v3, v14
	v_add_co_ci_u32_e32 v3, vcc_lo, v12, v15, vcc_lo
	v_add_co_ci_u32_e32 v12, vcc_lo, 0, v17, vcc_lo
	s_delay_alu instid0(VALU_DEP_2) | instskip(NEXT) | instid1(VALU_DEP_2)
	v_add_co_u32 v3, vcc_lo, v3, v16
	v_add_co_ci_u32_e32 v14, vcc_lo, 0, v12, vcc_lo
	s_delay_alu instid0(VALU_DEP_2) | instskip(SKIP_1) | instid1(VALU_DEP_3)
	v_mul_lo_u32 v15, s45, v3
	v_mad_u64_u32 v[12:13], null, s44, v3, 0
	v_mul_lo_u32 v16, s44, v14
	s_delay_alu instid0(VALU_DEP_2) | instskip(NEXT) | instid1(VALU_DEP_2)
	v_sub_co_u32 v12, vcc_lo, v22, v12
	v_add3_u32 v13, v13, v16, v15
	s_delay_alu instid0(VALU_DEP_1) | instskip(NEXT) | instid1(VALU_DEP_1)
	v_sub_nc_u32_e32 v15, v24, v13
	v_subrev_co_ci_u32_e64 v15, s0, s45, v15, vcc_lo
	v_add_co_u32 v16, s0, v3, 2
	s_delay_alu instid0(VALU_DEP_1) | instskip(SKIP_3) | instid1(VALU_DEP_3)
	v_add_co_ci_u32_e64 v17, s0, 0, v14, s0
	v_sub_co_u32 v22, s0, v12, s44
	v_sub_co_ci_u32_e32 v13, vcc_lo, v24, v13, vcc_lo
	v_subrev_co_ci_u32_e64 v15, s0, 0, v15, s0
	v_cmp_le_u32_e32 vcc_lo, s44, v22
	s_delay_alu instid0(VALU_DEP_3) | instskip(SKIP_1) | instid1(VALU_DEP_4)
	v_cmp_eq_u32_e64 s0, s45, v13
	v_cndmask_b32_e64 v22, 0, -1, vcc_lo
	v_cmp_le_u32_e32 vcc_lo, s45, v15
	v_cndmask_b32_e64 v23, 0, -1, vcc_lo
	v_cmp_le_u32_e32 vcc_lo, s44, v12
	;; [unrolled: 2-line block ×3, first 2 shown]
	v_cndmask_b32_e64 v24, 0, -1, vcc_lo
	v_cmp_eq_u32_e32 vcc_lo, s45, v15
	s_delay_alu instid0(VALU_DEP_2) | instskip(SKIP_3) | instid1(VALU_DEP_3)
	v_cndmask_b32_e64 v12, v24, v12, s0
	v_cndmask_b32_e32 v15, v23, v22, vcc_lo
	v_add_co_u32 v22, vcc_lo, v3, 1
	v_add_co_ci_u32_e32 v23, vcc_lo, 0, v14, vcc_lo
	v_cmp_ne_u32_e32 vcc_lo, 0, v15
	s_delay_alu instid0(VALU_DEP_2) | instskip(NEXT) | instid1(VALU_DEP_4)
	v_cndmask_b32_e32 v13, v23, v17, vcc_lo
	v_cndmask_b32_e32 v15, v22, v16, vcc_lo
	v_cmp_ne_u32_e32 vcc_lo, 0, v12
	v_xor_b32_e32 v12, s42, v21
	s_delay_alu instid0(VALU_DEP_3) | instskip(SKIP_1) | instid1(VALU_DEP_2)
	v_cndmask_b32_e32 v3, v3, v15, vcc_lo
	v_cndmask_b32_e32 v13, v14, v13, vcc_lo
	v_xor_b32_e32 v3, v3, v12
	s_delay_alu instid0(VALU_DEP_2) | instskip(NEXT) | instid1(VALU_DEP_2)
	v_xor_b32_e32 v13, v13, v12
	v_sub_co_u32 v14, vcc_lo, v3, v12
	s_delay_alu instid0(VALU_DEP_2)
	v_sub_co_ci_u32_e32 v15, vcc_lo, v13, v12, vcc_lo
.LBB23_24:                              ;   in Loop: Header=BB23_22 Depth=2
	s_and_not1_saveexec_b32 s0, s31
	s_cbranch_execz .LBB23_21
; %bb.25:                               ;   in Loop: Header=BB23_22 Depth=2
	v_cvt_f32_u32_e32 v3, s40
	s_sub_i32 s31, 0, s40
	v_mov_b32_e32 v15, v2
	s_delay_alu instid0(VALU_DEP_2) | instskip(SKIP_2) | instid1(VALU_DEP_1)
	v_rcp_iflag_f32_e32 v3, v3
	s_waitcnt_depctr 0xfff
	v_mul_f32_e32 v3, 0x4f7ffffe, v3
	v_cvt_u32_f32_e32 v3, v3
	s_delay_alu instid0(VALU_DEP_1) | instskip(NEXT) | instid1(VALU_DEP_1)
	v_mul_lo_u32 v12, s31, v3
	v_mul_hi_u32 v12, v3, v12
	s_delay_alu instid0(VALU_DEP_1) | instskip(NEXT) | instid1(VALU_DEP_1)
	v_add_nc_u32_e32 v3, v3, v12
	v_mul_hi_u32 v3, v6, v3
	s_delay_alu instid0(VALU_DEP_1) | instskip(SKIP_1) | instid1(VALU_DEP_2)
	v_mul_lo_u32 v12, v3, s40
	v_add_nc_u32_e32 v13, 1, v3
	v_sub_nc_u32_e32 v12, v6, v12
	s_delay_alu instid0(VALU_DEP_1) | instskip(SKIP_1) | instid1(VALU_DEP_2)
	v_subrev_nc_u32_e32 v14, s40, v12
	v_cmp_le_u32_e32 vcc_lo, s40, v12
	v_dual_cndmask_b32 v12, v12, v14 :: v_dual_cndmask_b32 v3, v3, v13
	s_delay_alu instid0(VALU_DEP_1) | instskip(NEXT) | instid1(VALU_DEP_2)
	v_cmp_le_u32_e32 vcc_lo, s40, v12
	v_add_nc_u32_e32 v13, 1, v3
	s_delay_alu instid0(VALU_DEP_1)
	v_cndmask_b32_e32 v14, v3, v13, vcc_lo
	s_branch .LBB23_21
.LBB23_26:
	s_nop 0
	s_sendmsg sendmsg(MSG_DEALLOC_VGPRS)
	s_endpgm
	.section	.rodata,"a",@progbits
	.p2align	6, 0x0
	.amdhsa_kernel _ZN2at6native16triu_tril_kernelIdlLb0ELi2ELb0EEEvNS_4cuda6detail10TensorInfoIT_T0_EENS4_IKS5_S6_EEllS6_
		.amdhsa_group_segment_fixed_size 0
		.amdhsa_private_segment_fixed_size 0
		.amdhsa_kernarg_size 1112
		.amdhsa_user_sgpr_count 15
		.amdhsa_user_sgpr_dispatch_ptr 0
		.amdhsa_user_sgpr_queue_ptr 0
		.amdhsa_user_sgpr_kernarg_segment_ptr 1
		.amdhsa_user_sgpr_dispatch_id 0
		.amdhsa_user_sgpr_private_segment_size 0
		.amdhsa_wavefront_size32 1
		.amdhsa_uses_dynamic_stack 0
		.amdhsa_enable_private_segment 0
		.amdhsa_system_sgpr_workgroup_id_x 1
		.amdhsa_system_sgpr_workgroup_id_y 0
		.amdhsa_system_sgpr_workgroup_id_z 0
		.amdhsa_system_sgpr_workgroup_info 0
		.amdhsa_system_vgpr_workitem_id 0
		.amdhsa_next_free_vgpr 26
		.amdhsa_next_free_sgpr 47
		.amdhsa_reserve_vcc 1
		.amdhsa_float_round_mode_32 0
		.amdhsa_float_round_mode_16_64 0
		.amdhsa_float_denorm_mode_32 3
		.amdhsa_float_denorm_mode_16_64 3
		.amdhsa_dx10_clamp 1
		.amdhsa_ieee_mode 1
		.amdhsa_fp16_overflow 0
		.amdhsa_workgroup_processor_mode 1
		.amdhsa_memory_ordered 1
		.amdhsa_forward_progress 0
		.amdhsa_shared_vgpr_count 0
		.amdhsa_exception_fp_ieee_invalid_op 0
		.amdhsa_exception_fp_denorm_src 0
		.amdhsa_exception_fp_ieee_div_zero 0
		.amdhsa_exception_fp_ieee_overflow 0
		.amdhsa_exception_fp_ieee_underflow 0
		.amdhsa_exception_fp_ieee_inexact 0
		.amdhsa_exception_int_div_zero 0
	.end_amdhsa_kernel
	.section	.text._ZN2at6native16triu_tril_kernelIdlLb0ELi2ELb0EEEvNS_4cuda6detail10TensorInfoIT_T0_EENS4_IKS5_S6_EEllS6_,"axG",@progbits,_ZN2at6native16triu_tril_kernelIdlLb0ELi2ELb0EEEvNS_4cuda6detail10TensorInfoIT_T0_EENS4_IKS5_S6_EEllS6_,comdat
.Lfunc_end23:
	.size	_ZN2at6native16triu_tril_kernelIdlLb0ELi2ELb0EEEvNS_4cuda6detail10TensorInfoIT_T0_EENS4_IKS5_S6_EEllS6_, .Lfunc_end23-_ZN2at6native16triu_tril_kernelIdlLb0ELi2ELb0EEEvNS_4cuda6detail10TensorInfoIT_T0_EENS4_IKS5_S6_EEllS6_
                                        ; -- End function
	.section	.AMDGPU.csdata,"",@progbits
; Kernel info:
; codeLenInByte = 4180
; NumSgprs: 49
; NumVgprs: 26
; ScratchSize: 0
; MemoryBound: 0
; FloatMode: 240
; IeeeMode: 1
; LDSByteSize: 0 bytes/workgroup (compile time only)
; SGPRBlocks: 6
; VGPRBlocks: 3
; NumSGPRsForWavesPerEU: 49
; NumVGPRsForWavesPerEU: 26
; Occupancy: 16
; WaveLimiterHint : 0
; COMPUTE_PGM_RSRC2:SCRATCH_EN: 0
; COMPUTE_PGM_RSRC2:USER_SGPR: 15
; COMPUTE_PGM_RSRC2:TRAP_HANDLER: 0
; COMPUTE_PGM_RSRC2:TGID_X_EN: 1
; COMPUTE_PGM_RSRC2:TGID_Y_EN: 0
; COMPUTE_PGM_RSRC2:TGID_Z_EN: 0
; COMPUTE_PGM_RSRC2:TIDIG_COMP_CNT: 0
	.section	.text._ZN2at6native16triu_tril_kernelIfiLb0ELi2ELb1EEEvNS_4cuda6detail10TensorInfoIT_T0_EENS4_IKS5_S6_EEllS6_,"axG",@progbits,_ZN2at6native16triu_tril_kernelIfiLb0ELi2ELb1EEEvNS_4cuda6detail10TensorInfoIT_T0_EENS4_IKS5_S6_EEllS6_,comdat
	.protected	_ZN2at6native16triu_tril_kernelIfiLb0ELi2ELb1EEEvNS_4cuda6detail10TensorInfoIT_T0_EENS4_IKS5_S6_EEllS6_ ; -- Begin function _ZN2at6native16triu_tril_kernelIfiLb0ELi2ELb1EEEvNS_4cuda6detail10TensorInfoIT_T0_EENS4_IKS5_S6_EEllS6_
	.globl	_ZN2at6native16triu_tril_kernelIfiLb0ELi2ELb1EEEvNS_4cuda6detail10TensorInfoIT_T0_EENS4_IKS5_S6_EEllS6_
	.p2align	8
	.type	_ZN2at6native16triu_tril_kernelIfiLb0ELi2ELb1EEEvNS_4cuda6detail10TensorInfoIT_T0_EENS4_IKS5_S6_EEllS6_,@function
_ZN2at6native16triu_tril_kernelIfiLb0ELi2ELb1EEEvNS_4cuda6detail10TensorInfoIT_T0_EENS4_IKS5_S6_EEllS6_: ; @_ZN2at6native16triu_tril_kernelIfiLb0ELi2ELb1EEEvNS_4cuda6detail10TensorInfoIT_T0_EENS4_IKS5_S6_EEllS6_
; %bb.0:
	s_clause 0x1
	s_load_b32 s2, s[0:1], 0x1d4
	s_load_b128 s[4:7], s[0:1], 0x1b0
	v_mov_b32_e32 v2, 0
	s_add_u32 s8, s0, 0x1c8
	s_addc_u32 s9, s1, 0
	s_delay_alu instid0(VALU_DEP_1) | instskip(SKIP_3) | instid1(VALU_DEP_1)
	v_mov_b32_e32 v1, v2
	s_waitcnt lgkmcnt(0)
	s_and_b32 s14, s2, 0xffff
	s_mov_b32 s2, exec_lo
	v_mad_u64_u32 v[3:4], null, s14, s15, v[0:1]
	s_delay_alu instid0(VALU_DEP_1) | instskip(NEXT) | instid1(VALU_DEP_1)
	v_lshlrev_b64 v[0:1], 1, v[3:4]
	v_cmpx_gt_i64_e64 s[6:7], v[0:1]
	s_cbranch_execz .LBB24_64
; %bb.1:
	s_clause 0x2
	s_load_b32 s24, s[0:1], 0x1c0
	s_load_b32 s16, s[0:1], 0x1a8
	s_load_b64 s[2:3], s[0:1], 0x0
	s_load_b32 s19, s[8:9], 0x0
	s_mov_b32 s38, 0
	s_waitcnt lgkmcnt(0)
	s_ashr_i32 s25, s24, 31
	s_ashr_i32 s17, s16, 31
	s_add_u32 s26, s0, 0xe0
	s_addc_u32 s27, s1, 0
	s_lshl_b64 s[10:11], s[16:17], 2
	v_cvt_f32_u32_e32 v3, s24
	s_add_u32 s15, s10, -8
	s_addc_u32 s18, s11, -1
	s_add_u32 s12, s26, s15
	s_addc_u32 s13, s27, s18
	v_rcp_iflag_f32_e32 v3, v3
	s_load_b32 s28, s[12:13], 0x0
	s_mul_i32 s19, s19, s14
	v_cmp_gt_i64_e64 s37, s[16:17], 2
	s_waitcnt_depctr 0xfff
	v_mul_f32_e32 v3, 0x4f7ffffe, v3
	s_delay_alu instid0(VALU_DEP_1)
	v_cvt_u32_f32_e32 v3, v3
	s_waitcnt lgkmcnt(0)
	s_ashr_i32 s29, s28, 31
	s_add_u32 s12, s10, -4
	s_addc_u32 s13, s11, -1
	s_add_u32 s30, s0, 0x6c
	s_addc_u32 s1, s1, 0
	s_add_u32 s8, s30, s12
	s_addc_u32 s9, s1, s13
	;; [unrolled: 2-line block ×3, first 2 shown]
	s_add_i32 s31, s16, -3
	s_add_u32 s12, s26, s12
	s_addc_u32 s13, s27, s13
	s_add_i32 s0, s16, 6
	s_lshl_b32 s34, s19, 1
	s_and_b32 s33, s0, 7
	s_mov_b32 s15, 0
	s_cmp_lg_u32 s33, 0
	s_cselect_b32 s35, -1, 0
	s_cmp_gt_u32 s31, 6
	s_cselect_b32 s36, -1, 0
	s_sub_i32 s0, 0, s24
	s_delay_alu instid0(SALU_CYCLE_1) | instskip(NEXT) | instid1(VALU_DEP_1)
	v_mul_lo_u32 v4, s0, v3
	v_mul_hi_u32 v4, v3, v4
	s_delay_alu instid0(VALU_DEP_1)
	v_add_nc_u32_e32 v25, v3, v4
	s_branch .LBB24_3
.LBB24_2:                               ;   in Loop: Header=BB24_3 Depth=1
	s_or_b32 exec_lo, exec_lo, s39
	v_add_co_u32 v0, vcc_lo, v0, s34
	v_add_co_ci_u32_e32 v1, vcc_lo, 0, v1, vcc_lo
	s_delay_alu instid0(VALU_DEP_1) | instskip(SKIP_1) | instid1(SALU_CYCLE_1)
	v_cmp_le_i64_e32 vcc_lo, s[6:7], v[0:1]
	s_or_b32 s38, vcc_lo, s38
	s_and_not1_b32 exec_lo, exec_lo, s38
	s_cbranch_execz .LBB24_64
.LBB24_3:                               ; =>This Loop Header: Depth=1
                                        ;     Child Loop BB24_15 Depth 2
                                        ;     Child Loop BB24_24 Depth 2
	v_or_b32_e32 v3, s25, v1
                                        ; implicit-def: $vgpr4_vgpr5
	s_mov_b32 s0, exec_lo
	s_delay_alu instid0(VALU_DEP_1)
	v_cmpx_ne_u64_e32 0, v[2:3]
	s_xor_b32 s14, exec_lo, s0
	s_cbranch_execz .LBB24_5
; %bb.4:                                ;   in Loop: Header=BB24_3 Depth=1
	s_add_u32 s18, s24, s25
	s_mov_b32 s16, s25
	s_mov_b32 s17, s25
	s_addc_u32 s19, s25, s25
	s_delay_alu instid0(SALU_CYCLE_1) | instskip(NEXT) | instid1(SALU_CYCLE_1)
	s_xor_b64 s[18:19], s[18:19], s[16:17]
	v_cvt_f32_u32_e32 v3, s18
	v_cvt_f32_u32_e32 v4, s19
	s_sub_u32 s0, 0, s18
	s_subb_u32 s20, 0, s19
	s_delay_alu instid0(VALU_DEP_1) | instskip(NEXT) | instid1(VALU_DEP_1)
	v_fmac_f32_e32 v3, 0x4f800000, v4
	v_rcp_f32_e32 v3, v3
	s_waitcnt_depctr 0xfff
	v_mul_f32_e32 v3, 0x5f7ffffc, v3
	s_delay_alu instid0(VALU_DEP_1) | instskip(NEXT) | instid1(VALU_DEP_1)
	v_mul_f32_e32 v4, 0x2f800000, v3
	v_trunc_f32_e32 v4, v4
	s_delay_alu instid0(VALU_DEP_1) | instskip(SKIP_1) | instid1(VALU_DEP_2)
	v_fmac_f32_e32 v3, 0xcf800000, v4
	v_cvt_u32_f32_e32 v4, v4
	v_cvt_u32_f32_e32 v3, v3
	s_delay_alu instid0(VALU_DEP_2) | instskip(NEXT) | instid1(VALU_DEP_2)
	v_mul_lo_u32 v5, s0, v4
	v_mul_hi_u32 v6, s0, v3
	v_mul_lo_u32 v7, s20, v3
	s_delay_alu instid0(VALU_DEP_2) | instskip(SKIP_1) | instid1(VALU_DEP_2)
	v_add_nc_u32_e32 v5, v6, v5
	v_mul_lo_u32 v6, s0, v3
	v_add_nc_u32_e32 v5, v5, v7
	s_delay_alu instid0(VALU_DEP_2) | instskip(NEXT) | instid1(VALU_DEP_2)
	v_mul_hi_u32 v7, v3, v6
	v_mul_lo_u32 v8, v3, v5
	v_mul_hi_u32 v9, v3, v5
	v_mul_hi_u32 v10, v4, v6
	v_mul_lo_u32 v6, v4, v6
	v_mul_hi_u32 v11, v4, v5
	v_mul_lo_u32 v5, v4, v5
	v_add_co_u32 v7, vcc_lo, v7, v8
	v_add_co_ci_u32_e32 v8, vcc_lo, 0, v9, vcc_lo
	s_delay_alu instid0(VALU_DEP_2) | instskip(NEXT) | instid1(VALU_DEP_2)
	v_add_co_u32 v6, vcc_lo, v7, v6
	v_add_co_ci_u32_e32 v6, vcc_lo, v8, v10, vcc_lo
	v_add_co_ci_u32_e32 v7, vcc_lo, 0, v11, vcc_lo
	v_ashrrev_i32_e32 v10, 31, v1
	s_delay_alu instid0(VALU_DEP_3) | instskip(NEXT) | instid1(VALU_DEP_3)
	v_add_co_u32 v5, vcc_lo, v6, v5
	v_add_co_ci_u32_e32 v6, vcc_lo, 0, v7, vcc_lo
	s_delay_alu instid0(VALU_DEP_2) | instskip(NEXT) | instid1(VALU_DEP_2)
	v_add_co_u32 v3, vcc_lo, v3, v5
	v_add_co_ci_u32_e32 v4, vcc_lo, v4, v6, vcc_lo
	s_delay_alu instid0(VALU_DEP_2) | instskip(SKIP_1) | instid1(VALU_DEP_3)
	v_mul_hi_u32 v5, s0, v3
	v_mul_lo_u32 v7, s20, v3
	v_mul_lo_u32 v6, s0, v4
	s_delay_alu instid0(VALU_DEP_1) | instskip(SKIP_1) | instid1(VALU_DEP_2)
	v_add_nc_u32_e32 v5, v5, v6
	v_mul_lo_u32 v6, s0, v3
	v_add_nc_u32_e32 v5, v5, v7
	s_delay_alu instid0(VALU_DEP_2) | instskip(NEXT) | instid1(VALU_DEP_2)
	v_mul_hi_u32 v7, v3, v6
	v_mul_lo_u32 v8, v3, v5
	v_mul_hi_u32 v9, v3, v5
	v_mul_hi_u32 v11, v4, v6
	v_mul_lo_u32 v6, v4, v6
	v_mul_hi_u32 v12, v4, v5
	v_mul_lo_u32 v5, v4, v5
	v_add_co_u32 v7, vcc_lo, v7, v8
	v_add_co_ci_u32_e32 v8, vcc_lo, 0, v9, vcc_lo
	s_delay_alu instid0(VALU_DEP_2) | instskip(NEXT) | instid1(VALU_DEP_2)
	v_add_co_u32 v6, vcc_lo, v7, v6
	v_add_co_ci_u32_e32 v6, vcc_lo, v8, v11, vcc_lo
	v_add_co_ci_u32_e32 v7, vcc_lo, 0, v12, vcc_lo
	v_add_co_u32 v8, vcc_lo, v0, v10
	v_add_co_ci_u32_e32 v9, vcc_lo, v1, v10, vcc_lo
	s_delay_alu instid0(VALU_DEP_4) | instskip(NEXT) | instid1(VALU_DEP_4)
	v_add_co_u32 v5, vcc_lo, v6, v5
	v_add_co_ci_u32_e32 v6, vcc_lo, 0, v7, vcc_lo
	s_delay_alu instid0(VALU_DEP_4) | instskip(NEXT) | instid1(VALU_DEP_3)
	v_xor_b32_e32 v11, v8, v10
	v_add_co_u32 v7, vcc_lo, v3, v5
	s_delay_alu instid0(VALU_DEP_3) | instskip(SKIP_1) | instid1(VALU_DEP_3)
	v_add_co_ci_u32_e32 v12, vcc_lo, v4, v6, vcc_lo
	v_xor_b32_e32 v9, v9, v10
	v_mul_hi_u32 v13, v11, v7
	s_delay_alu instid0(VALU_DEP_3) | instskip(NEXT) | instid1(VALU_DEP_3)
	v_mad_u64_u32 v[3:4], null, v11, v12, 0
	v_mad_u64_u32 v[5:6], null, v9, v7, 0
	;; [unrolled: 1-line block ×3, first 2 shown]
	s_delay_alu instid0(VALU_DEP_3) | instskip(NEXT) | instid1(VALU_DEP_4)
	v_add_co_u32 v3, vcc_lo, v13, v3
	v_add_co_ci_u32_e32 v4, vcc_lo, 0, v4, vcc_lo
	s_delay_alu instid0(VALU_DEP_2) | instskip(NEXT) | instid1(VALU_DEP_2)
	v_add_co_u32 v3, vcc_lo, v3, v5
	v_add_co_ci_u32_e32 v3, vcc_lo, v4, v6, vcc_lo
	v_add_co_ci_u32_e32 v4, vcc_lo, 0, v8, vcc_lo
	s_delay_alu instid0(VALU_DEP_2) | instskip(NEXT) | instid1(VALU_DEP_2)
	v_add_co_u32 v5, vcc_lo, v3, v7
	v_add_co_ci_u32_e32 v6, vcc_lo, 0, v4, vcc_lo
	s_delay_alu instid0(VALU_DEP_2) | instskip(SKIP_1) | instid1(VALU_DEP_3)
	v_mul_lo_u32 v7, s19, v5
	v_mad_u64_u32 v[3:4], null, s18, v5, 0
	v_mul_lo_u32 v8, s18, v6
	s_delay_alu instid0(VALU_DEP_2) | instskip(NEXT) | instid1(VALU_DEP_2)
	v_sub_co_u32 v3, vcc_lo, v11, v3
	v_add3_u32 v4, v4, v8, v7
	s_delay_alu instid0(VALU_DEP_1) | instskip(NEXT) | instid1(VALU_DEP_1)
	v_sub_nc_u32_e32 v7, v9, v4
	v_subrev_co_ci_u32_e64 v7, s0, s19, v7, vcc_lo
	v_add_co_u32 v8, s0, v5, 2
	s_delay_alu instid0(VALU_DEP_1) | instskip(SKIP_3) | instid1(VALU_DEP_3)
	v_add_co_ci_u32_e64 v11, s0, 0, v6, s0
	v_sub_co_u32 v12, s0, v3, s18
	v_sub_co_ci_u32_e32 v4, vcc_lo, v9, v4, vcc_lo
	v_subrev_co_ci_u32_e64 v7, s0, 0, v7, s0
	v_cmp_le_u32_e32 vcc_lo, s18, v12
	s_delay_alu instid0(VALU_DEP_3) | instskip(SKIP_1) | instid1(VALU_DEP_4)
	v_cmp_eq_u32_e64 s0, s19, v4
	v_cndmask_b32_e64 v9, 0, -1, vcc_lo
	v_cmp_le_u32_e32 vcc_lo, s19, v7
	v_cndmask_b32_e64 v12, 0, -1, vcc_lo
	v_cmp_le_u32_e32 vcc_lo, s18, v3
	;; [unrolled: 2-line block ×3, first 2 shown]
	v_cndmask_b32_e64 v13, 0, -1, vcc_lo
	v_cmp_eq_u32_e32 vcc_lo, s19, v7
	s_delay_alu instid0(VALU_DEP_2) | instskip(SKIP_3) | instid1(VALU_DEP_3)
	v_cndmask_b32_e64 v3, v13, v3, s0
	v_cndmask_b32_e32 v7, v12, v9, vcc_lo
	v_add_co_u32 v9, vcc_lo, v5, 1
	v_add_co_ci_u32_e32 v12, vcc_lo, 0, v6, vcc_lo
	v_cmp_ne_u32_e32 vcc_lo, 0, v7
	s_delay_alu instid0(VALU_DEP_2) | instskip(SKIP_2) | instid1(VALU_DEP_3)
	v_dual_cndmask_b32 v4, v12, v11 :: v_dual_cndmask_b32 v7, v9, v8
	v_cmp_ne_u32_e32 vcc_lo, 0, v3
	v_xor_b32_e32 v3, s16, v10
	v_dual_cndmask_b32 v5, v5, v7 :: v_dual_cndmask_b32 v4, v6, v4
	v_xor_b32_e32 v6, s17, v10
	s_delay_alu instid0(VALU_DEP_2) | instskip(NEXT) | instid1(VALU_DEP_2)
	v_xor_b32_e32 v5, v5, v3
	v_xor_b32_e32 v7, v4, v6
	s_delay_alu instid0(VALU_DEP_2) | instskip(NEXT) | instid1(VALU_DEP_2)
	v_sub_co_u32 v4, vcc_lo, v5, v3
	v_sub_co_ci_u32_e32 v5, vcc_lo, v7, v6, vcc_lo
.LBB24_5:                               ;   in Loop: Header=BB24_3 Depth=1
	s_and_not1_saveexec_b32 s0, s14
; %bb.6:                                ;   in Loop: Header=BB24_3 Depth=1
	v_mul_hi_u32 v3, v0, v25
	s_delay_alu instid0(VALU_DEP_1) | instskip(NEXT) | instid1(VALU_DEP_1)
	v_mul_lo_u32 v4, v3, s24
	v_sub_nc_u32_e32 v4, v0, v4
	s_delay_alu instid0(VALU_DEP_1) | instskip(SKIP_1) | instid1(VALU_DEP_2)
	v_subrev_nc_u32_e32 v6, s24, v4
	v_cmp_le_u32_e32 vcc_lo, s24, v4
	v_dual_cndmask_b32 v4, v4, v6 :: v_dual_add_nc_u32 v5, 1, v3
	s_delay_alu instid0(VALU_DEP_1) | instskip(NEXT) | instid1(VALU_DEP_2)
	v_cndmask_b32_e32 v3, v3, v5, vcc_lo
	v_cmp_le_u32_e32 vcc_lo, s24, v4
	s_delay_alu instid0(VALU_DEP_2) | instskip(NEXT) | instid1(VALU_DEP_1)
	v_add_nc_u32_e32 v5, 1, v3
	v_dual_cndmask_b32 v4, v3, v5 :: v_dual_mov_b32 v5, v2
; %bb.7:                                ;   in Loop: Header=BB24_3 Depth=1
	s_or_b32 exec_lo, exec_lo, s0
	s_delay_alu instid0(VALU_DEP_1) | instskip(SKIP_1) | instid1(VALU_DEP_1)
	v_or_b32_e32 v3, s29, v5
                                        ; implicit-def: $vgpr7_vgpr8
	s_mov_b32 s0, exec_lo
	v_cmpx_ne_u64_e32 0, v[2:3]
	s_xor_b32 s14, exec_lo, s0
	s_cbranch_execz .LBB24_9
; %bb.8:                                ;   in Loop: Header=BB24_3 Depth=1
	s_add_u32 s18, s28, s29
	s_mov_b32 s16, s29
	s_mov_b32 s17, s29
	s_addc_u32 s19, s29, s29
	s_delay_alu instid0(SALU_CYCLE_1) | instskip(NEXT) | instid1(SALU_CYCLE_1)
	s_xor_b64 s[18:19], s[18:19], s[16:17]
	v_cvt_f32_u32_e32 v3, s18
	v_cvt_f32_u32_e32 v6, s19
	s_sub_u32 s0, 0, s18
	s_subb_u32 s20, 0, s19
	s_delay_alu instid0(VALU_DEP_1) | instskip(NEXT) | instid1(VALU_DEP_1)
	v_fmac_f32_e32 v3, 0x4f800000, v6
	v_rcp_f32_e32 v3, v3
	s_waitcnt_depctr 0xfff
	v_mul_f32_e32 v3, 0x5f7ffffc, v3
	s_delay_alu instid0(VALU_DEP_1) | instskip(NEXT) | instid1(VALU_DEP_1)
	v_mul_f32_e32 v6, 0x2f800000, v3
	v_trunc_f32_e32 v6, v6
	s_delay_alu instid0(VALU_DEP_1) | instskip(SKIP_1) | instid1(VALU_DEP_2)
	v_fmac_f32_e32 v3, 0xcf800000, v6
	v_cvt_u32_f32_e32 v6, v6
	v_cvt_u32_f32_e32 v3, v3
	s_delay_alu instid0(VALU_DEP_2) | instskip(NEXT) | instid1(VALU_DEP_2)
	v_mul_lo_u32 v7, s0, v6
	v_mul_hi_u32 v8, s0, v3
	v_mul_lo_u32 v9, s20, v3
	s_delay_alu instid0(VALU_DEP_2) | instskip(SKIP_1) | instid1(VALU_DEP_2)
	v_add_nc_u32_e32 v7, v8, v7
	v_mul_lo_u32 v8, s0, v3
	v_add_nc_u32_e32 v7, v7, v9
	s_delay_alu instid0(VALU_DEP_2) | instskip(NEXT) | instid1(VALU_DEP_2)
	v_mul_hi_u32 v9, v3, v8
	v_mul_lo_u32 v10, v3, v7
	v_mul_hi_u32 v11, v3, v7
	v_mul_hi_u32 v12, v6, v8
	v_mul_lo_u32 v8, v6, v8
	v_mul_hi_u32 v13, v6, v7
	v_mul_lo_u32 v7, v6, v7
	v_add_co_u32 v9, vcc_lo, v9, v10
	v_add_co_ci_u32_e32 v10, vcc_lo, 0, v11, vcc_lo
	s_delay_alu instid0(VALU_DEP_2) | instskip(NEXT) | instid1(VALU_DEP_2)
	v_add_co_u32 v8, vcc_lo, v9, v8
	v_add_co_ci_u32_e32 v8, vcc_lo, v10, v12, vcc_lo
	v_add_co_ci_u32_e32 v9, vcc_lo, 0, v13, vcc_lo
	v_ashrrev_i32_e32 v12, 31, v5
	s_delay_alu instid0(VALU_DEP_3) | instskip(NEXT) | instid1(VALU_DEP_3)
	v_add_co_u32 v7, vcc_lo, v8, v7
	v_add_co_ci_u32_e32 v8, vcc_lo, 0, v9, vcc_lo
	s_delay_alu instid0(VALU_DEP_2) | instskip(NEXT) | instid1(VALU_DEP_2)
	v_add_co_u32 v3, vcc_lo, v3, v7
	v_add_co_ci_u32_e32 v6, vcc_lo, v6, v8, vcc_lo
	s_delay_alu instid0(VALU_DEP_2) | instskip(SKIP_1) | instid1(VALU_DEP_3)
	v_mul_hi_u32 v7, s0, v3
	v_mul_lo_u32 v9, s20, v3
	v_mul_lo_u32 v8, s0, v6
	s_delay_alu instid0(VALU_DEP_1) | instskip(SKIP_1) | instid1(VALU_DEP_2)
	v_add_nc_u32_e32 v7, v7, v8
	v_mul_lo_u32 v8, s0, v3
	v_add_nc_u32_e32 v7, v7, v9
	s_delay_alu instid0(VALU_DEP_2) | instskip(NEXT) | instid1(VALU_DEP_2)
	v_mul_hi_u32 v9, v3, v8
	v_mul_lo_u32 v10, v3, v7
	v_mul_hi_u32 v11, v3, v7
	v_mul_hi_u32 v13, v6, v8
	v_mul_lo_u32 v8, v6, v8
	v_mul_hi_u32 v14, v6, v7
	v_mul_lo_u32 v7, v6, v7
	v_add_co_u32 v9, vcc_lo, v9, v10
	v_add_co_ci_u32_e32 v10, vcc_lo, 0, v11, vcc_lo
	s_delay_alu instid0(VALU_DEP_2) | instskip(NEXT) | instid1(VALU_DEP_2)
	v_add_co_u32 v8, vcc_lo, v9, v8
	v_add_co_ci_u32_e32 v8, vcc_lo, v10, v13, vcc_lo
	v_add_co_ci_u32_e32 v9, vcc_lo, 0, v14, vcc_lo
	v_add_co_u32 v10, vcc_lo, v4, v12
	v_add_co_ci_u32_e32 v5, vcc_lo, v5, v12, vcc_lo
	s_delay_alu instid0(VALU_DEP_4) | instskip(NEXT) | instid1(VALU_DEP_4)
	v_add_co_u32 v7, vcc_lo, v8, v7
	v_add_co_ci_u32_e32 v8, vcc_lo, 0, v9, vcc_lo
	s_delay_alu instid0(VALU_DEP_4) | instskip(NEXT) | instid1(VALU_DEP_3)
	v_xor_b32_e32 v11, v10, v12
	v_add_co_u32 v3, vcc_lo, v3, v7
	s_delay_alu instid0(VALU_DEP_3) | instskip(SKIP_1) | instid1(VALU_DEP_3)
	v_add_co_ci_u32_e32 v13, vcc_lo, v6, v8, vcc_lo
	v_xor_b32_e32 v14, v5, v12
	v_mul_hi_u32 v15, v11, v3
	s_delay_alu instid0(VALU_DEP_3) | instskip(NEXT) | instid1(VALU_DEP_3)
	v_mad_u64_u32 v[5:6], null, v11, v13, 0
	v_mad_u64_u32 v[7:8], null, v14, v3, 0
	;; [unrolled: 1-line block ×3, first 2 shown]
	s_delay_alu instid0(VALU_DEP_3) | instskip(NEXT) | instid1(VALU_DEP_4)
	v_add_co_u32 v3, vcc_lo, v15, v5
	v_add_co_ci_u32_e32 v5, vcc_lo, 0, v6, vcc_lo
	s_delay_alu instid0(VALU_DEP_2) | instskip(NEXT) | instid1(VALU_DEP_2)
	v_add_co_u32 v3, vcc_lo, v3, v7
	v_add_co_ci_u32_e32 v3, vcc_lo, v5, v8, vcc_lo
	v_add_co_ci_u32_e32 v5, vcc_lo, 0, v10, vcc_lo
	s_delay_alu instid0(VALU_DEP_2) | instskip(NEXT) | instid1(VALU_DEP_2)
	v_add_co_u32 v3, vcc_lo, v3, v9
	v_add_co_ci_u32_e32 v7, vcc_lo, 0, v5, vcc_lo
	s_delay_alu instid0(VALU_DEP_2) | instskip(SKIP_1) | instid1(VALU_DEP_3)
	v_mul_lo_u32 v8, s19, v3
	v_mad_u64_u32 v[5:6], null, s18, v3, 0
	v_mul_lo_u32 v9, s18, v7
	s_delay_alu instid0(VALU_DEP_2) | instskip(NEXT) | instid1(VALU_DEP_2)
	v_sub_co_u32 v5, vcc_lo, v11, v5
	v_add3_u32 v6, v6, v9, v8
	s_delay_alu instid0(VALU_DEP_1) | instskip(NEXT) | instid1(VALU_DEP_1)
	v_sub_nc_u32_e32 v8, v14, v6
	v_subrev_co_ci_u32_e64 v8, s0, s19, v8, vcc_lo
	v_add_co_u32 v9, s0, v3, 2
	s_delay_alu instid0(VALU_DEP_1) | instskip(SKIP_3) | instid1(VALU_DEP_3)
	v_add_co_ci_u32_e64 v10, s0, 0, v7, s0
	v_sub_co_u32 v11, s0, v5, s18
	v_sub_co_ci_u32_e32 v6, vcc_lo, v14, v6, vcc_lo
	v_subrev_co_ci_u32_e64 v8, s0, 0, v8, s0
	v_cmp_le_u32_e32 vcc_lo, s18, v11
	s_delay_alu instid0(VALU_DEP_3) | instskip(SKIP_1) | instid1(VALU_DEP_4)
	v_cmp_eq_u32_e64 s0, s19, v6
	v_cndmask_b32_e64 v11, 0, -1, vcc_lo
	v_cmp_le_u32_e32 vcc_lo, s19, v8
	v_cndmask_b32_e64 v13, 0, -1, vcc_lo
	v_cmp_le_u32_e32 vcc_lo, s18, v5
	v_cndmask_b32_e64 v5, 0, -1, vcc_lo
	v_cmp_le_u32_e32 vcc_lo, s19, v6
	v_cndmask_b32_e64 v14, 0, -1, vcc_lo
	v_cmp_eq_u32_e32 vcc_lo, s19, v8
	s_delay_alu instid0(VALU_DEP_2) | instskip(SKIP_3) | instid1(VALU_DEP_3)
	v_cndmask_b32_e64 v5, v14, v5, s0
	v_cndmask_b32_e32 v8, v13, v11, vcc_lo
	v_add_co_u32 v11, vcc_lo, v3, 1
	v_add_co_ci_u32_e32 v13, vcc_lo, 0, v7, vcc_lo
	v_cmp_ne_u32_e32 vcc_lo, 0, v8
	s_delay_alu instid0(VALU_DEP_3) | instskip(NEXT) | instid1(VALU_DEP_3)
	v_cndmask_b32_e32 v8, v11, v9, vcc_lo
	v_cndmask_b32_e32 v6, v13, v10, vcc_lo
	v_cmp_ne_u32_e32 vcc_lo, 0, v5
	v_xor_b32_e32 v5, s16, v12
	s_delay_alu instid0(VALU_DEP_4) | instskip(NEXT) | instid1(VALU_DEP_4)
	v_cndmask_b32_e32 v3, v3, v8, vcc_lo
	v_cndmask_b32_e32 v6, v7, v6, vcc_lo
	v_xor_b32_e32 v8, s17, v12
	s_delay_alu instid0(VALU_DEP_3) | instskip(NEXT) | instid1(VALU_DEP_2)
	v_xor_b32_e32 v3, v3, v5
	v_xor_b32_e32 v6, v6, v8
	s_delay_alu instid0(VALU_DEP_2) | instskip(NEXT) | instid1(VALU_DEP_2)
	v_sub_co_u32 v7, vcc_lo, v3, v5
	v_sub_co_ci_u32_e32 v8, vcc_lo, v6, v8, vcc_lo
.LBB24_9:                               ;   in Loop: Header=BB24_3 Depth=1
	s_and_not1_saveexec_b32 s0, s14
	s_cbranch_execz .LBB24_11
; %bb.10:                               ;   in Loop: Header=BB24_3 Depth=1
	v_cvt_f32_u32_e32 v3, s28
	s_sub_i32 s14, 0, s28
	v_mov_b32_e32 v8, v2
	s_delay_alu instid0(VALU_DEP_2) | instskip(SKIP_2) | instid1(VALU_DEP_1)
	v_rcp_iflag_f32_e32 v3, v3
	s_waitcnt_depctr 0xfff
	v_mul_f32_e32 v3, 0x4f7ffffe, v3
	v_cvt_u32_f32_e32 v3, v3
	s_delay_alu instid0(VALU_DEP_1) | instskip(NEXT) | instid1(VALU_DEP_1)
	v_mul_lo_u32 v5, s14, v3
	v_mul_hi_u32 v5, v3, v5
	s_delay_alu instid0(VALU_DEP_1) | instskip(NEXT) | instid1(VALU_DEP_1)
	v_add_nc_u32_e32 v3, v3, v5
	v_mul_hi_u32 v3, v4, v3
	s_delay_alu instid0(VALU_DEP_1) | instskip(SKIP_1) | instid1(VALU_DEP_2)
	v_mul_lo_u32 v5, v3, s28
	v_add_nc_u32_e32 v6, 1, v3
	v_sub_nc_u32_e32 v5, v4, v5
	s_delay_alu instid0(VALU_DEP_1) | instskip(SKIP_1) | instid1(VALU_DEP_2)
	v_subrev_nc_u32_e32 v7, s28, v5
	v_cmp_le_u32_e32 vcc_lo, s28, v5
	v_cndmask_b32_e32 v5, v5, v7, vcc_lo
	v_cndmask_b32_e32 v3, v3, v6, vcc_lo
	s_delay_alu instid0(VALU_DEP_2) | instskip(NEXT) | instid1(VALU_DEP_2)
	v_cmp_le_u32_e32 vcc_lo, s28, v5
	v_add_nc_u32_e32 v6, 1, v3
	s_delay_alu instid0(VALU_DEP_1)
	v_cndmask_b32_e32 v7, v3, v6, vcc_lo
.LBB24_11:                              ;   in Loop: Header=BB24_3 Depth=1
	s_or_b32 exec_lo, exec_lo, s0
	v_mad_u64_u32 v[5:6], null, v4, s24, 0
	s_delay_alu instid0(VALU_DEP_2) | instskip(SKIP_1) | instid1(VALU_DEP_2)
	v_mad_u64_u32 v[9:10], null, v7, s28, 0
	s_mov_b32 s39, exec_lo
	v_sub_co_u32 v27, null, v0, v5
	s_delay_alu instid0(VALU_DEP_2) | instskip(NEXT) | instid1(VALU_DEP_1)
	v_sub_co_u32 v26, null, v4, v9
	v_sub_nc_u32_e32 v6, v27, v26
	s_delay_alu instid0(VALU_DEP_1) | instskip(NEXT) | instid1(VALU_DEP_1)
	v_add_nc_u32_e32 v3, 2, v6
	v_ashrrev_i32_e32 v4, 31, v3
	s_delay_alu instid0(VALU_DEP_1)
	v_cmpx_lt_i64_e64 s[4:5], v[3:4]
	s_cbranch_execz .LBB24_2
; %bb.12:                               ;   in Loop: Header=BB24_3 Depth=1
	s_clause 0x1
	s_load_b32 s40, s[8:9], 0x0
	s_load_b32 s0, s[10:11], 0x0
	s_and_not1_b32 vcc_lo, exec_lo, s37
	s_waitcnt lgkmcnt(0)
	v_mul_lo_u32 v3, s40, v27
	s_delay_alu instid0(VALU_DEP_1)
	v_mad_u64_u32 v[4:5], null, s0, v26, v[3:4]
	s_cbranch_vccnz .LBB24_58
; %bb.13:                               ;   in Loop: Header=BB24_3 Depth=1
	s_and_not1_b32 vcc_lo, exec_lo, s35
	s_cbranch_vccnz .LBB24_21
; %bb.14:                               ;   in Loop: Header=BB24_3 Depth=1
	v_dual_mov_b32 v10, v8 :: v_dual_mov_b32 v9, v7
	s_mov_b32 s22, s33
	s_mov_b32 s14, s31
.LBB24_15:                              ;   Parent Loop BB24_3 Depth=1
                                        ; =>  This Inner Loop Header: Depth=2
	s_delay_alu instid0(SALU_CYCLE_1) | instskip(NEXT) | instid1(SALU_CYCLE_1)
	s_lshl_b64 s[16:17], s[14:15], 2
                                        ; implicit-def: $vgpr7_vgpr8
	s_add_u32 s18, s26, s16
	s_addc_u32 s19, s27, s17
	s_load_b32 s23, s[18:19], 0x0
	s_mov_b32 s18, exec_lo
	s_waitcnt lgkmcnt(0)
	s_ashr_i32 s0, s23, 31
	s_delay_alu instid0(SALU_CYCLE_1) | instskip(NEXT) | instid1(VALU_DEP_1)
	v_or_b32_e32 v3, s0, v10
	v_cmpx_ne_u64_e32 0, v[2:3]
	s_xor_b32 s41, exec_lo, s18
	s_cbranch_execz .LBB24_17
; %bb.16:                               ;   in Loop: Header=BB24_15 Depth=2
	s_add_u32 s20, s23, s0
	s_mov_b32 s18, s0
	s_mov_b32 s19, s0
	s_addc_u32 s21, s0, s0
	s_delay_alu instid0(SALU_CYCLE_1) | instskip(NEXT) | instid1(SALU_CYCLE_1)
	s_xor_b64 s[20:21], s[20:21], s[18:19]
	v_cvt_f32_u32_e32 v3, s20
	v_cvt_f32_u32_e32 v5, s21
	s_sub_u32 s0, 0, s20
	s_subb_u32 s42, 0, s21
	s_delay_alu instid0(VALU_DEP_1) | instskip(NEXT) | instid1(VALU_DEP_1)
	v_fmac_f32_e32 v3, 0x4f800000, v5
	v_rcp_f32_e32 v3, v3
	s_waitcnt_depctr 0xfff
	v_mul_f32_e32 v3, 0x5f7ffffc, v3
	s_delay_alu instid0(VALU_DEP_1) | instskip(NEXT) | instid1(VALU_DEP_1)
	v_mul_f32_e32 v5, 0x2f800000, v3
	v_trunc_f32_e32 v5, v5
	s_delay_alu instid0(VALU_DEP_1) | instskip(SKIP_1) | instid1(VALU_DEP_2)
	v_fmac_f32_e32 v3, 0xcf800000, v5
	v_cvt_u32_f32_e32 v5, v5
	v_cvt_u32_f32_e32 v3, v3
	s_delay_alu instid0(VALU_DEP_2) | instskip(NEXT) | instid1(VALU_DEP_2)
	v_mul_lo_u32 v7, s0, v5
	v_mul_hi_u32 v8, s0, v3
	v_mul_lo_u32 v11, s42, v3
	s_delay_alu instid0(VALU_DEP_2) | instskip(SKIP_1) | instid1(VALU_DEP_2)
	v_add_nc_u32_e32 v7, v8, v7
	v_mul_lo_u32 v8, s0, v3
	v_add_nc_u32_e32 v7, v7, v11
	s_delay_alu instid0(VALU_DEP_2) | instskip(NEXT) | instid1(VALU_DEP_2)
	v_mul_hi_u32 v11, v3, v8
	v_mul_lo_u32 v12, v3, v7
	v_mul_hi_u32 v13, v3, v7
	v_mul_hi_u32 v14, v5, v8
	v_mul_lo_u32 v8, v5, v8
	v_mul_hi_u32 v15, v5, v7
	v_mul_lo_u32 v7, v5, v7
	v_add_co_u32 v11, vcc_lo, v11, v12
	v_add_co_ci_u32_e32 v12, vcc_lo, 0, v13, vcc_lo
	s_delay_alu instid0(VALU_DEP_2) | instskip(NEXT) | instid1(VALU_DEP_2)
	v_add_co_u32 v8, vcc_lo, v11, v8
	v_add_co_ci_u32_e32 v8, vcc_lo, v12, v14, vcc_lo
	v_add_co_ci_u32_e32 v11, vcc_lo, 0, v15, vcc_lo
	v_ashrrev_i32_e32 v14, 31, v10
	s_delay_alu instid0(VALU_DEP_3) | instskip(NEXT) | instid1(VALU_DEP_3)
	v_add_co_u32 v7, vcc_lo, v8, v7
	v_add_co_ci_u32_e32 v8, vcc_lo, 0, v11, vcc_lo
	s_delay_alu instid0(VALU_DEP_2) | instskip(NEXT) | instid1(VALU_DEP_2)
	v_add_co_u32 v3, vcc_lo, v3, v7
	v_add_co_ci_u32_e32 v5, vcc_lo, v5, v8, vcc_lo
	s_delay_alu instid0(VALU_DEP_2) | instskip(SKIP_1) | instid1(VALU_DEP_3)
	v_mul_hi_u32 v7, s0, v3
	v_mul_lo_u32 v11, s42, v3
	v_mul_lo_u32 v8, s0, v5
	s_delay_alu instid0(VALU_DEP_1) | instskip(SKIP_1) | instid1(VALU_DEP_2)
	v_add_nc_u32_e32 v7, v7, v8
	v_mul_lo_u32 v8, s0, v3
	v_add_nc_u32_e32 v7, v7, v11
	s_delay_alu instid0(VALU_DEP_2) | instskip(NEXT) | instid1(VALU_DEP_2)
	v_mul_hi_u32 v11, v3, v8
	v_mul_lo_u32 v12, v3, v7
	v_mul_hi_u32 v13, v3, v7
	v_mul_hi_u32 v15, v5, v8
	v_mul_lo_u32 v8, v5, v8
	v_mul_hi_u32 v16, v5, v7
	v_mul_lo_u32 v7, v5, v7
	v_add_co_u32 v11, vcc_lo, v11, v12
	v_add_co_ci_u32_e32 v12, vcc_lo, 0, v13, vcc_lo
	s_delay_alu instid0(VALU_DEP_2) | instskip(NEXT) | instid1(VALU_DEP_2)
	v_add_co_u32 v8, vcc_lo, v11, v8
	v_add_co_ci_u32_e32 v8, vcc_lo, v12, v15, vcc_lo
	v_add_co_ci_u32_e32 v11, vcc_lo, 0, v16, vcc_lo
	v_add_co_u32 v12, vcc_lo, v9, v14
	v_add_co_ci_u32_e32 v10, vcc_lo, v10, v14, vcc_lo
	s_delay_alu instid0(VALU_DEP_4) | instskip(NEXT) | instid1(VALU_DEP_4)
	v_add_co_u32 v7, vcc_lo, v8, v7
	v_add_co_ci_u32_e32 v8, vcc_lo, 0, v11, vcc_lo
	s_delay_alu instid0(VALU_DEP_4) | instskip(NEXT) | instid1(VALU_DEP_3)
	v_xor_b32_e32 v15, v12, v14
	v_add_co_u32 v3, vcc_lo, v3, v7
	s_delay_alu instid0(VALU_DEP_3) | instskip(SKIP_1) | instid1(VALU_DEP_3)
	v_add_co_ci_u32_e32 v5, vcc_lo, v5, v8, vcc_lo
	v_xor_b32_e32 v16, v10, v14
	v_mul_hi_u32 v17, v15, v3
	s_delay_alu instid0(VALU_DEP_3) | instskip(NEXT) | instid1(VALU_DEP_3)
	v_mad_u64_u32 v[7:8], null, v15, v5, 0
	v_mad_u64_u32 v[10:11], null, v16, v3, 0
	;; [unrolled: 1-line block ×3, first 2 shown]
	s_delay_alu instid0(VALU_DEP_3) | instskip(NEXT) | instid1(VALU_DEP_4)
	v_add_co_u32 v3, vcc_lo, v17, v7
	v_add_co_ci_u32_e32 v5, vcc_lo, 0, v8, vcc_lo
	s_delay_alu instid0(VALU_DEP_2) | instskip(NEXT) | instid1(VALU_DEP_2)
	v_add_co_u32 v3, vcc_lo, v3, v10
	v_add_co_ci_u32_e32 v3, vcc_lo, v5, v11, vcc_lo
	v_add_co_ci_u32_e32 v5, vcc_lo, 0, v13, vcc_lo
	s_delay_alu instid0(VALU_DEP_2) | instskip(NEXT) | instid1(VALU_DEP_2)
	v_add_co_u32 v3, vcc_lo, v3, v12
	v_add_co_ci_u32_e32 v5, vcc_lo, 0, v5, vcc_lo
	s_delay_alu instid0(VALU_DEP_2) | instskip(SKIP_1) | instid1(VALU_DEP_3)
	v_mul_lo_u32 v10, s21, v3
	v_mad_u64_u32 v[7:8], null, s20, v3, 0
	v_mul_lo_u32 v11, s20, v5
	s_delay_alu instid0(VALU_DEP_2) | instskip(NEXT) | instid1(VALU_DEP_2)
	v_sub_co_u32 v7, vcc_lo, v15, v7
	v_add3_u32 v8, v8, v11, v10
	s_delay_alu instid0(VALU_DEP_1) | instskip(NEXT) | instid1(VALU_DEP_1)
	v_sub_nc_u32_e32 v10, v16, v8
	v_subrev_co_ci_u32_e64 v10, s0, s21, v10, vcc_lo
	v_add_co_u32 v11, s0, v3, 2
	s_delay_alu instid0(VALU_DEP_1) | instskip(SKIP_3) | instid1(VALU_DEP_3)
	v_add_co_ci_u32_e64 v12, s0, 0, v5, s0
	v_sub_co_u32 v13, s0, v7, s20
	v_sub_co_ci_u32_e32 v8, vcc_lo, v16, v8, vcc_lo
	v_subrev_co_ci_u32_e64 v10, s0, 0, v10, s0
	v_cmp_le_u32_e32 vcc_lo, s20, v13
	s_delay_alu instid0(VALU_DEP_3) | instskip(SKIP_1) | instid1(VALU_DEP_4)
	v_cmp_eq_u32_e64 s0, s21, v8
	v_cndmask_b32_e64 v13, 0, -1, vcc_lo
	v_cmp_le_u32_e32 vcc_lo, s21, v10
	v_cndmask_b32_e64 v15, 0, -1, vcc_lo
	v_cmp_le_u32_e32 vcc_lo, s20, v7
	;; [unrolled: 2-line block ×3, first 2 shown]
	v_cndmask_b32_e64 v16, 0, -1, vcc_lo
	v_cmp_eq_u32_e32 vcc_lo, s21, v10
	s_delay_alu instid0(VALU_DEP_2) | instskip(SKIP_3) | instid1(VALU_DEP_3)
	v_cndmask_b32_e64 v7, v16, v7, s0
	v_cndmask_b32_e32 v10, v15, v13, vcc_lo
	v_add_co_u32 v13, vcc_lo, v3, 1
	v_add_co_ci_u32_e32 v15, vcc_lo, 0, v5, vcc_lo
	v_cmp_ne_u32_e32 vcc_lo, 0, v10
	s_delay_alu instid0(VALU_DEP_3) | instskip(NEXT) | instid1(VALU_DEP_3)
	v_cndmask_b32_e32 v10, v13, v11, vcc_lo
	v_cndmask_b32_e32 v8, v15, v12, vcc_lo
	v_cmp_ne_u32_e32 vcc_lo, 0, v7
	v_xor_b32_e32 v7, s18, v14
	s_delay_alu instid0(VALU_DEP_4) | instskip(NEXT) | instid1(VALU_DEP_4)
	v_cndmask_b32_e32 v3, v3, v10, vcc_lo
	v_cndmask_b32_e32 v5, v5, v8, vcc_lo
	v_xor_b32_e32 v8, s19, v14
	s_delay_alu instid0(VALU_DEP_3) | instskip(NEXT) | instid1(VALU_DEP_2)
	v_xor_b32_e32 v3, v3, v7
	v_xor_b32_e32 v5, v5, v8
	s_delay_alu instid0(VALU_DEP_2) | instskip(NEXT) | instid1(VALU_DEP_2)
	v_sub_co_u32 v7, vcc_lo, v3, v7
	v_sub_co_ci_u32_e32 v8, vcc_lo, v5, v8, vcc_lo
.LBB24_17:                              ;   in Loop: Header=BB24_15 Depth=2
	s_and_not1_saveexec_b32 s0, s41
	s_cbranch_execz .LBB24_19
; %bb.18:                               ;   in Loop: Header=BB24_15 Depth=2
	v_cvt_f32_u32_e32 v3, s23
	s_sub_i32 s18, 0, s23
	s_delay_alu instid0(VALU_DEP_1) | instskip(SKIP_2) | instid1(VALU_DEP_1)
	v_rcp_iflag_f32_e32 v3, v3
	s_waitcnt_depctr 0xfff
	v_mul_f32_e32 v3, 0x4f7ffffe, v3
	v_cvt_u32_f32_e32 v3, v3
	s_delay_alu instid0(VALU_DEP_1) | instskip(NEXT) | instid1(VALU_DEP_1)
	v_mul_lo_u32 v5, s18, v3
	v_mul_hi_u32 v5, v3, v5
	s_delay_alu instid0(VALU_DEP_1) | instskip(NEXT) | instid1(VALU_DEP_1)
	v_add_nc_u32_e32 v3, v3, v5
	v_mul_hi_u32 v3, v9, v3
	s_delay_alu instid0(VALU_DEP_1) | instskip(SKIP_1) | instid1(VALU_DEP_2)
	v_mul_lo_u32 v5, v3, s23
	v_add_nc_u32_e32 v7, 1, v3
	v_sub_nc_u32_e32 v5, v9, v5
	s_delay_alu instid0(VALU_DEP_1) | instskip(SKIP_1) | instid1(VALU_DEP_2)
	v_subrev_nc_u32_e32 v8, s23, v5
	v_cmp_le_u32_e32 vcc_lo, s23, v5
	v_dual_cndmask_b32 v5, v5, v8 :: v_dual_mov_b32 v8, v2
	v_cndmask_b32_e32 v3, v3, v7, vcc_lo
	s_delay_alu instid0(VALU_DEP_2) | instskip(NEXT) | instid1(VALU_DEP_2)
	v_cmp_le_u32_e32 vcc_lo, s23, v5
	v_add_nc_u32_e32 v7, 1, v3
	s_delay_alu instid0(VALU_DEP_1)
	v_cndmask_b32_e32 v7, v3, v7, vcc_lo
.LBB24_19:                              ;   in Loop: Header=BB24_15 Depth=2
	s_or_b32 exec_lo, exec_lo, s0
	s_add_u32 s16, s30, s16
	s_addc_u32 s17, s1, s17
	s_delay_alu instid0(VALU_DEP_1) | instskip(SKIP_4) | instid1(VALU_DEP_1)
	v_mul_lo_u32 v3, v7, s23
	s_load_b32 s0, s[16:17], 0x0
	s_add_i32 s22, s22, -1
	s_add_i32 s14, s14, -1
	s_cmp_lg_u32 s22, 0
	v_sub_nc_u32_e32 v3, v9, v3
	s_waitcnt lgkmcnt(0)
	s_delay_alu instid0(VALU_DEP_1) | instskip(NEXT) | instid1(VALU_DEP_1)
	v_mad_u64_u32 v[9:10], null, s0, v3, v[4:5]
	v_mov_b32_e32 v4, v9
	s_cbranch_scc0 .LBB24_22
; %bb.20:                               ;   in Loop: Header=BB24_15 Depth=2
	v_dual_mov_b32 v10, v8 :: v_dual_mov_b32 v9, v7
	s_branch .LBB24_15
.LBB24_21:                              ;   in Loop: Header=BB24_3 Depth=1
	s_mov_b32 s14, s31
.LBB24_22:                              ;   in Loop: Header=BB24_3 Depth=1
	s_and_not1_b32 vcc_lo, exec_lo, s36
	s_cbranch_vccnz .LBB24_58
; %bb.23:                               ;   in Loop: Header=BB24_3 Depth=1
	s_add_i32 s16, s14, -7
.LBB24_24:                              ;   Parent Loop BB24_3 Depth=1
                                        ; =>  This Inner Loop Header: Depth=2
	s_delay_alu instid0(SALU_CYCLE_1) | instskip(NEXT) | instid1(SALU_CYCLE_1)
	s_add_i32 s14, s16, 7
                                        ; implicit-def: $vgpr9_vgpr10
	s_lshl_b64 s[18:19], s[14:15], 2
	s_mov_b32 s14, exec_lo
	s_add_u32 s20, s26, s18
	s_addc_u32 s21, s27, s19
	s_load_b32 s41, s[20:21], 0x0
	s_waitcnt lgkmcnt(0)
	s_ashr_i32 s0, s41, 31
	s_delay_alu instid0(SALU_CYCLE_1) | instskip(NEXT) | instid1(VALU_DEP_1)
	v_or_b32_e32 v3, s0, v8
	v_cmpx_ne_u64_e32 0, v[2:3]
	s_xor_b32 s14, exec_lo, s14
	s_cbranch_execz .LBB24_26
; %bb.25:                               ;   in Loop: Header=BB24_24 Depth=2
	s_add_u32 s22, s41, s0
	s_mov_b32 s20, s0
	s_mov_b32 s21, s0
	s_addc_u32 s23, s0, s0
	s_delay_alu instid0(SALU_CYCLE_1) | instskip(NEXT) | instid1(SALU_CYCLE_1)
	s_xor_b64 s[22:23], s[22:23], s[20:21]
	v_cvt_f32_u32_e32 v3, s22
	v_cvt_f32_u32_e32 v5, s23
	s_sub_u32 s0, 0, s22
	s_subb_u32 s17, 0, s23
	s_delay_alu instid0(VALU_DEP_1) | instskip(NEXT) | instid1(VALU_DEP_1)
	v_fmac_f32_e32 v3, 0x4f800000, v5
	v_rcp_f32_e32 v3, v3
	s_waitcnt_depctr 0xfff
	v_mul_f32_e32 v3, 0x5f7ffffc, v3
	s_delay_alu instid0(VALU_DEP_1) | instskip(NEXT) | instid1(VALU_DEP_1)
	v_mul_f32_e32 v5, 0x2f800000, v3
	v_trunc_f32_e32 v5, v5
	s_delay_alu instid0(VALU_DEP_1) | instskip(SKIP_1) | instid1(VALU_DEP_2)
	v_fmac_f32_e32 v3, 0xcf800000, v5
	v_cvt_u32_f32_e32 v5, v5
	v_cvt_u32_f32_e32 v3, v3
	s_delay_alu instid0(VALU_DEP_2) | instskip(NEXT) | instid1(VALU_DEP_2)
	v_mul_lo_u32 v9, s0, v5
	v_mul_hi_u32 v10, s0, v3
	v_mul_lo_u32 v11, s17, v3
	s_delay_alu instid0(VALU_DEP_2) | instskip(SKIP_1) | instid1(VALU_DEP_2)
	v_add_nc_u32_e32 v9, v10, v9
	v_mul_lo_u32 v10, s0, v3
	v_add_nc_u32_e32 v9, v9, v11
	s_delay_alu instid0(VALU_DEP_2) | instskip(NEXT) | instid1(VALU_DEP_2)
	v_mul_hi_u32 v11, v3, v10
	v_mul_lo_u32 v12, v3, v9
	v_mul_hi_u32 v13, v3, v9
	v_mul_hi_u32 v14, v5, v10
	v_mul_lo_u32 v10, v5, v10
	v_mul_hi_u32 v15, v5, v9
	v_mul_lo_u32 v9, v5, v9
	v_add_co_u32 v11, vcc_lo, v11, v12
	v_add_co_ci_u32_e32 v12, vcc_lo, 0, v13, vcc_lo
	s_delay_alu instid0(VALU_DEP_2) | instskip(NEXT) | instid1(VALU_DEP_2)
	v_add_co_u32 v10, vcc_lo, v11, v10
	v_add_co_ci_u32_e32 v10, vcc_lo, v12, v14, vcc_lo
	v_add_co_ci_u32_e32 v11, vcc_lo, 0, v15, vcc_lo
	v_ashrrev_i32_e32 v14, 31, v8
	s_delay_alu instid0(VALU_DEP_3) | instskip(NEXT) | instid1(VALU_DEP_3)
	v_add_co_u32 v9, vcc_lo, v10, v9
	v_add_co_ci_u32_e32 v10, vcc_lo, 0, v11, vcc_lo
	s_delay_alu instid0(VALU_DEP_2) | instskip(NEXT) | instid1(VALU_DEP_2)
	v_add_co_u32 v3, vcc_lo, v3, v9
	v_add_co_ci_u32_e32 v5, vcc_lo, v5, v10, vcc_lo
	s_delay_alu instid0(VALU_DEP_2) | instskip(SKIP_1) | instid1(VALU_DEP_3)
	v_mul_hi_u32 v9, s0, v3
	v_mul_lo_u32 v11, s17, v3
	v_mul_lo_u32 v10, s0, v5
	s_delay_alu instid0(VALU_DEP_1) | instskip(SKIP_1) | instid1(VALU_DEP_2)
	v_add_nc_u32_e32 v9, v9, v10
	v_mul_lo_u32 v10, s0, v3
	v_add_nc_u32_e32 v9, v9, v11
	s_delay_alu instid0(VALU_DEP_2) | instskip(NEXT) | instid1(VALU_DEP_2)
	v_mul_hi_u32 v11, v3, v10
	v_mul_lo_u32 v12, v3, v9
	v_mul_hi_u32 v13, v3, v9
	v_mul_hi_u32 v15, v5, v10
	v_mul_lo_u32 v10, v5, v10
	v_mul_hi_u32 v16, v5, v9
	v_mul_lo_u32 v9, v5, v9
	v_add_co_u32 v11, vcc_lo, v11, v12
	v_add_co_ci_u32_e32 v12, vcc_lo, 0, v13, vcc_lo
	s_delay_alu instid0(VALU_DEP_2) | instskip(NEXT) | instid1(VALU_DEP_2)
	v_add_co_u32 v10, vcc_lo, v11, v10
	v_add_co_ci_u32_e32 v10, vcc_lo, v12, v15, vcc_lo
	v_add_co_ci_u32_e32 v11, vcc_lo, 0, v16, vcc_lo
	v_add_co_u32 v12, vcc_lo, v7, v14
	v_add_co_ci_u32_e32 v8, vcc_lo, v8, v14, vcc_lo
	s_delay_alu instid0(VALU_DEP_4) | instskip(NEXT) | instid1(VALU_DEP_4)
	v_add_co_u32 v9, vcc_lo, v10, v9
	v_add_co_ci_u32_e32 v10, vcc_lo, 0, v11, vcc_lo
	s_delay_alu instid0(VALU_DEP_4) | instskip(NEXT) | instid1(VALU_DEP_3)
	v_xor_b32_e32 v15, v12, v14
	v_add_co_u32 v3, vcc_lo, v3, v9
	s_delay_alu instid0(VALU_DEP_3) | instskip(SKIP_1) | instid1(VALU_DEP_3)
	v_add_co_ci_u32_e32 v5, vcc_lo, v5, v10, vcc_lo
	v_xor_b32_e32 v16, v8, v14
	v_mul_hi_u32 v17, v15, v3
	s_delay_alu instid0(VALU_DEP_3) | instskip(NEXT) | instid1(VALU_DEP_3)
	v_mad_u64_u32 v[8:9], null, v15, v5, 0
	v_mad_u64_u32 v[10:11], null, v16, v3, 0
	;; [unrolled: 1-line block ×3, first 2 shown]
	s_delay_alu instid0(VALU_DEP_3) | instskip(NEXT) | instid1(VALU_DEP_4)
	v_add_co_u32 v3, vcc_lo, v17, v8
	v_add_co_ci_u32_e32 v5, vcc_lo, 0, v9, vcc_lo
	s_delay_alu instid0(VALU_DEP_2) | instskip(NEXT) | instid1(VALU_DEP_2)
	v_add_co_u32 v3, vcc_lo, v3, v10
	v_add_co_ci_u32_e32 v3, vcc_lo, v5, v11, vcc_lo
	v_add_co_ci_u32_e32 v5, vcc_lo, 0, v13, vcc_lo
	s_delay_alu instid0(VALU_DEP_2) | instskip(NEXT) | instid1(VALU_DEP_2)
	v_add_co_u32 v3, vcc_lo, v3, v12
	v_add_co_ci_u32_e32 v5, vcc_lo, 0, v5, vcc_lo
	s_delay_alu instid0(VALU_DEP_2) | instskip(SKIP_1) | instid1(VALU_DEP_3)
	v_mul_lo_u32 v10, s23, v3
	v_mad_u64_u32 v[8:9], null, s22, v3, 0
	v_mul_lo_u32 v11, s22, v5
	s_delay_alu instid0(VALU_DEP_2) | instskip(NEXT) | instid1(VALU_DEP_2)
	v_sub_co_u32 v8, vcc_lo, v15, v8
	v_add3_u32 v9, v9, v11, v10
	s_delay_alu instid0(VALU_DEP_1) | instskip(NEXT) | instid1(VALU_DEP_1)
	v_sub_nc_u32_e32 v10, v16, v9
	v_subrev_co_ci_u32_e64 v10, s0, s23, v10, vcc_lo
	v_add_co_u32 v11, s0, v3, 2
	s_delay_alu instid0(VALU_DEP_1) | instskip(SKIP_3) | instid1(VALU_DEP_3)
	v_add_co_ci_u32_e64 v12, s0, 0, v5, s0
	v_sub_co_u32 v13, s0, v8, s22
	v_sub_co_ci_u32_e32 v9, vcc_lo, v16, v9, vcc_lo
	v_subrev_co_ci_u32_e64 v10, s0, 0, v10, s0
	v_cmp_le_u32_e32 vcc_lo, s22, v13
	s_delay_alu instid0(VALU_DEP_3) | instskip(SKIP_1) | instid1(VALU_DEP_4)
	v_cmp_eq_u32_e64 s0, s23, v9
	v_cndmask_b32_e64 v13, 0, -1, vcc_lo
	v_cmp_le_u32_e32 vcc_lo, s23, v10
	v_cndmask_b32_e64 v15, 0, -1, vcc_lo
	v_cmp_le_u32_e32 vcc_lo, s22, v8
	;; [unrolled: 2-line block ×3, first 2 shown]
	v_cndmask_b32_e64 v16, 0, -1, vcc_lo
	v_cmp_eq_u32_e32 vcc_lo, s23, v10
	s_delay_alu instid0(VALU_DEP_2) | instskip(SKIP_3) | instid1(VALU_DEP_3)
	v_cndmask_b32_e64 v8, v16, v8, s0
	v_cndmask_b32_e32 v10, v15, v13, vcc_lo
	v_add_co_u32 v13, vcc_lo, v3, 1
	v_add_co_ci_u32_e32 v15, vcc_lo, 0, v5, vcc_lo
	v_cmp_ne_u32_e32 vcc_lo, 0, v10
	s_delay_alu instid0(VALU_DEP_2) | instskip(SKIP_2) | instid1(VALU_DEP_3)
	v_dual_cndmask_b32 v9, v15, v12 :: v_dual_cndmask_b32 v10, v13, v11
	v_cmp_ne_u32_e32 vcc_lo, 0, v8
	v_xor_b32_e32 v8, s20, v14
	v_cndmask_b32_e32 v3, v3, v10, vcc_lo
	s_delay_alu instid0(VALU_DEP_4) | instskip(SKIP_1) | instid1(VALU_DEP_3)
	v_cndmask_b32_e32 v5, v5, v9, vcc_lo
	v_xor_b32_e32 v10, s21, v14
	v_xor_b32_e32 v3, v3, v8
	s_delay_alu instid0(VALU_DEP_2) | instskip(NEXT) | instid1(VALU_DEP_2)
	v_xor_b32_e32 v5, v5, v10
	v_sub_co_u32 v9, vcc_lo, v3, v8
	s_delay_alu instid0(VALU_DEP_2)
	v_sub_co_ci_u32_e32 v10, vcc_lo, v5, v10, vcc_lo
.LBB24_26:                              ;   in Loop: Header=BB24_24 Depth=2
	s_and_not1_saveexec_b32 s0, s14
	s_cbranch_execz .LBB24_28
; %bb.27:                               ;   in Loop: Header=BB24_24 Depth=2
	v_cvt_f32_u32_e32 v3, s41
	s_sub_i32 s14, 0, s41
	v_mov_b32_e32 v10, v2
	s_delay_alu instid0(VALU_DEP_2) | instskip(SKIP_2) | instid1(VALU_DEP_1)
	v_rcp_iflag_f32_e32 v3, v3
	s_waitcnt_depctr 0xfff
	v_mul_f32_e32 v3, 0x4f7ffffe, v3
	v_cvt_u32_f32_e32 v3, v3
	s_delay_alu instid0(VALU_DEP_1) | instskip(NEXT) | instid1(VALU_DEP_1)
	v_mul_lo_u32 v5, s14, v3
	v_mul_hi_u32 v5, v3, v5
	s_delay_alu instid0(VALU_DEP_1) | instskip(NEXT) | instid1(VALU_DEP_1)
	v_add_nc_u32_e32 v3, v3, v5
	v_mul_hi_u32 v3, v7, v3
	s_delay_alu instid0(VALU_DEP_1) | instskip(NEXT) | instid1(VALU_DEP_1)
	v_mul_lo_u32 v5, v3, s41
	v_sub_nc_u32_e32 v5, v7, v5
	s_delay_alu instid0(VALU_DEP_1) | instskip(SKIP_1) | instid1(VALU_DEP_2)
	v_subrev_nc_u32_e32 v9, s41, v5
	v_cmp_le_u32_e32 vcc_lo, s41, v5
	v_dual_cndmask_b32 v5, v5, v9 :: v_dual_add_nc_u32 v8, 1, v3
	s_delay_alu instid0(VALU_DEP_1) | instskip(NEXT) | instid1(VALU_DEP_2)
	v_cndmask_b32_e32 v3, v3, v8, vcc_lo
	v_cmp_le_u32_e32 vcc_lo, s41, v5
	s_delay_alu instid0(VALU_DEP_2) | instskip(NEXT) | instid1(VALU_DEP_1)
	v_add_nc_u32_e32 v8, 1, v3
	v_cndmask_b32_e32 v9, v3, v8, vcc_lo
.LBB24_28:                              ;   in Loop: Header=BB24_24 Depth=2
	s_or_b32 exec_lo, exec_lo, s0
	s_add_u32 s20, s30, s18
	s_addc_u32 s21, s1, s19
	s_add_i32 s14, s16, 6
                                        ; implicit-def: $vgpr11_vgpr12
	s_delay_alu instid0(SALU_CYCLE_1)
	s_lshl_b64 s[18:19], s[14:15], 2
	s_mov_b32 s14, exec_lo
	s_add_u32 s22, s26, s18
	s_addc_u32 s23, s27, s19
	s_clause 0x1
	s_load_b32 s43, s[22:23], 0x0
	s_load_b32 s42, s[20:21], 0x0
	s_waitcnt lgkmcnt(0)
	s_ashr_i32 s0, s43, 31
	s_delay_alu instid0(SALU_CYCLE_1) | instskip(NEXT) | instid1(VALU_DEP_1)
	v_or_b32_e32 v3, s0, v10
	v_cmpx_ne_u64_e32 0, v[2:3]
	s_xor_b32 s14, exec_lo, s14
	s_cbranch_execz .LBB24_30
; %bb.29:                               ;   in Loop: Header=BB24_24 Depth=2
	s_add_u32 s22, s43, s0
	s_mov_b32 s20, s0
	s_mov_b32 s21, s0
	s_addc_u32 s23, s0, s0
	s_delay_alu instid0(SALU_CYCLE_1) | instskip(NEXT) | instid1(SALU_CYCLE_1)
	s_xor_b64 s[22:23], s[22:23], s[20:21]
	v_cvt_f32_u32_e32 v3, s22
	v_cvt_f32_u32_e32 v5, s23
	s_sub_u32 s0, 0, s22
	s_subb_u32 s17, 0, s23
	s_delay_alu instid0(VALU_DEP_1) | instskip(NEXT) | instid1(VALU_DEP_1)
	v_fmac_f32_e32 v3, 0x4f800000, v5
	v_rcp_f32_e32 v3, v3
	s_waitcnt_depctr 0xfff
	v_mul_f32_e32 v3, 0x5f7ffffc, v3
	s_delay_alu instid0(VALU_DEP_1) | instskip(NEXT) | instid1(VALU_DEP_1)
	v_mul_f32_e32 v5, 0x2f800000, v3
	v_trunc_f32_e32 v5, v5
	s_delay_alu instid0(VALU_DEP_1) | instskip(SKIP_1) | instid1(VALU_DEP_2)
	v_fmac_f32_e32 v3, 0xcf800000, v5
	v_cvt_u32_f32_e32 v5, v5
	v_cvt_u32_f32_e32 v3, v3
	s_delay_alu instid0(VALU_DEP_2) | instskip(NEXT) | instid1(VALU_DEP_2)
	v_mul_lo_u32 v8, s0, v5
	v_mul_hi_u32 v11, s0, v3
	v_mul_lo_u32 v12, s17, v3
	s_delay_alu instid0(VALU_DEP_2) | instskip(SKIP_1) | instid1(VALU_DEP_2)
	v_add_nc_u32_e32 v8, v11, v8
	v_mul_lo_u32 v11, s0, v3
	v_add_nc_u32_e32 v8, v8, v12
	s_delay_alu instid0(VALU_DEP_2) | instskip(NEXT) | instid1(VALU_DEP_2)
	v_mul_hi_u32 v12, v3, v11
	v_mul_lo_u32 v13, v3, v8
	v_mul_hi_u32 v14, v3, v8
	v_mul_hi_u32 v15, v5, v11
	v_mul_lo_u32 v11, v5, v11
	v_mul_hi_u32 v16, v5, v8
	v_mul_lo_u32 v8, v5, v8
	v_add_co_u32 v12, vcc_lo, v12, v13
	v_add_co_ci_u32_e32 v13, vcc_lo, 0, v14, vcc_lo
	s_delay_alu instid0(VALU_DEP_2) | instskip(NEXT) | instid1(VALU_DEP_2)
	v_add_co_u32 v11, vcc_lo, v12, v11
	v_add_co_ci_u32_e32 v11, vcc_lo, v13, v15, vcc_lo
	v_add_co_ci_u32_e32 v12, vcc_lo, 0, v16, vcc_lo
	v_ashrrev_i32_e32 v16, 31, v10
	s_delay_alu instid0(VALU_DEP_3) | instskip(NEXT) | instid1(VALU_DEP_3)
	v_add_co_u32 v8, vcc_lo, v11, v8
	v_add_co_ci_u32_e32 v11, vcc_lo, 0, v12, vcc_lo
	s_delay_alu instid0(VALU_DEP_2) | instskip(NEXT) | instid1(VALU_DEP_2)
	v_add_co_u32 v3, vcc_lo, v3, v8
	v_add_co_ci_u32_e32 v5, vcc_lo, v5, v11, vcc_lo
	s_delay_alu instid0(VALU_DEP_2) | instskip(SKIP_1) | instid1(VALU_DEP_3)
	v_mul_hi_u32 v8, s0, v3
	v_mul_lo_u32 v12, s17, v3
	v_mul_lo_u32 v11, s0, v5
	s_delay_alu instid0(VALU_DEP_1) | instskip(SKIP_1) | instid1(VALU_DEP_2)
	v_add_nc_u32_e32 v8, v8, v11
	v_mul_lo_u32 v11, s0, v3
	v_add_nc_u32_e32 v8, v8, v12
	s_delay_alu instid0(VALU_DEP_2) | instskip(NEXT) | instid1(VALU_DEP_2)
	v_mul_hi_u32 v12, v3, v11
	v_mul_lo_u32 v13, v3, v8
	v_mul_hi_u32 v14, v3, v8
	v_mul_hi_u32 v15, v5, v11
	v_mul_lo_u32 v11, v5, v11
	v_mul_hi_u32 v17, v5, v8
	v_mul_lo_u32 v8, v5, v8
	v_add_co_u32 v12, vcc_lo, v12, v13
	v_add_co_ci_u32_e32 v13, vcc_lo, 0, v14, vcc_lo
	s_delay_alu instid0(VALU_DEP_2) | instskip(NEXT) | instid1(VALU_DEP_2)
	v_add_co_u32 v11, vcc_lo, v12, v11
	v_add_co_ci_u32_e32 v11, vcc_lo, v13, v15, vcc_lo
	v_add_co_ci_u32_e32 v12, vcc_lo, 0, v17, vcc_lo
	v_add_co_u32 v13, vcc_lo, v9, v16
	v_add_co_ci_u32_e32 v10, vcc_lo, v10, v16, vcc_lo
	s_delay_alu instid0(VALU_DEP_4) | instskip(NEXT) | instid1(VALU_DEP_4)
	v_add_co_u32 v8, vcc_lo, v11, v8
	v_add_co_ci_u32_e32 v11, vcc_lo, 0, v12, vcc_lo
	s_delay_alu instid0(VALU_DEP_4) | instskip(NEXT) | instid1(VALU_DEP_3)
	v_xor_b32_e32 v17, v13, v16
	v_add_co_u32 v3, vcc_lo, v3, v8
	s_delay_alu instid0(VALU_DEP_3) | instskip(SKIP_1) | instid1(VALU_DEP_3)
	v_add_co_ci_u32_e32 v5, vcc_lo, v5, v11, vcc_lo
	v_xor_b32_e32 v8, v10, v16
	v_mul_hi_u32 v18, v17, v3
	s_delay_alu instid0(VALU_DEP_3) | instskip(NEXT) | instid1(VALU_DEP_3)
	v_mad_u64_u32 v[10:11], null, v17, v5, 0
	v_mad_u64_u32 v[12:13], null, v8, v3, 0
	;; [unrolled: 1-line block ×3, first 2 shown]
	s_delay_alu instid0(VALU_DEP_3) | instskip(NEXT) | instid1(VALU_DEP_4)
	v_add_co_u32 v3, vcc_lo, v18, v10
	v_add_co_ci_u32_e32 v5, vcc_lo, 0, v11, vcc_lo
	s_delay_alu instid0(VALU_DEP_2) | instskip(NEXT) | instid1(VALU_DEP_2)
	v_add_co_u32 v3, vcc_lo, v3, v12
	v_add_co_ci_u32_e32 v3, vcc_lo, v5, v13, vcc_lo
	v_add_co_ci_u32_e32 v5, vcc_lo, 0, v15, vcc_lo
	s_delay_alu instid0(VALU_DEP_2) | instskip(NEXT) | instid1(VALU_DEP_2)
	v_add_co_u32 v3, vcc_lo, v3, v14
	v_add_co_ci_u32_e32 v5, vcc_lo, 0, v5, vcc_lo
	s_delay_alu instid0(VALU_DEP_2) | instskip(SKIP_1) | instid1(VALU_DEP_3)
	v_mul_lo_u32 v12, s23, v3
	v_mad_u64_u32 v[10:11], null, s22, v3, 0
	v_mul_lo_u32 v13, s22, v5
	s_delay_alu instid0(VALU_DEP_2) | instskip(NEXT) | instid1(VALU_DEP_2)
	v_sub_co_u32 v10, vcc_lo, v17, v10
	v_add3_u32 v11, v11, v13, v12
	s_delay_alu instid0(VALU_DEP_1) | instskip(NEXT) | instid1(VALU_DEP_1)
	v_sub_nc_u32_e32 v12, v8, v11
	v_subrev_co_ci_u32_e64 v12, s0, s23, v12, vcc_lo
	v_add_co_u32 v13, s0, v3, 2
	s_delay_alu instid0(VALU_DEP_1) | instskip(SKIP_3) | instid1(VALU_DEP_3)
	v_add_co_ci_u32_e64 v14, s0, 0, v5, s0
	v_sub_co_u32 v15, s0, v10, s22
	v_sub_co_ci_u32_e32 v8, vcc_lo, v8, v11, vcc_lo
	v_subrev_co_ci_u32_e64 v12, s0, 0, v12, s0
	v_cmp_le_u32_e32 vcc_lo, s22, v15
	s_delay_alu instid0(VALU_DEP_3) | instskip(SKIP_1) | instid1(VALU_DEP_4)
	v_cmp_eq_u32_e64 s0, s23, v8
	v_cndmask_b32_e64 v11, 0, -1, vcc_lo
	v_cmp_le_u32_e32 vcc_lo, s23, v12
	v_cndmask_b32_e64 v15, 0, -1, vcc_lo
	v_cmp_le_u32_e32 vcc_lo, s22, v10
	;; [unrolled: 2-line block ×3, first 2 shown]
	v_cndmask_b32_e64 v17, 0, -1, vcc_lo
	v_cmp_eq_u32_e32 vcc_lo, s23, v12
	s_delay_alu instid0(VALU_DEP_2) | instskip(SKIP_3) | instid1(VALU_DEP_3)
	v_cndmask_b32_e64 v8, v17, v10, s0
	v_cndmask_b32_e32 v11, v15, v11, vcc_lo
	v_add_co_u32 v12, vcc_lo, v3, 1
	v_add_co_ci_u32_e32 v15, vcc_lo, 0, v5, vcc_lo
	v_cmp_ne_u32_e32 vcc_lo, 0, v11
	s_delay_alu instid0(VALU_DEP_2) | instskip(SKIP_2) | instid1(VALU_DEP_3)
	v_dual_cndmask_b32 v10, v15, v14 :: v_dual_cndmask_b32 v11, v12, v13
	v_cmp_ne_u32_e32 vcc_lo, 0, v8
	v_xor_b32_e32 v8, s20, v16
	v_cndmask_b32_e32 v3, v3, v11, vcc_lo
	s_delay_alu instid0(VALU_DEP_4) | instskip(SKIP_1) | instid1(VALU_DEP_3)
	v_cndmask_b32_e32 v5, v5, v10, vcc_lo
	v_xor_b32_e32 v10, s21, v16
	v_xor_b32_e32 v3, v3, v8
	s_delay_alu instid0(VALU_DEP_2) | instskip(NEXT) | instid1(VALU_DEP_2)
	v_xor_b32_e32 v5, v5, v10
	v_sub_co_u32 v11, vcc_lo, v3, v8
	s_delay_alu instid0(VALU_DEP_2)
	v_sub_co_ci_u32_e32 v12, vcc_lo, v5, v10, vcc_lo
.LBB24_30:                              ;   in Loop: Header=BB24_24 Depth=2
	s_and_not1_saveexec_b32 s0, s14
	s_cbranch_execz .LBB24_32
; %bb.31:                               ;   in Loop: Header=BB24_24 Depth=2
	v_cvt_f32_u32_e32 v3, s43
	s_sub_i32 s14, 0, s43
	v_mov_b32_e32 v12, v2
	s_delay_alu instid0(VALU_DEP_2) | instskip(SKIP_2) | instid1(VALU_DEP_1)
	v_rcp_iflag_f32_e32 v3, v3
	s_waitcnt_depctr 0xfff
	v_mul_f32_e32 v3, 0x4f7ffffe, v3
	v_cvt_u32_f32_e32 v3, v3
	s_delay_alu instid0(VALU_DEP_1) | instskip(NEXT) | instid1(VALU_DEP_1)
	v_mul_lo_u32 v5, s14, v3
	v_mul_hi_u32 v5, v3, v5
	s_delay_alu instid0(VALU_DEP_1) | instskip(NEXT) | instid1(VALU_DEP_1)
	v_add_nc_u32_e32 v3, v3, v5
	v_mul_hi_u32 v3, v9, v3
	s_delay_alu instid0(VALU_DEP_1) | instskip(NEXT) | instid1(VALU_DEP_1)
	v_mul_lo_u32 v5, v3, s43
	v_sub_nc_u32_e32 v5, v9, v5
	s_delay_alu instid0(VALU_DEP_1) | instskip(SKIP_1) | instid1(VALU_DEP_2)
	v_subrev_nc_u32_e32 v10, s43, v5
	v_cmp_le_u32_e32 vcc_lo, s43, v5
	v_dual_cndmask_b32 v5, v5, v10 :: v_dual_add_nc_u32 v8, 1, v3
	s_delay_alu instid0(VALU_DEP_1) | instskip(NEXT) | instid1(VALU_DEP_2)
	v_cndmask_b32_e32 v3, v3, v8, vcc_lo
	v_cmp_le_u32_e32 vcc_lo, s43, v5
	s_delay_alu instid0(VALU_DEP_2) | instskip(NEXT) | instid1(VALU_DEP_1)
	v_add_nc_u32_e32 v8, 1, v3
	v_cndmask_b32_e32 v11, v3, v8, vcc_lo
.LBB24_32:                              ;   in Loop: Header=BB24_24 Depth=2
	s_or_b32 exec_lo, exec_lo, s0
	s_add_u32 s20, s30, s18
	s_addc_u32 s21, s1, s19
	s_add_i32 s14, s16, 5
                                        ; implicit-def: $vgpr13_vgpr14
	s_delay_alu instid0(SALU_CYCLE_1)
	s_lshl_b64 s[18:19], s[14:15], 2
	s_mov_b32 s14, exec_lo
	s_add_u32 s22, s26, s18
	s_addc_u32 s23, s27, s19
	s_clause 0x1
	s_load_b32 s45, s[22:23], 0x0
	s_load_b32 s44, s[20:21], 0x0
	s_waitcnt lgkmcnt(0)
	s_ashr_i32 s0, s45, 31
	s_delay_alu instid0(SALU_CYCLE_1) | instskip(NEXT) | instid1(VALU_DEP_1)
	v_or_b32_e32 v3, s0, v12
	v_cmpx_ne_u64_e32 0, v[2:3]
	s_xor_b32 s14, exec_lo, s14
	s_cbranch_execz .LBB24_34
; %bb.33:                               ;   in Loop: Header=BB24_24 Depth=2
	s_add_u32 s22, s45, s0
	s_mov_b32 s20, s0
	s_mov_b32 s21, s0
	s_addc_u32 s23, s0, s0
	v_ashrrev_i32_e32 v18, 31, v12
	s_xor_b64 s[22:23], s[22:23], s[20:21]
	s_delay_alu instid0(SALU_CYCLE_1) | instskip(SKIP_3) | instid1(VALU_DEP_1)
	v_cvt_f32_u32_e32 v3, s22
	v_cvt_f32_u32_e32 v5, s23
	s_sub_u32 s0, 0, s22
	s_subb_u32 s17, 0, s23
	v_fmac_f32_e32 v3, 0x4f800000, v5
	s_delay_alu instid0(VALU_DEP_1) | instskip(SKIP_2) | instid1(VALU_DEP_1)
	v_rcp_f32_e32 v3, v3
	s_waitcnt_depctr 0xfff
	v_mul_f32_e32 v3, 0x5f7ffffc, v3
	v_mul_f32_e32 v5, 0x2f800000, v3
	s_delay_alu instid0(VALU_DEP_1) | instskip(NEXT) | instid1(VALU_DEP_1)
	v_trunc_f32_e32 v5, v5
	v_fmac_f32_e32 v3, 0xcf800000, v5
	v_cvt_u32_f32_e32 v5, v5
	s_delay_alu instid0(VALU_DEP_2) | instskip(NEXT) | instid1(VALU_DEP_2)
	v_cvt_u32_f32_e32 v3, v3
	v_mul_lo_u32 v8, s0, v5
	s_delay_alu instid0(VALU_DEP_2) | instskip(SKIP_1) | instid1(VALU_DEP_2)
	v_mul_hi_u32 v10, s0, v3
	v_mul_lo_u32 v13, s17, v3
	v_add_nc_u32_e32 v8, v10, v8
	v_mul_lo_u32 v10, s0, v3
	s_delay_alu instid0(VALU_DEP_2) | instskip(NEXT) | instid1(VALU_DEP_2)
	v_add_nc_u32_e32 v8, v8, v13
	v_mul_hi_u32 v13, v3, v10
	s_delay_alu instid0(VALU_DEP_2)
	v_mul_lo_u32 v14, v3, v8
	v_mul_hi_u32 v15, v3, v8
	v_mul_hi_u32 v16, v5, v10
	v_mul_lo_u32 v10, v5, v10
	v_mul_hi_u32 v17, v5, v8
	v_mul_lo_u32 v8, v5, v8
	v_add_co_u32 v13, vcc_lo, v13, v14
	v_add_co_ci_u32_e32 v14, vcc_lo, 0, v15, vcc_lo
	s_delay_alu instid0(VALU_DEP_2) | instskip(NEXT) | instid1(VALU_DEP_2)
	v_add_co_u32 v10, vcc_lo, v13, v10
	v_add_co_ci_u32_e32 v10, vcc_lo, v14, v16, vcc_lo
	v_add_co_ci_u32_e32 v13, vcc_lo, 0, v17, vcc_lo
	s_delay_alu instid0(VALU_DEP_2) | instskip(NEXT) | instid1(VALU_DEP_2)
	v_add_co_u32 v8, vcc_lo, v10, v8
	v_add_co_ci_u32_e32 v10, vcc_lo, 0, v13, vcc_lo
	s_delay_alu instid0(VALU_DEP_2) | instskip(NEXT) | instid1(VALU_DEP_2)
	v_add_co_u32 v3, vcc_lo, v3, v8
	v_add_co_ci_u32_e32 v5, vcc_lo, v5, v10, vcc_lo
	s_delay_alu instid0(VALU_DEP_2) | instskip(SKIP_1) | instid1(VALU_DEP_3)
	v_mul_hi_u32 v8, s0, v3
	v_mul_lo_u32 v13, s17, v3
	v_mul_lo_u32 v10, s0, v5
	s_delay_alu instid0(VALU_DEP_1) | instskip(SKIP_1) | instid1(VALU_DEP_2)
	v_add_nc_u32_e32 v8, v8, v10
	v_mul_lo_u32 v10, s0, v3
	v_add_nc_u32_e32 v8, v8, v13
	s_delay_alu instid0(VALU_DEP_2) | instskip(NEXT) | instid1(VALU_DEP_2)
	v_mul_hi_u32 v13, v3, v10
	v_mul_lo_u32 v14, v3, v8
	v_mul_hi_u32 v15, v3, v8
	v_mul_hi_u32 v16, v5, v10
	v_mul_lo_u32 v10, v5, v10
	v_mul_hi_u32 v17, v5, v8
	v_mul_lo_u32 v8, v5, v8
	v_add_co_u32 v13, vcc_lo, v13, v14
	v_add_co_ci_u32_e32 v14, vcc_lo, 0, v15, vcc_lo
	s_delay_alu instid0(VALU_DEP_2) | instskip(NEXT) | instid1(VALU_DEP_2)
	v_add_co_u32 v10, vcc_lo, v13, v10
	v_add_co_ci_u32_e32 v10, vcc_lo, v14, v16, vcc_lo
	v_add_co_ci_u32_e32 v13, vcc_lo, 0, v17, vcc_lo
	v_add_co_u32 v14, vcc_lo, v11, v18
	v_add_co_ci_u32_e32 v12, vcc_lo, v12, v18, vcc_lo
	s_delay_alu instid0(VALU_DEP_4) | instskip(NEXT) | instid1(VALU_DEP_4)
	v_add_co_u32 v8, vcc_lo, v10, v8
	v_add_co_ci_u32_e32 v10, vcc_lo, 0, v13, vcc_lo
	s_delay_alu instid0(VALU_DEP_4) | instskip(NEXT) | instid1(VALU_DEP_3)
	v_xor_b32_e32 v19, v14, v18
	v_add_co_u32 v3, vcc_lo, v3, v8
	s_delay_alu instid0(VALU_DEP_3) | instskip(SKIP_1) | instid1(VALU_DEP_3)
	v_add_co_ci_u32_e32 v5, vcc_lo, v5, v10, vcc_lo
	v_xor_b32_e32 v8, v12, v18
	v_mul_hi_u32 v10, v19, v3
	s_delay_alu instid0(VALU_DEP_3) | instskip(NEXT) | instid1(VALU_DEP_3)
	v_mad_u64_u32 v[12:13], null, v19, v5, 0
	v_mad_u64_u32 v[14:15], null, v8, v3, 0
	;; [unrolled: 1-line block ×3, first 2 shown]
	s_delay_alu instid0(VALU_DEP_3) | instskip(NEXT) | instid1(VALU_DEP_4)
	v_add_co_u32 v3, vcc_lo, v10, v12
	v_add_co_ci_u32_e32 v5, vcc_lo, 0, v13, vcc_lo
	s_delay_alu instid0(VALU_DEP_2) | instskip(NEXT) | instid1(VALU_DEP_2)
	v_add_co_u32 v3, vcc_lo, v3, v14
	v_add_co_ci_u32_e32 v3, vcc_lo, v5, v15, vcc_lo
	v_add_co_ci_u32_e32 v5, vcc_lo, 0, v17, vcc_lo
	s_delay_alu instid0(VALU_DEP_2) | instskip(NEXT) | instid1(VALU_DEP_2)
	v_add_co_u32 v3, vcc_lo, v3, v16
	v_add_co_ci_u32_e32 v5, vcc_lo, 0, v5, vcc_lo
	s_delay_alu instid0(VALU_DEP_2) | instskip(SKIP_1) | instid1(VALU_DEP_3)
	v_mul_lo_u32 v10, s23, v3
	v_mad_u64_u32 v[12:13], null, s22, v3, 0
	v_mul_lo_u32 v14, s22, v5
	s_delay_alu instid0(VALU_DEP_2) | instskip(NEXT) | instid1(VALU_DEP_2)
	v_sub_co_u32 v12, vcc_lo, v19, v12
	v_add3_u32 v10, v13, v14, v10
	s_delay_alu instid0(VALU_DEP_1) | instskip(NEXT) | instid1(VALU_DEP_1)
	v_sub_nc_u32_e32 v13, v8, v10
	v_subrev_co_ci_u32_e64 v13, s0, s23, v13, vcc_lo
	v_add_co_u32 v14, s0, v3, 2
	s_delay_alu instid0(VALU_DEP_1) | instskip(SKIP_3) | instid1(VALU_DEP_3)
	v_add_co_ci_u32_e64 v15, s0, 0, v5, s0
	v_sub_co_u32 v16, s0, v12, s22
	v_sub_co_ci_u32_e32 v8, vcc_lo, v8, v10, vcc_lo
	v_subrev_co_ci_u32_e64 v13, s0, 0, v13, s0
	v_cmp_le_u32_e32 vcc_lo, s22, v16
	s_delay_alu instid0(VALU_DEP_3) | instskip(SKIP_1) | instid1(VALU_DEP_4)
	v_cmp_eq_u32_e64 s0, s23, v8
	v_cndmask_b32_e64 v10, 0, -1, vcc_lo
	v_cmp_le_u32_e32 vcc_lo, s23, v13
	v_cndmask_b32_e64 v16, 0, -1, vcc_lo
	v_cmp_le_u32_e32 vcc_lo, s22, v12
	;; [unrolled: 2-line block ×3, first 2 shown]
	v_cndmask_b32_e64 v17, 0, -1, vcc_lo
	v_cmp_eq_u32_e32 vcc_lo, s23, v13
	s_delay_alu instid0(VALU_DEP_2) | instskip(SKIP_3) | instid1(VALU_DEP_3)
	v_cndmask_b32_e64 v8, v17, v12, s0
	v_cndmask_b32_e32 v10, v16, v10, vcc_lo
	v_add_co_u32 v13, vcc_lo, v3, 1
	v_add_co_ci_u32_e32 v16, vcc_lo, 0, v5, vcc_lo
	v_cmp_ne_u32_e32 vcc_lo, 0, v10
	s_delay_alu instid0(VALU_DEP_3) | instskip(NEXT) | instid1(VALU_DEP_3)
	v_cndmask_b32_e32 v12, v13, v14, vcc_lo
	v_cndmask_b32_e32 v10, v16, v15, vcc_lo
	v_cmp_ne_u32_e32 vcc_lo, 0, v8
	v_xor_b32_e32 v8, s20, v18
	s_delay_alu instid0(VALU_DEP_4) | instskip(NEXT) | instid1(VALU_DEP_4)
	v_cndmask_b32_e32 v3, v3, v12, vcc_lo
	v_cndmask_b32_e32 v5, v5, v10, vcc_lo
	v_xor_b32_e32 v10, s21, v18
	s_delay_alu instid0(VALU_DEP_3) | instskip(NEXT) | instid1(VALU_DEP_2)
	v_xor_b32_e32 v3, v3, v8
	v_xor_b32_e32 v5, v5, v10
	s_delay_alu instid0(VALU_DEP_2) | instskip(NEXT) | instid1(VALU_DEP_2)
	v_sub_co_u32 v13, vcc_lo, v3, v8
	v_sub_co_ci_u32_e32 v14, vcc_lo, v5, v10, vcc_lo
.LBB24_34:                              ;   in Loop: Header=BB24_24 Depth=2
	s_and_not1_saveexec_b32 s0, s14
	s_cbranch_execz .LBB24_36
; %bb.35:                               ;   in Loop: Header=BB24_24 Depth=2
	v_cvt_f32_u32_e32 v3, s45
	s_sub_i32 s14, 0, s45
	v_mov_b32_e32 v14, v2
	s_delay_alu instid0(VALU_DEP_2) | instskip(SKIP_2) | instid1(VALU_DEP_1)
	v_rcp_iflag_f32_e32 v3, v3
	s_waitcnt_depctr 0xfff
	v_mul_f32_e32 v3, 0x4f7ffffe, v3
	v_cvt_u32_f32_e32 v3, v3
	s_delay_alu instid0(VALU_DEP_1) | instskip(NEXT) | instid1(VALU_DEP_1)
	v_mul_lo_u32 v5, s14, v3
	v_mul_hi_u32 v5, v3, v5
	s_delay_alu instid0(VALU_DEP_1) | instskip(NEXT) | instid1(VALU_DEP_1)
	v_add_nc_u32_e32 v3, v3, v5
	v_mul_hi_u32 v3, v11, v3
	s_delay_alu instid0(VALU_DEP_1) | instskip(NEXT) | instid1(VALU_DEP_1)
	v_mul_lo_u32 v5, v3, s45
	v_sub_nc_u32_e32 v5, v11, v5
	s_delay_alu instid0(VALU_DEP_1) | instskip(SKIP_1) | instid1(VALU_DEP_2)
	v_subrev_nc_u32_e32 v10, s45, v5
	v_cmp_le_u32_e32 vcc_lo, s45, v5
	v_dual_cndmask_b32 v5, v5, v10 :: v_dual_add_nc_u32 v8, 1, v3
	s_delay_alu instid0(VALU_DEP_1) | instskip(NEXT) | instid1(VALU_DEP_2)
	v_cndmask_b32_e32 v3, v3, v8, vcc_lo
	v_cmp_le_u32_e32 vcc_lo, s45, v5
	s_delay_alu instid0(VALU_DEP_2) | instskip(NEXT) | instid1(VALU_DEP_1)
	v_add_nc_u32_e32 v8, 1, v3
	v_cndmask_b32_e32 v13, v3, v8, vcc_lo
.LBB24_36:                              ;   in Loop: Header=BB24_24 Depth=2
	s_or_b32 exec_lo, exec_lo, s0
	s_add_u32 s20, s30, s18
	s_addc_u32 s21, s1, s19
	s_add_i32 s14, s16, 4
                                        ; implicit-def: $vgpr15_vgpr16
	s_delay_alu instid0(SALU_CYCLE_1)
	s_lshl_b64 s[18:19], s[14:15], 2
	s_mov_b32 s14, exec_lo
	s_add_u32 s22, s26, s18
	s_addc_u32 s23, s27, s19
	s_clause 0x1
	s_load_b32 s47, s[22:23], 0x0
	s_load_b32 s46, s[20:21], 0x0
	s_waitcnt lgkmcnt(0)
	s_ashr_i32 s0, s47, 31
	s_delay_alu instid0(SALU_CYCLE_1) | instskip(NEXT) | instid1(VALU_DEP_1)
	v_or_b32_e32 v3, s0, v14
	v_cmpx_ne_u64_e32 0, v[2:3]
	s_xor_b32 s14, exec_lo, s14
	s_cbranch_execz .LBB24_38
; %bb.37:                               ;   in Loop: Header=BB24_24 Depth=2
	s_add_u32 s22, s47, s0
	s_mov_b32 s20, s0
	s_mov_b32 s21, s0
	s_addc_u32 s23, s0, s0
	v_ashrrev_i32_e32 v20, 31, v14
	s_xor_b64 s[22:23], s[22:23], s[20:21]
	s_delay_alu instid0(SALU_CYCLE_1) | instskip(SKIP_3) | instid1(VALU_DEP_1)
	v_cvt_f32_u32_e32 v3, s22
	v_cvt_f32_u32_e32 v5, s23
	s_sub_u32 s0, 0, s22
	s_subb_u32 s17, 0, s23
	v_fmac_f32_e32 v3, 0x4f800000, v5
	s_delay_alu instid0(VALU_DEP_1) | instskip(SKIP_2) | instid1(VALU_DEP_1)
	v_rcp_f32_e32 v3, v3
	s_waitcnt_depctr 0xfff
	v_mul_f32_e32 v3, 0x5f7ffffc, v3
	v_mul_f32_e32 v5, 0x2f800000, v3
	s_delay_alu instid0(VALU_DEP_1) | instskip(NEXT) | instid1(VALU_DEP_1)
	v_trunc_f32_e32 v5, v5
	v_fmac_f32_e32 v3, 0xcf800000, v5
	v_cvt_u32_f32_e32 v5, v5
	s_delay_alu instid0(VALU_DEP_2) | instskip(NEXT) | instid1(VALU_DEP_2)
	v_cvt_u32_f32_e32 v3, v3
	v_mul_lo_u32 v8, s0, v5
	s_delay_alu instid0(VALU_DEP_2) | instskip(SKIP_1) | instid1(VALU_DEP_2)
	v_mul_hi_u32 v10, s0, v3
	v_mul_lo_u32 v12, s17, v3
	v_add_nc_u32_e32 v8, v10, v8
	v_mul_lo_u32 v10, s0, v3
	s_delay_alu instid0(VALU_DEP_2) | instskip(NEXT) | instid1(VALU_DEP_2)
	v_add_nc_u32_e32 v8, v8, v12
	v_mul_hi_u32 v12, v3, v10
	s_delay_alu instid0(VALU_DEP_2)
	v_mul_lo_u32 v15, v3, v8
	v_mul_hi_u32 v16, v3, v8
	v_mul_hi_u32 v17, v5, v10
	v_mul_lo_u32 v10, v5, v10
	v_mul_hi_u32 v18, v5, v8
	v_mul_lo_u32 v8, v5, v8
	v_add_co_u32 v12, vcc_lo, v12, v15
	v_add_co_ci_u32_e32 v15, vcc_lo, 0, v16, vcc_lo
	s_delay_alu instid0(VALU_DEP_2) | instskip(NEXT) | instid1(VALU_DEP_2)
	v_add_co_u32 v10, vcc_lo, v12, v10
	v_add_co_ci_u32_e32 v10, vcc_lo, v15, v17, vcc_lo
	v_add_co_ci_u32_e32 v12, vcc_lo, 0, v18, vcc_lo
	s_delay_alu instid0(VALU_DEP_2) | instskip(NEXT) | instid1(VALU_DEP_2)
	v_add_co_u32 v8, vcc_lo, v10, v8
	v_add_co_ci_u32_e32 v10, vcc_lo, 0, v12, vcc_lo
	s_delay_alu instid0(VALU_DEP_2) | instskip(NEXT) | instid1(VALU_DEP_2)
	v_add_co_u32 v3, vcc_lo, v3, v8
	v_add_co_ci_u32_e32 v5, vcc_lo, v5, v10, vcc_lo
	s_delay_alu instid0(VALU_DEP_2) | instskip(SKIP_1) | instid1(VALU_DEP_3)
	v_mul_hi_u32 v8, s0, v3
	v_mul_lo_u32 v12, s17, v3
	v_mul_lo_u32 v10, s0, v5
	s_delay_alu instid0(VALU_DEP_1) | instskip(SKIP_1) | instid1(VALU_DEP_2)
	v_add_nc_u32_e32 v8, v8, v10
	v_mul_lo_u32 v10, s0, v3
	v_add_nc_u32_e32 v8, v8, v12
	s_delay_alu instid0(VALU_DEP_2) | instskip(NEXT) | instid1(VALU_DEP_2)
	v_mul_hi_u32 v12, v3, v10
	v_mul_lo_u32 v15, v3, v8
	v_mul_hi_u32 v16, v3, v8
	v_mul_hi_u32 v17, v5, v10
	v_mul_lo_u32 v10, v5, v10
	v_mul_hi_u32 v18, v5, v8
	v_mul_lo_u32 v8, v5, v8
	v_add_co_u32 v12, vcc_lo, v12, v15
	v_add_co_ci_u32_e32 v15, vcc_lo, 0, v16, vcc_lo
	s_delay_alu instid0(VALU_DEP_2) | instskip(NEXT) | instid1(VALU_DEP_2)
	v_add_co_u32 v10, vcc_lo, v12, v10
	v_add_co_ci_u32_e32 v10, vcc_lo, v15, v17, vcc_lo
	v_add_co_ci_u32_e32 v12, vcc_lo, 0, v18, vcc_lo
	v_add_co_u32 v15, vcc_lo, v13, v20
	v_add_co_ci_u32_e32 v14, vcc_lo, v14, v20, vcc_lo
	s_delay_alu instid0(VALU_DEP_4) | instskip(NEXT) | instid1(VALU_DEP_4)
	v_add_co_u32 v8, vcc_lo, v10, v8
	v_add_co_ci_u32_e32 v10, vcc_lo, 0, v12, vcc_lo
	s_delay_alu instid0(VALU_DEP_4) | instskip(NEXT) | instid1(VALU_DEP_3)
	v_xor_b32_e32 v12, v15, v20
	v_add_co_u32 v3, vcc_lo, v3, v8
	s_delay_alu instid0(VALU_DEP_3) | instskip(SKIP_1) | instid1(VALU_DEP_3)
	v_add_co_ci_u32_e32 v5, vcc_lo, v5, v10, vcc_lo
	v_xor_b32_e32 v8, v14, v20
	v_mul_hi_u32 v10, v12, v3
	s_delay_alu instid0(VALU_DEP_3) | instskip(NEXT) | instid1(VALU_DEP_3)
	v_mad_u64_u32 v[14:15], null, v12, v5, 0
	v_mad_u64_u32 v[16:17], null, v8, v3, 0
	;; [unrolled: 1-line block ×3, first 2 shown]
	s_delay_alu instid0(VALU_DEP_3) | instskip(NEXT) | instid1(VALU_DEP_4)
	v_add_co_u32 v3, vcc_lo, v10, v14
	v_add_co_ci_u32_e32 v5, vcc_lo, 0, v15, vcc_lo
	s_delay_alu instid0(VALU_DEP_2) | instskip(NEXT) | instid1(VALU_DEP_2)
	v_add_co_u32 v3, vcc_lo, v3, v16
	v_add_co_ci_u32_e32 v3, vcc_lo, v5, v17, vcc_lo
	v_add_co_ci_u32_e32 v5, vcc_lo, 0, v19, vcc_lo
	s_delay_alu instid0(VALU_DEP_2) | instskip(NEXT) | instid1(VALU_DEP_2)
	v_add_co_u32 v3, vcc_lo, v3, v18
	v_add_co_ci_u32_e32 v5, vcc_lo, 0, v5, vcc_lo
	s_delay_alu instid0(VALU_DEP_2) | instskip(SKIP_1) | instid1(VALU_DEP_3)
	v_mul_lo_u32 v10, s23, v3
	v_mad_u64_u32 v[14:15], null, s22, v3, 0
	v_mul_lo_u32 v16, s22, v5
	s_delay_alu instid0(VALU_DEP_2) | instskip(NEXT) | instid1(VALU_DEP_2)
	v_sub_co_u32 v12, vcc_lo, v12, v14
	v_add3_u32 v10, v15, v16, v10
	s_delay_alu instid0(VALU_DEP_1) | instskip(NEXT) | instid1(VALU_DEP_1)
	v_sub_nc_u32_e32 v15, v8, v10
	v_subrev_co_ci_u32_e64 v14, s0, s23, v15, vcc_lo
	v_add_co_u32 v15, s0, v3, 2
	s_delay_alu instid0(VALU_DEP_1) | instskip(SKIP_3) | instid1(VALU_DEP_3)
	v_add_co_ci_u32_e64 v16, s0, 0, v5, s0
	v_sub_co_u32 v17, s0, v12, s22
	v_sub_co_ci_u32_e32 v8, vcc_lo, v8, v10, vcc_lo
	v_subrev_co_ci_u32_e64 v14, s0, 0, v14, s0
	v_cmp_le_u32_e32 vcc_lo, s22, v17
	s_delay_alu instid0(VALU_DEP_3) | instskip(SKIP_1) | instid1(VALU_DEP_4)
	v_cmp_eq_u32_e64 s0, s23, v8
	v_cndmask_b32_e64 v10, 0, -1, vcc_lo
	v_cmp_le_u32_e32 vcc_lo, s23, v14
	v_cndmask_b32_e64 v17, 0, -1, vcc_lo
	v_cmp_le_u32_e32 vcc_lo, s22, v12
	;; [unrolled: 2-line block ×3, first 2 shown]
	v_cndmask_b32_e64 v18, 0, -1, vcc_lo
	v_cmp_eq_u32_e32 vcc_lo, s23, v14
	s_delay_alu instid0(VALU_DEP_2) | instskip(SKIP_3) | instid1(VALU_DEP_3)
	v_cndmask_b32_e64 v8, v18, v12, s0
	v_cndmask_b32_e32 v10, v17, v10, vcc_lo
	v_add_co_u32 v14, vcc_lo, v3, 1
	v_add_co_ci_u32_e32 v17, vcc_lo, 0, v5, vcc_lo
	v_cmp_ne_u32_e32 vcc_lo, 0, v10
	s_delay_alu instid0(VALU_DEP_2) | instskip(NEXT) | instid1(VALU_DEP_4)
	v_cndmask_b32_e32 v10, v17, v16, vcc_lo
	v_cndmask_b32_e32 v12, v14, v15, vcc_lo
	v_cmp_ne_u32_e32 vcc_lo, 0, v8
	v_xor_b32_e32 v8, s20, v20
	s_delay_alu instid0(VALU_DEP_4) | instskip(NEXT) | instid1(VALU_DEP_4)
	v_cndmask_b32_e32 v5, v5, v10, vcc_lo
	v_cndmask_b32_e32 v3, v3, v12, vcc_lo
	v_xor_b32_e32 v10, s21, v20
	s_delay_alu instid0(VALU_DEP_2) | instskip(NEXT) | instid1(VALU_DEP_2)
	v_xor_b32_e32 v3, v3, v8
	v_xor_b32_e32 v5, v5, v10
	s_delay_alu instid0(VALU_DEP_2) | instskip(NEXT) | instid1(VALU_DEP_2)
	v_sub_co_u32 v15, vcc_lo, v3, v8
	v_sub_co_ci_u32_e32 v16, vcc_lo, v5, v10, vcc_lo
.LBB24_38:                              ;   in Loop: Header=BB24_24 Depth=2
	s_and_not1_saveexec_b32 s0, s14
	s_cbranch_execz .LBB24_40
; %bb.39:                               ;   in Loop: Header=BB24_24 Depth=2
	v_cvt_f32_u32_e32 v3, s47
	s_sub_i32 s14, 0, s47
	v_mov_b32_e32 v16, v2
	s_delay_alu instid0(VALU_DEP_2) | instskip(SKIP_2) | instid1(VALU_DEP_1)
	v_rcp_iflag_f32_e32 v3, v3
	s_waitcnt_depctr 0xfff
	v_mul_f32_e32 v3, 0x4f7ffffe, v3
	v_cvt_u32_f32_e32 v3, v3
	s_delay_alu instid0(VALU_DEP_1) | instskip(NEXT) | instid1(VALU_DEP_1)
	v_mul_lo_u32 v5, s14, v3
	v_mul_hi_u32 v5, v3, v5
	s_delay_alu instid0(VALU_DEP_1) | instskip(NEXT) | instid1(VALU_DEP_1)
	v_add_nc_u32_e32 v3, v3, v5
	v_mul_hi_u32 v3, v13, v3
	s_delay_alu instid0(VALU_DEP_1) | instskip(NEXT) | instid1(VALU_DEP_1)
	v_mul_lo_u32 v5, v3, s47
	v_sub_nc_u32_e32 v5, v13, v5
	s_delay_alu instid0(VALU_DEP_1) | instskip(SKIP_1) | instid1(VALU_DEP_2)
	v_subrev_nc_u32_e32 v10, s47, v5
	v_cmp_le_u32_e32 vcc_lo, s47, v5
	v_dual_cndmask_b32 v5, v5, v10 :: v_dual_add_nc_u32 v8, 1, v3
	s_delay_alu instid0(VALU_DEP_1) | instskip(NEXT) | instid1(VALU_DEP_2)
	v_cndmask_b32_e32 v3, v3, v8, vcc_lo
	v_cmp_le_u32_e32 vcc_lo, s47, v5
	s_delay_alu instid0(VALU_DEP_2) | instskip(NEXT) | instid1(VALU_DEP_1)
	v_add_nc_u32_e32 v8, 1, v3
	v_cndmask_b32_e32 v15, v3, v8, vcc_lo
.LBB24_40:                              ;   in Loop: Header=BB24_24 Depth=2
	s_or_b32 exec_lo, exec_lo, s0
	s_add_u32 s20, s30, s18
	s_addc_u32 s21, s1, s19
	s_add_i32 s14, s16, 3
                                        ; implicit-def: $vgpr17_vgpr18
	s_delay_alu instid0(SALU_CYCLE_1)
	s_lshl_b64 s[18:19], s[14:15], 2
	s_mov_b32 s14, exec_lo
	s_add_u32 s22, s26, s18
	s_addc_u32 s23, s27, s19
	s_clause 0x1
	s_load_b32 s49, s[22:23], 0x0
	s_load_b32 s48, s[20:21], 0x0
	s_waitcnt lgkmcnt(0)
	s_ashr_i32 s0, s49, 31
	s_delay_alu instid0(SALU_CYCLE_1) | instskip(NEXT) | instid1(VALU_DEP_1)
	v_or_b32_e32 v3, s0, v16
	v_cmpx_ne_u64_e32 0, v[2:3]
	s_xor_b32 s14, exec_lo, s14
	s_cbranch_execz .LBB24_42
; %bb.41:                               ;   in Loop: Header=BB24_24 Depth=2
	s_add_u32 s22, s49, s0
	s_mov_b32 s20, s0
	s_mov_b32 s21, s0
	s_addc_u32 s23, s0, s0
	v_ashrrev_i32_e32 v22, 31, v16
	s_xor_b64 s[22:23], s[22:23], s[20:21]
	s_delay_alu instid0(SALU_CYCLE_1) | instskip(SKIP_3) | instid1(VALU_DEP_1)
	v_cvt_f32_u32_e32 v3, s22
	v_cvt_f32_u32_e32 v5, s23
	s_sub_u32 s0, 0, s22
	s_subb_u32 s17, 0, s23
	v_fmac_f32_e32 v3, 0x4f800000, v5
	s_delay_alu instid0(VALU_DEP_1) | instskip(SKIP_2) | instid1(VALU_DEP_1)
	v_rcp_f32_e32 v3, v3
	s_waitcnt_depctr 0xfff
	v_mul_f32_e32 v3, 0x5f7ffffc, v3
	v_mul_f32_e32 v5, 0x2f800000, v3
	s_delay_alu instid0(VALU_DEP_1) | instskip(NEXT) | instid1(VALU_DEP_1)
	v_trunc_f32_e32 v5, v5
	v_fmac_f32_e32 v3, 0xcf800000, v5
	v_cvt_u32_f32_e32 v5, v5
	s_delay_alu instid0(VALU_DEP_2) | instskip(NEXT) | instid1(VALU_DEP_2)
	v_cvt_u32_f32_e32 v3, v3
	v_mul_lo_u32 v8, s0, v5
	s_delay_alu instid0(VALU_DEP_2) | instskip(SKIP_1) | instid1(VALU_DEP_2)
	v_mul_hi_u32 v10, s0, v3
	v_mul_lo_u32 v12, s17, v3
	v_add_nc_u32_e32 v8, v10, v8
	v_mul_lo_u32 v10, s0, v3
	s_delay_alu instid0(VALU_DEP_2) | instskip(NEXT) | instid1(VALU_DEP_2)
	v_add_nc_u32_e32 v8, v8, v12
	v_mul_hi_u32 v12, v3, v10
	s_delay_alu instid0(VALU_DEP_2)
	v_mul_lo_u32 v14, v3, v8
	v_mul_hi_u32 v17, v3, v8
	v_mul_hi_u32 v18, v5, v10
	v_mul_lo_u32 v10, v5, v10
	v_mul_hi_u32 v19, v5, v8
	v_mul_lo_u32 v8, v5, v8
	v_add_co_u32 v12, vcc_lo, v12, v14
	v_add_co_ci_u32_e32 v14, vcc_lo, 0, v17, vcc_lo
	s_delay_alu instid0(VALU_DEP_2) | instskip(NEXT) | instid1(VALU_DEP_2)
	v_add_co_u32 v10, vcc_lo, v12, v10
	v_add_co_ci_u32_e32 v10, vcc_lo, v14, v18, vcc_lo
	v_add_co_ci_u32_e32 v12, vcc_lo, 0, v19, vcc_lo
	s_delay_alu instid0(VALU_DEP_2) | instskip(NEXT) | instid1(VALU_DEP_2)
	v_add_co_u32 v8, vcc_lo, v10, v8
	v_add_co_ci_u32_e32 v10, vcc_lo, 0, v12, vcc_lo
	s_delay_alu instid0(VALU_DEP_2) | instskip(NEXT) | instid1(VALU_DEP_2)
	v_add_co_u32 v3, vcc_lo, v3, v8
	v_add_co_ci_u32_e32 v5, vcc_lo, v5, v10, vcc_lo
	s_delay_alu instid0(VALU_DEP_2) | instskip(SKIP_1) | instid1(VALU_DEP_3)
	v_mul_hi_u32 v8, s0, v3
	v_mul_lo_u32 v12, s17, v3
	v_mul_lo_u32 v10, s0, v5
	s_delay_alu instid0(VALU_DEP_1) | instskip(SKIP_1) | instid1(VALU_DEP_2)
	v_add_nc_u32_e32 v8, v8, v10
	v_mul_lo_u32 v10, s0, v3
	v_add_nc_u32_e32 v8, v8, v12
	s_delay_alu instid0(VALU_DEP_2) | instskip(NEXT) | instid1(VALU_DEP_2)
	v_mul_hi_u32 v12, v3, v10
	v_mul_lo_u32 v14, v3, v8
	v_mul_hi_u32 v17, v3, v8
	v_mul_hi_u32 v18, v5, v10
	v_mul_lo_u32 v10, v5, v10
	v_mul_hi_u32 v19, v5, v8
	v_mul_lo_u32 v8, v5, v8
	v_add_co_u32 v12, vcc_lo, v12, v14
	v_add_co_ci_u32_e32 v14, vcc_lo, 0, v17, vcc_lo
	s_delay_alu instid0(VALU_DEP_2) | instskip(NEXT) | instid1(VALU_DEP_2)
	v_add_co_u32 v10, vcc_lo, v12, v10
	v_add_co_ci_u32_e32 v10, vcc_lo, v14, v18, vcc_lo
	v_add_co_ci_u32_e32 v12, vcc_lo, 0, v19, vcc_lo
	v_add_co_u32 v14, vcc_lo, v15, v22
	v_add_co_ci_u32_e32 v16, vcc_lo, v16, v22, vcc_lo
	s_delay_alu instid0(VALU_DEP_4) | instskip(NEXT) | instid1(VALU_DEP_4)
	v_add_co_u32 v8, vcc_lo, v10, v8
	v_add_co_ci_u32_e32 v10, vcc_lo, 0, v12, vcc_lo
	s_delay_alu instid0(VALU_DEP_4) | instskip(NEXT) | instid1(VALU_DEP_3)
	v_xor_b32_e32 v12, v14, v22
	v_add_co_u32 v3, vcc_lo, v3, v8
	s_delay_alu instid0(VALU_DEP_3) | instskip(SKIP_1) | instid1(VALU_DEP_3)
	v_add_co_ci_u32_e32 v5, vcc_lo, v5, v10, vcc_lo
	v_xor_b32_e32 v8, v16, v22
	v_mul_hi_u32 v10, v12, v3
	s_delay_alu instid0(VALU_DEP_3) | instskip(NEXT) | instid1(VALU_DEP_3)
	v_mad_u64_u32 v[16:17], null, v12, v5, 0
	v_mad_u64_u32 v[18:19], null, v8, v3, 0
	;; [unrolled: 1-line block ×3, first 2 shown]
	s_delay_alu instid0(VALU_DEP_3) | instskip(NEXT) | instid1(VALU_DEP_4)
	v_add_co_u32 v3, vcc_lo, v10, v16
	v_add_co_ci_u32_e32 v5, vcc_lo, 0, v17, vcc_lo
	s_delay_alu instid0(VALU_DEP_2) | instskip(NEXT) | instid1(VALU_DEP_2)
	v_add_co_u32 v3, vcc_lo, v3, v18
	v_add_co_ci_u32_e32 v3, vcc_lo, v5, v19, vcc_lo
	v_add_co_ci_u32_e32 v5, vcc_lo, 0, v21, vcc_lo
	s_delay_alu instid0(VALU_DEP_2) | instskip(NEXT) | instid1(VALU_DEP_2)
	v_add_co_u32 v3, vcc_lo, v3, v20
	v_add_co_ci_u32_e32 v5, vcc_lo, 0, v5, vcc_lo
	s_delay_alu instid0(VALU_DEP_2) | instskip(SKIP_1) | instid1(VALU_DEP_3)
	v_mul_lo_u32 v10, s23, v3
	v_mad_u64_u32 v[16:17], null, s22, v3, 0
	v_mul_lo_u32 v14, s22, v5
	s_delay_alu instid0(VALU_DEP_2) | instskip(NEXT) | instid1(VALU_DEP_2)
	v_sub_co_u32 v12, vcc_lo, v12, v16
	v_add3_u32 v10, v17, v14, v10
	s_delay_alu instid0(VALU_DEP_1) | instskip(NEXT) | instid1(VALU_DEP_1)
	v_sub_nc_u32_e32 v14, v8, v10
	v_subrev_co_ci_u32_e64 v14, s0, s23, v14, vcc_lo
	v_add_co_u32 v16, s0, v3, 2
	s_delay_alu instid0(VALU_DEP_1) | instskip(SKIP_3) | instid1(VALU_DEP_3)
	v_add_co_ci_u32_e64 v17, s0, 0, v5, s0
	v_sub_co_u32 v18, s0, v12, s22
	v_sub_co_ci_u32_e32 v8, vcc_lo, v8, v10, vcc_lo
	v_subrev_co_ci_u32_e64 v14, s0, 0, v14, s0
	v_cmp_le_u32_e32 vcc_lo, s22, v18
	s_delay_alu instid0(VALU_DEP_3) | instskip(SKIP_1) | instid1(VALU_DEP_4)
	v_cmp_eq_u32_e64 s0, s23, v8
	v_cndmask_b32_e64 v10, 0, -1, vcc_lo
	v_cmp_le_u32_e32 vcc_lo, s23, v14
	v_cndmask_b32_e64 v18, 0, -1, vcc_lo
	v_cmp_le_u32_e32 vcc_lo, s22, v12
	;; [unrolled: 2-line block ×3, first 2 shown]
	v_cndmask_b32_e64 v19, 0, -1, vcc_lo
	v_cmp_eq_u32_e32 vcc_lo, s23, v14
	s_delay_alu instid0(VALU_DEP_2) | instskip(SKIP_3) | instid1(VALU_DEP_3)
	v_cndmask_b32_e64 v8, v19, v12, s0
	v_cndmask_b32_e32 v10, v18, v10, vcc_lo
	v_add_co_u32 v14, vcc_lo, v3, 1
	v_add_co_ci_u32_e32 v18, vcc_lo, 0, v5, vcc_lo
	v_cmp_ne_u32_e32 vcc_lo, 0, v10
	s_delay_alu instid0(VALU_DEP_2) | instskip(NEXT) | instid1(VALU_DEP_4)
	v_cndmask_b32_e32 v10, v18, v17, vcc_lo
	v_cndmask_b32_e32 v12, v14, v16, vcc_lo
	v_cmp_ne_u32_e32 vcc_lo, 0, v8
	v_xor_b32_e32 v8, s20, v22
	s_delay_alu instid0(VALU_DEP_4) | instskip(NEXT) | instid1(VALU_DEP_4)
	v_cndmask_b32_e32 v5, v5, v10, vcc_lo
	v_cndmask_b32_e32 v3, v3, v12, vcc_lo
	v_xor_b32_e32 v10, s21, v22
	s_delay_alu instid0(VALU_DEP_2) | instskip(NEXT) | instid1(VALU_DEP_2)
	v_xor_b32_e32 v3, v3, v8
	v_xor_b32_e32 v5, v5, v10
	s_delay_alu instid0(VALU_DEP_2) | instskip(NEXT) | instid1(VALU_DEP_2)
	v_sub_co_u32 v17, vcc_lo, v3, v8
	v_sub_co_ci_u32_e32 v18, vcc_lo, v5, v10, vcc_lo
.LBB24_42:                              ;   in Loop: Header=BB24_24 Depth=2
	s_and_not1_saveexec_b32 s0, s14
	s_cbranch_execz .LBB24_44
; %bb.43:                               ;   in Loop: Header=BB24_24 Depth=2
	v_cvt_f32_u32_e32 v3, s49
	s_sub_i32 s14, 0, s49
	v_mov_b32_e32 v18, v2
	s_delay_alu instid0(VALU_DEP_2) | instskip(SKIP_2) | instid1(VALU_DEP_1)
	v_rcp_iflag_f32_e32 v3, v3
	s_waitcnt_depctr 0xfff
	v_mul_f32_e32 v3, 0x4f7ffffe, v3
	v_cvt_u32_f32_e32 v3, v3
	s_delay_alu instid0(VALU_DEP_1) | instskip(NEXT) | instid1(VALU_DEP_1)
	v_mul_lo_u32 v5, s14, v3
	v_mul_hi_u32 v5, v3, v5
	s_delay_alu instid0(VALU_DEP_1) | instskip(NEXT) | instid1(VALU_DEP_1)
	v_add_nc_u32_e32 v3, v3, v5
	v_mul_hi_u32 v3, v15, v3
	s_delay_alu instid0(VALU_DEP_1) | instskip(NEXT) | instid1(VALU_DEP_1)
	v_mul_lo_u32 v5, v3, s49
	v_sub_nc_u32_e32 v5, v15, v5
	s_delay_alu instid0(VALU_DEP_1) | instskip(SKIP_1) | instid1(VALU_DEP_2)
	v_subrev_nc_u32_e32 v10, s49, v5
	v_cmp_le_u32_e32 vcc_lo, s49, v5
	v_dual_cndmask_b32 v5, v5, v10 :: v_dual_add_nc_u32 v8, 1, v3
	s_delay_alu instid0(VALU_DEP_1) | instskip(NEXT) | instid1(VALU_DEP_2)
	v_cndmask_b32_e32 v3, v3, v8, vcc_lo
	v_cmp_le_u32_e32 vcc_lo, s49, v5
	s_delay_alu instid0(VALU_DEP_2) | instskip(NEXT) | instid1(VALU_DEP_1)
	v_add_nc_u32_e32 v8, 1, v3
	v_cndmask_b32_e32 v17, v3, v8, vcc_lo
.LBB24_44:                              ;   in Loop: Header=BB24_24 Depth=2
	s_or_b32 exec_lo, exec_lo, s0
	s_add_u32 s20, s30, s18
	s_addc_u32 s21, s1, s19
	s_add_i32 s14, s16, 2
                                        ; implicit-def: $vgpr19_vgpr20
	s_delay_alu instid0(SALU_CYCLE_1)
	s_lshl_b64 s[18:19], s[14:15], 2
	s_mov_b32 s14, exec_lo
	s_add_u32 s22, s26, s18
	s_addc_u32 s23, s27, s19
	s_clause 0x1
	s_load_b32 s51, s[22:23], 0x0
	s_load_b32 s50, s[20:21], 0x0
	s_waitcnt lgkmcnt(0)
	s_ashr_i32 s0, s51, 31
	s_delay_alu instid0(SALU_CYCLE_1) | instskip(NEXT) | instid1(VALU_DEP_1)
	v_or_b32_e32 v3, s0, v18
	v_cmpx_ne_u64_e32 0, v[2:3]
	s_xor_b32 s14, exec_lo, s14
	s_cbranch_execz .LBB24_46
; %bb.45:                               ;   in Loop: Header=BB24_24 Depth=2
	s_add_u32 s22, s51, s0
	s_mov_b32 s20, s0
	s_mov_b32 s21, s0
	s_addc_u32 s23, s0, s0
	v_ashrrev_i32_e32 v24, 31, v18
	s_xor_b64 s[22:23], s[22:23], s[20:21]
	s_delay_alu instid0(SALU_CYCLE_1) | instskip(SKIP_3) | instid1(VALU_DEP_1)
	v_cvt_f32_u32_e32 v3, s22
	v_cvt_f32_u32_e32 v5, s23
	s_sub_u32 s0, 0, s22
	s_subb_u32 s17, 0, s23
	v_fmac_f32_e32 v3, 0x4f800000, v5
	s_delay_alu instid0(VALU_DEP_1) | instskip(SKIP_2) | instid1(VALU_DEP_1)
	v_rcp_f32_e32 v3, v3
	s_waitcnt_depctr 0xfff
	v_mul_f32_e32 v3, 0x5f7ffffc, v3
	v_mul_f32_e32 v5, 0x2f800000, v3
	s_delay_alu instid0(VALU_DEP_1) | instskip(NEXT) | instid1(VALU_DEP_1)
	v_trunc_f32_e32 v5, v5
	v_fmac_f32_e32 v3, 0xcf800000, v5
	v_cvt_u32_f32_e32 v5, v5
	s_delay_alu instid0(VALU_DEP_2) | instskip(NEXT) | instid1(VALU_DEP_2)
	v_cvt_u32_f32_e32 v3, v3
	v_mul_lo_u32 v8, s0, v5
	s_delay_alu instid0(VALU_DEP_2) | instskip(SKIP_1) | instid1(VALU_DEP_2)
	v_mul_hi_u32 v10, s0, v3
	v_mul_lo_u32 v12, s17, v3
	v_add_nc_u32_e32 v8, v10, v8
	v_mul_lo_u32 v10, s0, v3
	s_delay_alu instid0(VALU_DEP_2) | instskip(NEXT) | instid1(VALU_DEP_2)
	v_add_nc_u32_e32 v8, v8, v12
	v_mul_hi_u32 v12, v3, v10
	s_delay_alu instid0(VALU_DEP_2)
	v_mul_lo_u32 v14, v3, v8
	v_mul_hi_u32 v16, v3, v8
	v_mul_hi_u32 v19, v5, v10
	v_mul_lo_u32 v10, v5, v10
	v_mul_hi_u32 v20, v5, v8
	v_mul_lo_u32 v8, v5, v8
	v_add_co_u32 v12, vcc_lo, v12, v14
	v_add_co_ci_u32_e32 v14, vcc_lo, 0, v16, vcc_lo
	s_delay_alu instid0(VALU_DEP_2) | instskip(NEXT) | instid1(VALU_DEP_2)
	v_add_co_u32 v10, vcc_lo, v12, v10
	v_add_co_ci_u32_e32 v10, vcc_lo, v14, v19, vcc_lo
	v_add_co_ci_u32_e32 v12, vcc_lo, 0, v20, vcc_lo
	s_delay_alu instid0(VALU_DEP_2) | instskip(NEXT) | instid1(VALU_DEP_2)
	v_add_co_u32 v8, vcc_lo, v10, v8
	v_add_co_ci_u32_e32 v10, vcc_lo, 0, v12, vcc_lo
	s_delay_alu instid0(VALU_DEP_2) | instskip(NEXT) | instid1(VALU_DEP_2)
	v_add_co_u32 v3, vcc_lo, v3, v8
	v_add_co_ci_u32_e32 v5, vcc_lo, v5, v10, vcc_lo
	s_delay_alu instid0(VALU_DEP_2) | instskip(SKIP_1) | instid1(VALU_DEP_3)
	v_mul_hi_u32 v8, s0, v3
	v_mul_lo_u32 v12, s17, v3
	v_mul_lo_u32 v10, s0, v5
	s_delay_alu instid0(VALU_DEP_1) | instskip(SKIP_1) | instid1(VALU_DEP_2)
	v_add_nc_u32_e32 v8, v8, v10
	v_mul_lo_u32 v10, s0, v3
	v_add_nc_u32_e32 v8, v8, v12
	s_delay_alu instid0(VALU_DEP_2) | instskip(NEXT) | instid1(VALU_DEP_2)
	v_mul_hi_u32 v12, v3, v10
	v_mul_lo_u32 v14, v3, v8
	v_mul_hi_u32 v16, v3, v8
	v_mul_hi_u32 v19, v5, v10
	v_mul_lo_u32 v10, v5, v10
	v_mul_hi_u32 v20, v5, v8
	v_mul_lo_u32 v8, v5, v8
	v_add_co_u32 v12, vcc_lo, v12, v14
	v_add_co_ci_u32_e32 v14, vcc_lo, 0, v16, vcc_lo
	s_delay_alu instid0(VALU_DEP_2) | instskip(NEXT) | instid1(VALU_DEP_2)
	v_add_co_u32 v10, vcc_lo, v12, v10
	v_add_co_ci_u32_e32 v10, vcc_lo, v14, v19, vcc_lo
	v_add_co_ci_u32_e32 v12, vcc_lo, 0, v20, vcc_lo
	v_add_co_u32 v14, vcc_lo, v17, v24
	v_add_co_ci_u32_e32 v16, vcc_lo, v18, v24, vcc_lo
	s_delay_alu instid0(VALU_DEP_4) | instskip(NEXT) | instid1(VALU_DEP_4)
	v_add_co_u32 v8, vcc_lo, v10, v8
	v_add_co_ci_u32_e32 v10, vcc_lo, 0, v12, vcc_lo
	s_delay_alu instid0(VALU_DEP_4) | instskip(NEXT) | instid1(VALU_DEP_3)
	v_xor_b32_e32 v12, v14, v24
	v_add_co_u32 v3, vcc_lo, v3, v8
	s_delay_alu instid0(VALU_DEP_3) | instskip(SKIP_1) | instid1(VALU_DEP_3)
	v_add_co_ci_u32_e32 v5, vcc_lo, v5, v10, vcc_lo
	v_xor_b32_e32 v8, v16, v24
	v_mul_hi_u32 v10, v12, v3
	s_delay_alu instid0(VALU_DEP_3) | instskip(NEXT) | instid1(VALU_DEP_3)
	v_mad_u64_u32 v[18:19], null, v12, v5, 0
	v_mad_u64_u32 v[20:21], null, v8, v3, 0
	;; [unrolled: 1-line block ×3, first 2 shown]
	s_delay_alu instid0(VALU_DEP_3) | instskip(NEXT) | instid1(VALU_DEP_4)
	v_add_co_u32 v3, vcc_lo, v10, v18
	v_add_co_ci_u32_e32 v5, vcc_lo, 0, v19, vcc_lo
	s_delay_alu instid0(VALU_DEP_2) | instskip(NEXT) | instid1(VALU_DEP_2)
	v_add_co_u32 v3, vcc_lo, v3, v20
	v_add_co_ci_u32_e32 v3, vcc_lo, v5, v21, vcc_lo
	v_add_co_ci_u32_e32 v5, vcc_lo, 0, v23, vcc_lo
	s_delay_alu instid0(VALU_DEP_2) | instskip(NEXT) | instid1(VALU_DEP_2)
	v_add_co_u32 v3, vcc_lo, v3, v22
	v_add_co_ci_u32_e32 v5, vcc_lo, 0, v5, vcc_lo
	s_delay_alu instid0(VALU_DEP_2) | instskip(SKIP_1) | instid1(VALU_DEP_3)
	v_mul_lo_u32 v10, s23, v3
	v_mad_u64_u32 v[18:19], null, s22, v3, 0
	v_mul_lo_u32 v14, s22, v5
	s_delay_alu instid0(VALU_DEP_2) | instskip(NEXT) | instid1(VALU_DEP_2)
	v_sub_co_u32 v12, vcc_lo, v12, v18
	v_add3_u32 v10, v19, v14, v10
	s_delay_alu instid0(VALU_DEP_1) | instskip(NEXT) | instid1(VALU_DEP_1)
	v_sub_nc_u32_e32 v14, v8, v10
	v_subrev_co_ci_u32_e64 v14, s0, s23, v14, vcc_lo
	v_add_co_u32 v16, s0, v3, 2
	s_delay_alu instid0(VALU_DEP_1) | instskip(SKIP_3) | instid1(VALU_DEP_3)
	v_add_co_ci_u32_e64 v18, s0, 0, v5, s0
	v_sub_co_u32 v19, s0, v12, s22
	v_sub_co_ci_u32_e32 v8, vcc_lo, v8, v10, vcc_lo
	v_subrev_co_ci_u32_e64 v14, s0, 0, v14, s0
	v_cmp_le_u32_e32 vcc_lo, s22, v19
	s_delay_alu instid0(VALU_DEP_3) | instskip(SKIP_1) | instid1(VALU_DEP_4)
	v_cmp_eq_u32_e64 s0, s23, v8
	v_cndmask_b32_e64 v10, 0, -1, vcc_lo
	v_cmp_le_u32_e32 vcc_lo, s23, v14
	v_cndmask_b32_e64 v19, 0, -1, vcc_lo
	v_cmp_le_u32_e32 vcc_lo, s22, v12
	;; [unrolled: 2-line block ×3, first 2 shown]
	v_cndmask_b32_e64 v20, 0, -1, vcc_lo
	v_cmp_eq_u32_e32 vcc_lo, s23, v14
	s_delay_alu instid0(VALU_DEP_2) | instskip(SKIP_3) | instid1(VALU_DEP_3)
	v_cndmask_b32_e64 v8, v20, v12, s0
	v_cndmask_b32_e32 v10, v19, v10, vcc_lo
	v_add_co_u32 v14, vcc_lo, v3, 1
	v_add_co_ci_u32_e32 v19, vcc_lo, 0, v5, vcc_lo
	v_cmp_ne_u32_e32 vcc_lo, 0, v10
	s_delay_alu instid0(VALU_DEP_2) | instskip(NEXT) | instid1(VALU_DEP_4)
	v_cndmask_b32_e32 v10, v19, v18, vcc_lo
	v_cndmask_b32_e32 v12, v14, v16, vcc_lo
	v_cmp_ne_u32_e32 vcc_lo, 0, v8
	v_xor_b32_e32 v8, s20, v24
	s_delay_alu instid0(VALU_DEP_4) | instskip(NEXT) | instid1(VALU_DEP_4)
	v_cndmask_b32_e32 v5, v5, v10, vcc_lo
	v_cndmask_b32_e32 v3, v3, v12, vcc_lo
	v_xor_b32_e32 v10, s21, v24
	s_delay_alu instid0(VALU_DEP_2) | instskip(NEXT) | instid1(VALU_DEP_2)
	v_xor_b32_e32 v3, v3, v8
	v_xor_b32_e32 v5, v5, v10
	s_delay_alu instid0(VALU_DEP_2) | instskip(NEXT) | instid1(VALU_DEP_2)
	v_sub_co_u32 v19, vcc_lo, v3, v8
	v_sub_co_ci_u32_e32 v20, vcc_lo, v5, v10, vcc_lo
.LBB24_46:                              ;   in Loop: Header=BB24_24 Depth=2
	s_and_not1_saveexec_b32 s0, s14
	s_cbranch_execz .LBB24_48
; %bb.47:                               ;   in Loop: Header=BB24_24 Depth=2
	v_cvt_f32_u32_e32 v3, s51
	s_sub_i32 s14, 0, s51
	v_mov_b32_e32 v20, v2
	s_delay_alu instid0(VALU_DEP_2) | instskip(SKIP_2) | instid1(VALU_DEP_1)
	v_rcp_iflag_f32_e32 v3, v3
	s_waitcnt_depctr 0xfff
	v_mul_f32_e32 v3, 0x4f7ffffe, v3
	v_cvt_u32_f32_e32 v3, v3
	s_delay_alu instid0(VALU_DEP_1) | instskip(NEXT) | instid1(VALU_DEP_1)
	v_mul_lo_u32 v5, s14, v3
	v_mul_hi_u32 v5, v3, v5
	s_delay_alu instid0(VALU_DEP_1) | instskip(NEXT) | instid1(VALU_DEP_1)
	v_add_nc_u32_e32 v3, v3, v5
	v_mul_hi_u32 v3, v17, v3
	s_delay_alu instid0(VALU_DEP_1) | instskip(NEXT) | instid1(VALU_DEP_1)
	v_mul_lo_u32 v5, v3, s51
	v_sub_nc_u32_e32 v5, v17, v5
	s_delay_alu instid0(VALU_DEP_1) | instskip(SKIP_1) | instid1(VALU_DEP_2)
	v_subrev_nc_u32_e32 v10, s51, v5
	v_cmp_le_u32_e32 vcc_lo, s51, v5
	v_dual_cndmask_b32 v5, v5, v10 :: v_dual_add_nc_u32 v8, 1, v3
	s_delay_alu instid0(VALU_DEP_1) | instskip(NEXT) | instid1(VALU_DEP_2)
	v_cndmask_b32_e32 v3, v3, v8, vcc_lo
	v_cmp_le_u32_e32 vcc_lo, s51, v5
	s_delay_alu instid0(VALU_DEP_2) | instskip(NEXT) | instid1(VALU_DEP_1)
	v_add_nc_u32_e32 v8, 1, v3
	v_cndmask_b32_e32 v19, v3, v8, vcc_lo
.LBB24_48:                              ;   in Loop: Header=BB24_24 Depth=2
	s_or_b32 exec_lo, exec_lo, s0
	s_add_u32 s20, s30, s18
	s_addc_u32 s21, s1, s19
	s_add_i32 s14, s16, 1
	s_mov_b32 s17, exec_lo
	s_lshl_b64 s[18:19], s[14:15], 2
                                        ; implicit-def: $vgpr21_vgpr22
	s_delay_alu instid0(SALU_CYCLE_1)
	s_add_u32 s22, s26, s18
	s_addc_u32 s23, s27, s19
	s_clause 0x1
	s_load_b32 s52, s[22:23], 0x0
	s_load_b32 s14, s[20:21], 0x0
	s_waitcnt lgkmcnt(0)
	s_ashr_i32 s0, s52, 31
	s_delay_alu instid0(SALU_CYCLE_1) | instskip(NEXT) | instid1(VALU_DEP_1)
	v_or_b32_e32 v3, s0, v20
	v_cmpx_ne_u64_e32 0, v[2:3]
	s_xor_b32 s17, exec_lo, s17
	s_cbranch_execz .LBB24_50
; %bb.49:                               ;   in Loop: Header=BB24_24 Depth=2
	s_add_u32 s22, s52, s0
	s_mov_b32 s20, s0
	s_mov_b32 s21, s0
	s_addc_u32 s23, s0, s0
	s_delay_alu instid0(SALU_CYCLE_1) | instskip(NEXT) | instid1(SALU_CYCLE_1)
	s_xor_b64 s[22:23], s[22:23], s[20:21]
	v_cvt_f32_u32_e32 v3, s22
	v_cvt_f32_u32_e32 v5, s23
	s_sub_u32 s0, 0, s22
	s_subb_u32 s53, 0, s23
	s_delay_alu instid0(VALU_DEP_1) | instskip(NEXT) | instid1(VALU_DEP_1)
	v_fmac_f32_e32 v3, 0x4f800000, v5
	v_rcp_f32_e32 v3, v3
	s_waitcnt_depctr 0xfff
	v_mul_f32_e32 v3, 0x5f7ffffc, v3
	s_delay_alu instid0(VALU_DEP_1) | instskip(NEXT) | instid1(VALU_DEP_1)
	v_mul_f32_e32 v5, 0x2f800000, v3
	v_trunc_f32_e32 v5, v5
	s_delay_alu instid0(VALU_DEP_1) | instskip(SKIP_1) | instid1(VALU_DEP_2)
	v_fmac_f32_e32 v3, 0xcf800000, v5
	v_cvt_u32_f32_e32 v5, v5
	v_cvt_u32_f32_e32 v3, v3
	s_delay_alu instid0(VALU_DEP_2) | instskip(NEXT) | instid1(VALU_DEP_2)
	v_mul_lo_u32 v8, s0, v5
	v_mul_hi_u32 v10, s0, v3
	v_mul_lo_u32 v12, s53, v3
	s_delay_alu instid0(VALU_DEP_2) | instskip(SKIP_1) | instid1(VALU_DEP_2)
	v_add_nc_u32_e32 v8, v10, v8
	v_mul_lo_u32 v10, s0, v3
	v_add_nc_u32_e32 v8, v8, v12
	s_delay_alu instid0(VALU_DEP_2) | instskip(NEXT) | instid1(VALU_DEP_2)
	v_mul_hi_u32 v12, v3, v10
	v_mul_lo_u32 v14, v3, v8
	v_mul_hi_u32 v16, v3, v8
	v_mul_hi_u32 v18, v5, v10
	v_mul_lo_u32 v10, v5, v10
	v_mul_hi_u32 v21, v5, v8
	v_mul_lo_u32 v8, v5, v8
	v_add_co_u32 v12, vcc_lo, v12, v14
	v_add_co_ci_u32_e32 v14, vcc_lo, 0, v16, vcc_lo
	s_delay_alu instid0(VALU_DEP_2) | instskip(NEXT) | instid1(VALU_DEP_2)
	v_add_co_u32 v10, vcc_lo, v12, v10
	v_add_co_ci_u32_e32 v10, vcc_lo, v14, v18, vcc_lo
	v_add_co_ci_u32_e32 v12, vcc_lo, 0, v21, vcc_lo
	v_ashrrev_i32_e32 v18, 31, v20
	s_delay_alu instid0(VALU_DEP_3) | instskip(NEXT) | instid1(VALU_DEP_3)
	v_add_co_u32 v8, vcc_lo, v10, v8
	v_add_co_ci_u32_e32 v10, vcc_lo, 0, v12, vcc_lo
	s_delay_alu instid0(VALU_DEP_2) | instskip(NEXT) | instid1(VALU_DEP_2)
	v_add_co_u32 v3, vcc_lo, v3, v8
	v_add_co_ci_u32_e32 v5, vcc_lo, v5, v10, vcc_lo
	s_delay_alu instid0(VALU_DEP_2) | instskip(SKIP_1) | instid1(VALU_DEP_3)
	v_mul_hi_u32 v8, s0, v3
	v_mul_lo_u32 v12, s53, v3
	v_mul_lo_u32 v10, s0, v5
	s_delay_alu instid0(VALU_DEP_1) | instskip(SKIP_1) | instid1(VALU_DEP_2)
	v_add_nc_u32_e32 v8, v8, v10
	v_mul_lo_u32 v10, s0, v3
	v_add_nc_u32_e32 v8, v8, v12
	s_delay_alu instid0(VALU_DEP_2) | instskip(NEXT) | instid1(VALU_DEP_2)
	v_mul_hi_u32 v12, v3, v10
	v_mul_lo_u32 v14, v3, v8
	v_mul_hi_u32 v16, v3, v8
	v_mul_hi_u32 v21, v5, v10
	v_mul_lo_u32 v10, v5, v10
	v_mul_hi_u32 v22, v5, v8
	v_mul_lo_u32 v8, v5, v8
	v_add_co_u32 v12, vcc_lo, v12, v14
	v_add_co_ci_u32_e32 v14, vcc_lo, 0, v16, vcc_lo
	s_delay_alu instid0(VALU_DEP_2) | instskip(NEXT) | instid1(VALU_DEP_2)
	v_add_co_u32 v10, vcc_lo, v12, v10
	v_add_co_ci_u32_e32 v10, vcc_lo, v14, v21, vcc_lo
	v_add_co_ci_u32_e32 v12, vcc_lo, 0, v22, vcc_lo
	v_add_co_u32 v14, vcc_lo, v19, v18
	v_add_co_ci_u32_e32 v16, vcc_lo, v20, v18, vcc_lo
	s_delay_alu instid0(VALU_DEP_4) | instskip(NEXT) | instid1(VALU_DEP_4)
	v_add_co_u32 v8, vcc_lo, v10, v8
	v_add_co_ci_u32_e32 v10, vcc_lo, 0, v12, vcc_lo
	s_delay_alu instid0(VALU_DEP_4) | instskip(NEXT) | instid1(VALU_DEP_3)
	v_xor_b32_e32 v12, v14, v18
	v_add_co_u32 v3, vcc_lo, v3, v8
	s_delay_alu instid0(VALU_DEP_3) | instskip(SKIP_1) | instid1(VALU_DEP_3)
	v_add_co_ci_u32_e32 v5, vcc_lo, v5, v10, vcc_lo
	v_xor_b32_e32 v8, v16, v18
	v_mul_hi_u32 v10, v12, v3
	s_delay_alu instid0(VALU_DEP_3) | instskip(NEXT) | instid1(VALU_DEP_3)
	v_mad_u64_u32 v[20:21], null, v12, v5, 0
	v_mad_u64_u32 v[22:23], null, v8, v3, 0
	v_mad_u64_u32 v[28:29], null, v8, v5, 0
	s_delay_alu instid0(VALU_DEP_3) | instskip(NEXT) | instid1(VALU_DEP_4)
	v_add_co_u32 v3, vcc_lo, v10, v20
	v_add_co_ci_u32_e32 v5, vcc_lo, 0, v21, vcc_lo
	s_delay_alu instid0(VALU_DEP_2) | instskip(NEXT) | instid1(VALU_DEP_2)
	v_add_co_u32 v3, vcc_lo, v3, v22
	v_add_co_ci_u32_e32 v3, vcc_lo, v5, v23, vcc_lo
	v_add_co_ci_u32_e32 v5, vcc_lo, 0, v29, vcc_lo
	s_delay_alu instid0(VALU_DEP_2) | instskip(NEXT) | instid1(VALU_DEP_2)
	v_add_co_u32 v3, vcc_lo, v3, v28
	v_add_co_ci_u32_e32 v5, vcc_lo, 0, v5, vcc_lo
	s_delay_alu instid0(VALU_DEP_2) | instskip(SKIP_1) | instid1(VALU_DEP_3)
	v_mul_lo_u32 v10, s23, v3
	v_mad_u64_u32 v[20:21], null, s22, v3, 0
	v_mul_lo_u32 v14, s22, v5
	s_delay_alu instid0(VALU_DEP_2) | instskip(NEXT) | instid1(VALU_DEP_2)
	v_sub_co_u32 v12, vcc_lo, v12, v20
	v_add3_u32 v10, v21, v14, v10
	s_delay_alu instid0(VALU_DEP_1) | instskip(NEXT) | instid1(VALU_DEP_1)
	v_sub_nc_u32_e32 v14, v8, v10
	v_subrev_co_ci_u32_e64 v14, s0, s23, v14, vcc_lo
	v_add_co_u32 v16, s0, v3, 2
	s_delay_alu instid0(VALU_DEP_1) | instskip(SKIP_3) | instid1(VALU_DEP_3)
	v_add_co_ci_u32_e64 v20, s0, 0, v5, s0
	v_sub_co_u32 v21, s0, v12, s22
	v_sub_co_ci_u32_e32 v8, vcc_lo, v8, v10, vcc_lo
	v_subrev_co_ci_u32_e64 v14, s0, 0, v14, s0
	v_cmp_le_u32_e32 vcc_lo, s22, v21
	s_delay_alu instid0(VALU_DEP_3) | instskip(SKIP_1) | instid1(VALU_DEP_4)
	v_cmp_eq_u32_e64 s0, s23, v8
	v_cndmask_b32_e64 v10, 0, -1, vcc_lo
	v_cmp_le_u32_e32 vcc_lo, s23, v14
	v_cndmask_b32_e64 v21, 0, -1, vcc_lo
	v_cmp_le_u32_e32 vcc_lo, s22, v12
	;; [unrolled: 2-line block ×3, first 2 shown]
	v_cndmask_b32_e64 v22, 0, -1, vcc_lo
	v_cmp_eq_u32_e32 vcc_lo, s23, v14
	s_delay_alu instid0(VALU_DEP_2) | instskip(SKIP_3) | instid1(VALU_DEP_3)
	v_cndmask_b32_e64 v8, v22, v12, s0
	v_cndmask_b32_e32 v10, v21, v10, vcc_lo
	v_add_co_u32 v14, vcc_lo, v3, 1
	v_add_co_ci_u32_e32 v21, vcc_lo, 0, v5, vcc_lo
	v_cmp_ne_u32_e32 vcc_lo, 0, v10
	s_delay_alu instid0(VALU_DEP_2) | instskip(NEXT) | instid1(VALU_DEP_4)
	v_cndmask_b32_e32 v10, v21, v20, vcc_lo
	v_cndmask_b32_e32 v12, v14, v16, vcc_lo
	v_cmp_ne_u32_e32 vcc_lo, 0, v8
	v_xor_b32_e32 v8, s20, v18
	s_delay_alu instid0(VALU_DEP_4) | instskip(NEXT) | instid1(VALU_DEP_4)
	v_cndmask_b32_e32 v5, v5, v10, vcc_lo
	v_cndmask_b32_e32 v3, v3, v12, vcc_lo
	v_xor_b32_e32 v10, s21, v18
	s_delay_alu instid0(VALU_DEP_2) | instskip(NEXT) | instid1(VALU_DEP_2)
	v_xor_b32_e32 v3, v3, v8
	v_xor_b32_e32 v5, v5, v10
	s_delay_alu instid0(VALU_DEP_2) | instskip(NEXT) | instid1(VALU_DEP_2)
	v_sub_co_u32 v21, vcc_lo, v3, v8
	v_sub_co_ci_u32_e32 v22, vcc_lo, v5, v10, vcc_lo
.LBB24_50:                              ;   in Loop: Header=BB24_24 Depth=2
	s_and_not1_saveexec_b32 s0, s17
	s_cbranch_execz .LBB24_52
; %bb.51:                               ;   in Loop: Header=BB24_24 Depth=2
	v_cvt_f32_u32_e32 v3, s52
	s_sub_i32 s17, 0, s52
	v_mov_b32_e32 v22, v2
	s_delay_alu instid0(VALU_DEP_2) | instskip(SKIP_2) | instid1(VALU_DEP_1)
	v_rcp_iflag_f32_e32 v3, v3
	s_waitcnt_depctr 0xfff
	v_mul_f32_e32 v3, 0x4f7ffffe, v3
	v_cvt_u32_f32_e32 v3, v3
	s_delay_alu instid0(VALU_DEP_1) | instskip(NEXT) | instid1(VALU_DEP_1)
	v_mul_lo_u32 v5, s17, v3
	v_mul_hi_u32 v5, v3, v5
	s_delay_alu instid0(VALU_DEP_1) | instskip(NEXT) | instid1(VALU_DEP_1)
	v_add_nc_u32_e32 v3, v3, v5
	v_mul_hi_u32 v3, v19, v3
	s_delay_alu instid0(VALU_DEP_1) | instskip(NEXT) | instid1(VALU_DEP_1)
	v_mul_lo_u32 v5, v3, s52
	v_sub_nc_u32_e32 v5, v19, v5
	s_delay_alu instid0(VALU_DEP_1) | instskip(SKIP_1) | instid1(VALU_DEP_2)
	v_subrev_nc_u32_e32 v10, s52, v5
	v_cmp_le_u32_e32 vcc_lo, s52, v5
	v_dual_cndmask_b32 v5, v5, v10 :: v_dual_add_nc_u32 v8, 1, v3
	s_delay_alu instid0(VALU_DEP_1) | instskip(NEXT) | instid1(VALU_DEP_2)
	v_cndmask_b32_e32 v3, v3, v8, vcc_lo
	v_cmp_le_u32_e32 vcc_lo, s52, v5
	s_delay_alu instid0(VALU_DEP_2) | instskip(NEXT) | instid1(VALU_DEP_1)
	v_add_nc_u32_e32 v8, 1, v3
	v_cndmask_b32_e32 v21, v3, v8, vcc_lo
.LBB24_52:                              ;   in Loop: Header=BB24_24 Depth=2
	s_or_b32 exec_lo, exec_lo, s0
	s_mov_b32 s17, s15
	s_add_u32 s20, s30, s18
	s_addc_u32 s21, s1, s19
	s_lshl_b64 s[18:19], s[16:17], 2
                                        ; implicit-def: $vgpr23_vgpr24
	s_delay_alu instid0(SALU_CYCLE_1)
	s_add_u32 s22, s26, s18
	s_addc_u32 s23, s27, s19
	s_clause 0x1
	s_load_b32 s53, s[22:23], 0x0
	s_load_b32 s17, s[20:21], 0x0
	s_mov_b32 s20, exec_lo
	s_waitcnt lgkmcnt(0)
	s_ashr_i32 s0, s53, 31
	s_delay_alu instid0(SALU_CYCLE_1) | instskip(NEXT) | instid1(VALU_DEP_1)
	v_or_b32_e32 v3, s0, v22
	v_cmpx_ne_u64_e32 0, v[2:3]
	s_xor_b32 s54, exec_lo, s20
	s_cbranch_execz .LBB24_54
; %bb.53:                               ;   in Loop: Header=BB24_24 Depth=2
	s_add_u32 s22, s53, s0
	s_mov_b32 s20, s0
	s_mov_b32 s21, s0
	s_addc_u32 s23, s0, s0
	s_delay_alu instid0(SALU_CYCLE_1) | instskip(NEXT) | instid1(SALU_CYCLE_1)
	s_xor_b64 s[22:23], s[22:23], s[20:21]
	v_cvt_f32_u32_e32 v3, s22
	v_cvt_f32_u32_e32 v5, s23
	s_sub_u32 s0, 0, s22
	s_subb_u32 s55, 0, s23
	s_delay_alu instid0(VALU_DEP_1) | instskip(NEXT) | instid1(VALU_DEP_1)
	v_fmac_f32_e32 v3, 0x4f800000, v5
	v_rcp_f32_e32 v3, v3
	s_waitcnt_depctr 0xfff
	v_mul_f32_e32 v3, 0x5f7ffffc, v3
	s_delay_alu instid0(VALU_DEP_1) | instskip(NEXT) | instid1(VALU_DEP_1)
	v_mul_f32_e32 v5, 0x2f800000, v3
	v_trunc_f32_e32 v5, v5
	s_delay_alu instid0(VALU_DEP_1) | instskip(SKIP_1) | instid1(VALU_DEP_2)
	v_fmac_f32_e32 v3, 0xcf800000, v5
	v_cvt_u32_f32_e32 v5, v5
	v_cvt_u32_f32_e32 v3, v3
	s_delay_alu instid0(VALU_DEP_2) | instskip(NEXT) | instid1(VALU_DEP_2)
	v_mul_lo_u32 v8, s0, v5
	v_mul_hi_u32 v10, s0, v3
	v_mul_lo_u32 v12, s55, v3
	s_delay_alu instid0(VALU_DEP_2) | instskip(SKIP_1) | instid1(VALU_DEP_2)
	v_add_nc_u32_e32 v8, v10, v8
	v_mul_lo_u32 v10, s0, v3
	v_add_nc_u32_e32 v8, v8, v12
	s_delay_alu instid0(VALU_DEP_2) | instskip(NEXT) | instid1(VALU_DEP_2)
	v_mul_hi_u32 v12, v3, v10
	v_mul_lo_u32 v14, v3, v8
	v_mul_hi_u32 v16, v3, v8
	v_mul_hi_u32 v18, v5, v10
	v_mul_lo_u32 v10, v5, v10
	v_mul_hi_u32 v20, v5, v8
	v_mul_lo_u32 v8, v5, v8
	v_add_co_u32 v12, vcc_lo, v12, v14
	v_add_co_ci_u32_e32 v14, vcc_lo, 0, v16, vcc_lo
	s_delay_alu instid0(VALU_DEP_2) | instskip(NEXT) | instid1(VALU_DEP_2)
	v_add_co_u32 v10, vcc_lo, v12, v10
	v_add_co_ci_u32_e32 v10, vcc_lo, v14, v18, vcc_lo
	v_add_co_ci_u32_e32 v12, vcc_lo, 0, v20, vcc_lo
	v_ashrrev_i32_e32 v18, 31, v22
	s_delay_alu instid0(VALU_DEP_3) | instskip(NEXT) | instid1(VALU_DEP_3)
	v_add_co_u32 v8, vcc_lo, v10, v8
	v_add_co_ci_u32_e32 v10, vcc_lo, 0, v12, vcc_lo
	s_delay_alu instid0(VALU_DEP_2) | instskip(NEXT) | instid1(VALU_DEP_2)
	v_add_co_u32 v3, vcc_lo, v3, v8
	v_add_co_ci_u32_e32 v5, vcc_lo, v5, v10, vcc_lo
	s_delay_alu instid0(VALU_DEP_2) | instskip(SKIP_1) | instid1(VALU_DEP_3)
	v_mul_hi_u32 v8, s0, v3
	v_mul_lo_u32 v12, s55, v3
	v_mul_lo_u32 v10, s0, v5
	s_delay_alu instid0(VALU_DEP_1) | instskip(SKIP_1) | instid1(VALU_DEP_2)
	v_add_nc_u32_e32 v8, v8, v10
	v_mul_lo_u32 v10, s0, v3
	v_add_nc_u32_e32 v8, v8, v12
	s_delay_alu instid0(VALU_DEP_2) | instskip(NEXT) | instid1(VALU_DEP_2)
	v_mul_hi_u32 v12, v3, v10
	v_mul_lo_u32 v14, v3, v8
	v_mul_hi_u32 v16, v3, v8
	v_mul_hi_u32 v20, v5, v10
	v_mul_lo_u32 v10, v5, v10
	v_mul_hi_u32 v23, v5, v8
	v_mul_lo_u32 v8, v5, v8
	v_add_co_u32 v12, vcc_lo, v12, v14
	v_add_co_ci_u32_e32 v14, vcc_lo, 0, v16, vcc_lo
	s_delay_alu instid0(VALU_DEP_2) | instskip(NEXT) | instid1(VALU_DEP_2)
	v_add_co_u32 v10, vcc_lo, v12, v10
	v_add_co_ci_u32_e32 v10, vcc_lo, v14, v20, vcc_lo
	v_add_co_ci_u32_e32 v12, vcc_lo, 0, v23, vcc_lo
	v_add_co_u32 v14, vcc_lo, v21, v18
	v_add_co_ci_u32_e32 v16, vcc_lo, v22, v18, vcc_lo
	s_delay_alu instid0(VALU_DEP_4) | instskip(NEXT) | instid1(VALU_DEP_4)
	v_add_co_u32 v8, vcc_lo, v10, v8
	v_add_co_ci_u32_e32 v10, vcc_lo, 0, v12, vcc_lo
	s_delay_alu instid0(VALU_DEP_4) | instskip(NEXT) | instid1(VALU_DEP_3)
	v_xor_b32_e32 v12, v14, v18
	v_add_co_u32 v3, vcc_lo, v3, v8
	s_delay_alu instid0(VALU_DEP_3) | instskip(SKIP_1) | instid1(VALU_DEP_3)
	v_add_co_ci_u32_e32 v5, vcc_lo, v5, v10, vcc_lo
	v_xor_b32_e32 v8, v16, v18
	v_mul_hi_u32 v10, v12, v3
	s_delay_alu instid0(VALU_DEP_3) | instskip(NEXT) | instid1(VALU_DEP_3)
	v_mad_u64_u32 v[22:23], null, v12, v5, 0
	v_mad_u64_u32 v[28:29], null, v8, v3, 0
	;; [unrolled: 1-line block ×3, first 2 shown]
	s_delay_alu instid0(VALU_DEP_3) | instskip(NEXT) | instid1(VALU_DEP_4)
	v_add_co_u32 v3, vcc_lo, v10, v22
	v_add_co_ci_u32_e32 v5, vcc_lo, 0, v23, vcc_lo
	s_delay_alu instid0(VALU_DEP_2) | instskip(NEXT) | instid1(VALU_DEP_2)
	v_add_co_u32 v3, vcc_lo, v3, v28
	v_add_co_ci_u32_e32 v3, vcc_lo, v5, v29, vcc_lo
	v_add_co_ci_u32_e32 v5, vcc_lo, 0, v31, vcc_lo
	s_delay_alu instid0(VALU_DEP_2) | instskip(NEXT) | instid1(VALU_DEP_2)
	v_add_co_u32 v3, vcc_lo, v3, v30
	v_add_co_ci_u32_e32 v5, vcc_lo, 0, v5, vcc_lo
	s_delay_alu instid0(VALU_DEP_2) | instskip(SKIP_1) | instid1(VALU_DEP_3)
	v_mul_lo_u32 v10, s23, v3
	v_mad_u64_u32 v[22:23], null, s22, v3, 0
	v_mul_lo_u32 v14, s22, v5
	s_delay_alu instid0(VALU_DEP_2) | instskip(NEXT) | instid1(VALU_DEP_2)
	v_sub_co_u32 v12, vcc_lo, v12, v22
	v_add3_u32 v10, v23, v14, v10
	s_delay_alu instid0(VALU_DEP_1) | instskip(NEXT) | instid1(VALU_DEP_1)
	v_sub_nc_u32_e32 v14, v8, v10
	v_subrev_co_ci_u32_e64 v14, s0, s23, v14, vcc_lo
	v_add_co_u32 v16, s0, v3, 2
	s_delay_alu instid0(VALU_DEP_1) | instskip(SKIP_3) | instid1(VALU_DEP_3)
	v_add_co_ci_u32_e64 v20, s0, 0, v5, s0
	v_sub_co_u32 v22, s0, v12, s22
	v_sub_co_ci_u32_e32 v8, vcc_lo, v8, v10, vcc_lo
	v_subrev_co_ci_u32_e64 v14, s0, 0, v14, s0
	v_cmp_le_u32_e32 vcc_lo, s22, v22
	s_delay_alu instid0(VALU_DEP_3) | instskip(SKIP_1) | instid1(VALU_DEP_4)
	v_cmp_eq_u32_e64 s0, s23, v8
	v_cndmask_b32_e64 v10, 0, -1, vcc_lo
	v_cmp_le_u32_e32 vcc_lo, s23, v14
	v_cndmask_b32_e64 v22, 0, -1, vcc_lo
	v_cmp_le_u32_e32 vcc_lo, s22, v12
	;; [unrolled: 2-line block ×3, first 2 shown]
	v_cndmask_b32_e64 v23, 0, -1, vcc_lo
	v_cmp_eq_u32_e32 vcc_lo, s23, v14
	s_delay_alu instid0(VALU_DEP_2) | instskip(SKIP_3) | instid1(VALU_DEP_3)
	v_cndmask_b32_e64 v8, v23, v12, s0
	v_cndmask_b32_e32 v10, v22, v10, vcc_lo
	v_add_co_u32 v14, vcc_lo, v3, 1
	v_add_co_ci_u32_e32 v22, vcc_lo, 0, v5, vcc_lo
	v_cmp_ne_u32_e32 vcc_lo, 0, v10
	s_delay_alu instid0(VALU_DEP_2) | instskip(NEXT) | instid1(VALU_DEP_4)
	v_cndmask_b32_e32 v10, v22, v20, vcc_lo
	v_cndmask_b32_e32 v12, v14, v16, vcc_lo
	v_cmp_ne_u32_e32 vcc_lo, 0, v8
	v_xor_b32_e32 v8, s20, v18
	s_delay_alu instid0(VALU_DEP_4) | instskip(NEXT) | instid1(VALU_DEP_4)
	v_cndmask_b32_e32 v5, v5, v10, vcc_lo
	v_cndmask_b32_e32 v3, v3, v12, vcc_lo
	v_xor_b32_e32 v10, s21, v18
	s_delay_alu instid0(VALU_DEP_2) | instskip(NEXT) | instid1(VALU_DEP_2)
	v_xor_b32_e32 v3, v3, v8
	v_xor_b32_e32 v5, v5, v10
	s_delay_alu instid0(VALU_DEP_2) | instskip(NEXT) | instid1(VALU_DEP_2)
	v_sub_co_u32 v23, vcc_lo, v3, v8
	v_sub_co_ci_u32_e32 v24, vcc_lo, v5, v10, vcc_lo
.LBB24_54:                              ;   in Loop: Header=BB24_24 Depth=2
	s_and_not1_saveexec_b32 s0, s54
	s_cbranch_execz .LBB24_56
; %bb.55:                               ;   in Loop: Header=BB24_24 Depth=2
	v_cvt_f32_u32_e32 v3, s53
	s_sub_i32 s20, 0, s53
	v_mov_b32_e32 v24, v2
	s_delay_alu instid0(VALU_DEP_2) | instskip(SKIP_2) | instid1(VALU_DEP_1)
	v_rcp_iflag_f32_e32 v3, v3
	s_waitcnt_depctr 0xfff
	v_mul_f32_e32 v3, 0x4f7ffffe, v3
	v_cvt_u32_f32_e32 v3, v3
	s_delay_alu instid0(VALU_DEP_1) | instskip(NEXT) | instid1(VALU_DEP_1)
	v_mul_lo_u32 v5, s20, v3
	v_mul_hi_u32 v5, v3, v5
	s_delay_alu instid0(VALU_DEP_1) | instskip(NEXT) | instid1(VALU_DEP_1)
	v_add_nc_u32_e32 v3, v3, v5
	v_mul_hi_u32 v3, v21, v3
	s_delay_alu instid0(VALU_DEP_1) | instskip(NEXT) | instid1(VALU_DEP_1)
	v_mul_lo_u32 v5, v3, s53
	v_sub_nc_u32_e32 v5, v21, v5
	s_delay_alu instid0(VALU_DEP_1) | instskip(SKIP_1) | instid1(VALU_DEP_2)
	v_subrev_nc_u32_e32 v10, s53, v5
	v_cmp_le_u32_e32 vcc_lo, s53, v5
	v_dual_cndmask_b32 v5, v5, v10 :: v_dual_add_nc_u32 v8, 1, v3
	s_delay_alu instid0(VALU_DEP_1) | instskip(NEXT) | instid1(VALU_DEP_2)
	v_cndmask_b32_e32 v3, v3, v8, vcc_lo
	v_cmp_le_u32_e32 vcc_lo, s53, v5
	s_delay_alu instid0(VALU_DEP_2) | instskip(NEXT) | instid1(VALU_DEP_1)
	v_add_nc_u32_e32 v8, 1, v3
	v_cndmask_b32_e32 v23, v3, v8, vcc_lo
.LBB24_56:                              ;   in Loop: Header=BB24_24 Depth=2
	s_or_b32 exec_lo, exec_lo, s0
	v_mul_lo_u32 v3, v9, s41
	v_mul_lo_u32 v5, v11, s43
	v_mul_lo_u32 v8, v13, s45
	v_mul_lo_u32 v10, v15, s47
	s_add_u32 s18, s30, s18
	s_addc_u32 s19, s1, s19
	v_mul_lo_u32 v12, v17, s49
	s_load_b32 s0, s[18:19], 0x0
	v_sub_nc_u32_e32 v3, v7, v3
	v_sub_nc_u32_e32 v5, v9, v5
	v_mul_lo_u32 v7, v19, s51
	v_sub_nc_u32_e32 v8, v11, v8
	v_sub_nc_u32_e32 v10, v13, v10
	v_mul_lo_u32 v3, s42, v3
	v_mul_lo_u32 v5, s44, v5
	;; [unrolled: 1-line block ×4, first 2 shown]
	v_sub_nc_u32_e32 v12, v15, v12
	v_sub_nc_u32_e32 v7, v17, v7
	v_mul_lo_u32 v8, s46, v8
	v_mul_lo_u32 v10, s48, v10
	s_add_i32 s16, s16, -8
	v_add3_u32 v3, v3, v4, v5
	v_mul_lo_u32 v4, s50, v12
	v_sub_nc_u32_e32 v5, v19, v9
	v_sub_nc_u32_e32 v9, v21, v11
	v_mul_lo_u32 v7, s14, v7
	s_cmp_eq_u32 s16, -8
	v_add3_u32 v3, v8, v3, v10
	v_mul_lo_u32 v5, s17, v5
	s_waitcnt lgkmcnt(0)
	v_mul_lo_u32 v8, s0, v9
	s_delay_alu instid0(VALU_DEP_3) | instskip(NEXT) | instid1(VALU_DEP_1)
	v_add3_u32 v3, v4, v3, v7
	v_add3_u32 v4, v5, v3, v8
	s_cbranch_scc1 .LBB24_58
; %bb.57:                               ;   in Loop: Header=BB24_24 Depth=2
	v_dual_mov_b32 v7, v23 :: v_dual_mov_b32 v8, v24
	s_branch .LBB24_24
.LBB24_58:                              ;   in Loop: Header=BB24_3 Depth=1
	s_load_b32 s0, s[12:13], 0x0
	s_waitcnt lgkmcnt(0)
	v_cmp_gt_i32_e32 vcc_lo, s0, v27
	s_and_b32 exec_lo, exec_lo, vcc_lo
	s_cbranch_execz .LBB24_2
; %bb.59:                               ;   in Loop: Header=BB24_3 Depth=1
	v_ashrrev_i32_e32 v7, 31, v6
	s_mov_b32 s14, exec_lo
	s_delay_alu instid0(VALU_DEP_1)
	v_cmpx_lt_i64_e64 s[4:5], v[6:7]
	s_cbranch_execz .LBB24_61
; %bb.60:                               ;   in Loop: Header=BB24_3 Depth=1
	v_ashrrev_i32_e32 v5, 31, v4
	s_delay_alu instid0(VALU_DEP_1) | instskip(NEXT) | instid1(VALU_DEP_1)
	v_lshlrev_b64 v[5:6], 2, v[4:5]
	v_add_co_u32 v5, vcc_lo, s2, v5
	s_delay_alu instid0(VALU_DEP_2)
	v_add_co_ci_u32_e32 v6, vcc_lo, s3, v6, vcc_lo
	global_store_b32 v[5:6], v2, off
.LBB24_61:                              ;   in Loop: Header=BB24_3 Depth=1
	s_or_b32 exec_lo, exec_lo, s14
	v_add_nc_u32_e32 v3, 1, v27
	s_delay_alu instid0(VALU_DEP_1)
	v_cmp_gt_i32_e32 vcc_lo, s0, v3
	s_and_b32 exec_lo, exec_lo, vcc_lo
	s_cbranch_execz .LBB24_2
; %bb.62:                               ;   in Loop: Header=BB24_3 Depth=1
	v_sub_nc_u32_e32 v5, v3, v26
	s_delay_alu instid0(VALU_DEP_1) | instskip(NEXT) | instid1(VALU_DEP_1)
	v_ashrrev_i32_e32 v6, 31, v5
	v_cmp_lt_i64_e32 vcc_lo, s[4:5], v[5:6]
	s_and_b32 exec_lo, exec_lo, vcc_lo
	s_cbranch_execz .LBB24_2
; %bb.63:                               ;   in Loop: Header=BB24_3 Depth=1
	v_add_nc_u32_e32 v3, s40, v4
	s_delay_alu instid0(VALU_DEP_1) | instskip(NEXT) | instid1(VALU_DEP_1)
	v_ashrrev_i32_e32 v4, 31, v3
	v_lshlrev_b64 v[3:4], 2, v[3:4]
	s_delay_alu instid0(VALU_DEP_1) | instskip(NEXT) | instid1(VALU_DEP_2)
	v_add_co_u32 v3, vcc_lo, s2, v3
	v_add_co_ci_u32_e32 v4, vcc_lo, s3, v4, vcc_lo
	global_store_b32 v[3:4], v2, off
	s_branch .LBB24_2
.LBB24_64:
	s_nop 0
	s_sendmsg sendmsg(MSG_DEALLOC_VGPRS)
	s_endpgm
	.section	.rodata,"a",@progbits
	.p2align	6, 0x0
	.amdhsa_kernel _ZN2at6native16triu_tril_kernelIfiLb0ELi2ELb1EEEvNS_4cuda6detail10TensorInfoIT_T0_EENS4_IKS5_S6_EEllS6_
		.amdhsa_group_segment_fixed_size 0
		.amdhsa_private_segment_fixed_size 0
		.amdhsa_kernarg_size 712
		.amdhsa_user_sgpr_count 15
		.amdhsa_user_sgpr_dispatch_ptr 0
		.amdhsa_user_sgpr_queue_ptr 0
		.amdhsa_user_sgpr_kernarg_segment_ptr 1
		.amdhsa_user_sgpr_dispatch_id 0
		.amdhsa_user_sgpr_private_segment_size 0
		.amdhsa_wavefront_size32 1
		.amdhsa_uses_dynamic_stack 0
		.amdhsa_enable_private_segment 0
		.amdhsa_system_sgpr_workgroup_id_x 1
		.amdhsa_system_sgpr_workgroup_id_y 0
		.amdhsa_system_sgpr_workgroup_id_z 0
		.amdhsa_system_sgpr_workgroup_info 0
		.amdhsa_system_vgpr_workitem_id 0
		.amdhsa_next_free_vgpr 32
		.amdhsa_next_free_sgpr 56
		.amdhsa_reserve_vcc 1
		.amdhsa_float_round_mode_32 0
		.amdhsa_float_round_mode_16_64 0
		.amdhsa_float_denorm_mode_32 3
		.amdhsa_float_denorm_mode_16_64 3
		.amdhsa_dx10_clamp 1
		.amdhsa_ieee_mode 1
		.amdhsa_fp16_overflow 0
		.amdhsa_workgroup_processor_mode 1
		.amdhsa_memory_ordered 1
		.amdhsa_forward_progress 0
		.amdhsa_shared_vgpr_count 0
		.amdhsa_exception_fp_ieee_invalid_op 0
		.amdhsa_exception_fp_denorm_src 0
		.amdhsa_exception_fp_ieee_div_zero 0
		.amdhsa_exception_fp_ieee_overflow 0
		.amdhsa_exception_fp_ieee_underflow 0
		.amdhsa_exception_fp_ieee_inexact 0
		.amdhsa_exception_int_div_zero 0
	.end_amdhsa_kernel
	.section	.text._ZN2at6native16triu_tril_kernelIfiLb0ELi2ELb1EEEvNS_4cuda6detail10TensorInfoIT_T0_EENS4_IKS5_S6_EEllS6_,"axG",@progbits,_ZN2at6native16triu_tril_kernelIfiLb0ELi2ELb1EEEvNS_4cuda6detail10TensorInfoIT_T0_EENS4_IKS5_S6_EEllS6_,comdat
.Lfunc_end24:
	.size	_ZN2at6native16triu_tril_kernelIfiLb0ELi2ELb1EEEvNS_4cuda6detail10TensorInfoIT_T0_EENS4_IKS5_S6_EEllS6_, .Lfunc_end24-_ZN2at6native16triu_tril_kernelIfiLb0ELi2ELb1EEEvNS_4cuda6detail10TensorInfoIT_T0_EENS4_IKS5_S6_EEllS6_
                                        ; -- End function
	.section	.AMDGPU.csdata,"",@progbits
; Kernel info:
; codeLenInByte = 12416
; NumSgprs: 58
; NumVgprs: 32
; ScratchSize: 0
; MemoryBound: 0
; FloatMode: 240
; IeeeMode: 1
; LDSByteSize: 0 bytes/workgroup (compile time only)
; SGPRBlocks: 7
; VGPRBlocks: 3
; NumSGPRsForWavesPerEU: 58
; NumVGPRsForWavesPerEU: 32
; Occupancy: 16
; WaveLimiterHint : 0
; COMPUTE_PGM_RSRC2:SCRATCH_EN: 0
; COMPUTE_PGM_RSRC2:USER_SGPR: 15
; COMPUTE_PGM_RSRC2:TRAP_HANDLER: 0
; COMPUTE_PGM_RSRC2:TGID_X_EN: 1
; COMPUTE_PGM_RSRC2:TGID_Y_EN: 0
; COMPUTE_PGM_RSRC2:TGID_Z_EN: 0
; COMPUTE_PGM_RSRC2:TIDIG_COMP_CNT: 0
	.section	.text._ZN2at6native16triu_tril_kernelIfiLb0ELi2ELb0EEEvNS_4cuda6detail10TensorInfoIT_T0_EENS4_IKS5_S6_EEllS6_,"axG",@progbits,_ZN2at6native16triu_tril_kernelIfiLb0ELi2ELb0EEEvNS_4cuda6detail10TensorInfoIT_T0_EENS4_IKS5_S6_EEllS6_,comdat
	.protected	_ZN2at6native16triu_tril_kernelIfiLb0ELi2ELb0EEEvNS_4cuda6detail10TensorInfoIT_T0_EENS4_IKS5_S6_EEllS6_ ; -- Begin function _ZN2at6native16triu_tril_kernelIfiLb0ELi2ELb0EEEvNS_4cuda6detail10TensorInfoIT_T0_EENS4_IKS5_S6_EEllS6_
	.globl	_ZN2at6native16triu_tril_kernelIfiLb0ELi2ELb0EEEvNS_4cuda6detail10TensorInfoIT_T0_EENS4_IKS5_S6_EEllS6_
	.p2align	8
	.type	_ZN2at6native16triu_tril_kernelIfiLb0ELi2ELb0EEEvNS_4cuda6detail10TensorInfoIT_T0_EENS4_IKS5_S6_EEllS6_,@function
_ZN2at6native16triu_tril_kernelIfiLb0ELi2ELb0EEEvNS_4cuda6detail10TensorInfoIT_T0_EENS4_IKS5_S6_EEllS6_: ; @_ZN2at6native16triu_tril_kernelIfiLb0ELi2ELb0EEEvNS_4cuda6detail10TensorInfoIT_T0_EENS4_IKS5_S6_EEllS6_
; %bb.0:
	s_clause 0x1
	s_load_b32 s2, s[0:1], 0x1d4
	s_load_b128 s[4:7], s[0:1], 0x1b0
	v_mov_b32_e32 v2, 0
	s_add_u32 s8, s0, 0x1c8
	s_addc_u32 s9, s1, 0
	s_delay_alu instid0(VALU_DEP_1) | instskip(SKIP_3) | instid1(VALU_DEP_1)
	v_mov_b32_e32 v1, v2
	s_waitcnt lgkmcnt(0)
	s_and_b32 s10, s2, 0xffff
	s_mov_b32 s2, exec_lo
	v_mad_u64_u32 v[3:4], null, s10, s15, v[0:1]
	s_delay_alu instid0(VALU_DEP_1) | instskip(NEXT) | instid1(VALU_DEP_1)
	v_lshlrev_b64 v[0:1], 1, v[3:4]
	v_cmpx_gt_i64_e64 s[6:7], v[0:1]
	s_cbranch_execz .LBB25_49
; %bb.1:
	s_clause 0x1
	s_load_b32 s16, s[0:1], 0x1a8
	s_load_b32 s30, s[0:1], 0x1c0
	s_add_u32 s31, s0, 0xd8
	s_addc_u32 s33, s1, 0
	s_load_b32 s11, s[8:9], 0x0
	s_load_b64 s[2:3], s[0:1], 0xd8
	s_waitcnt lgkmcnt(0)
	s_ashr_i32 s17, s16, 31
	s_ashr_i32 s34, s30, 31
	s_lshl_b64 s[8:9], s[16:17], 2
	v_cvt_f32_u32_e32 v3, s30
	s_add_u32 s14, s8, -8
	s_addc_u32 s15, s9, -1
	s_add_u32 s12, s31, s14
	s_addc_u32 s13, s33, s15
	v_rcp_iflag_f32_e32 v3, v3
	s_load_b64 s[8:9], s[12:13], 0x8
	s_mul_i32 s18, s11, s10
	s_load_b64 s[10:11], s[12:13], 0x6c
	s_waitcnt_depctr 0xfff
	v_mul_f32_e32 v3, 0x4f7ffffe, v3
	s_delay_alu instid0(VALU_DEP_1)
	v_cvt_u32_f32_e32 v3, v3
	s_waitcnt lgkmcnt(0)
	s_ashr_i32 s35, s8, 31
	s_add_u32 s36, s0, 0x6c
	s_addc_u32 s37, s1, 0
	s_add_u32 s12, s36, s14
	s_addc_u32 s13, s37, s15
	s_and_b32 s39, s16, 3
	s_add_i32 s38, s16, -3
	s_lshl_b32 s40, s18, 1
	s_cmp_lg_u32 s39, 2
	s_load_b64 s[12:13], s[12:13], 0x0
	s_cselect_b32 s41, -1, 0
	s_cmp_gt_u32 s38, 2
	s_mov_b32 s18, s11
	s_cselect_b32 s42, -1, 0
	s_sub_i32 s14, 0, s30
	s_ashr_i32 s19, s11, 31
	v_mul_lo_u32 v4, s14, v3
	s_load_b64 s[14:15], s[0:1], 0x0
	v_cmp_gt_i64_e64 s1, s[16:17], 2
	s_mov_b32 s17, 0
	s_mov_b32 s11, 0
	s_delay_alu instid0(VALU_DEP_2) | instskip(SKIP_3) | instid1(VALU_DEP_1)
	v_mul_hi_u32 v4, v3, v4
	s_waitcnt lgkmcnt(0)
	s_ashr_i32 s21, s13, 31
	s_mov_b32 s20, s13
	v_add_nc_u32_e32 v18, v3, v4
	s_branch .LBB25_3
.LBB25_2:                               ;   in Loop: Header=BB25_3 Depth=1
	s_or_b32 exec_lo, exec_lo, s0
	v_add_co_u32 v0, vcc_lo, v0, s40
	v_add_co_ci_u32_e32 v1, vcc_lo, 0, v1, vcc_lo
	s_delay_alu instid0(VALU_DEP_1) | instskip(SKIP_1) | instid1(SALU_CYCLE_1)
	v_cmp_le_i64_e32 vcc_lo, s[6:7], v[0:1]
	s_or_b32 s11, vcc_lo, s11
	s_and_not1_b32 exec_lo, exec_lo, s11
	s_cbranch_execz .LBB25_49
.LBB25_3:                               ; =>This Loop Header: Depth=1
                                        ;     Child Loop BB25_14 Depth 2
                                        ;     Child Loop BB25_22 Depth 2
	v_or_b32_e32 v3, s34, v1
                                        ; implicit-def: $vgpr4_vgpr5
	s_mov_b32 s0, exec_lo
	s_delay_alu instid0(VALU_DEP_1)
	v_cmpx_ne_u64_e32 0, v[2:3]
	s_xor_b32 s13, exec_lo, s0
	s_cbranch_execz .LBB25_5
; %bb.4:                                ;   in Loop: Header=BB25_3 Depth=1
	s_add_u32 s24, s30, s34
	s_mov_b32 s22, s34
	s_mov_b32 s23, s34
	s_addc_u32 s25, s34, s34
	s_delay_alu instid0(SALU_CYCLE_1) | instskip(NEXT) | instid1(SALU_CYCLE_1)
	s_xor_b64 s[24:25], s[24:25], s[22:23]
	v_cvt_f32_u32_e32 v3, s24
	v_cvt_f32_u32_e32 v4, s25
	s_sub_u32 s0, 0, s24
	s_subb_u32 s16, 0, s25
	s_delay_alu instid0(VALU_DEP_1) | instskip(NEXT) | instid1(VALU_DEP_1)
	v_fmac_f32_e32 v3, 0x4f800000, v4
	v_rcp_f32_e32 v3, v3
	s_waitcnt_depctr 0xfff
	v_mul_f32_e32 v3, 0x5f7ffffc, v3
	s_delay_alu instid0(VALU_DEP_1) | instskip(NEXT) | instid1(VALU_DEP_1)
	v_mul_f32_e32 v4, 0x2f800000, v3
	v_trunc_f32_e32 v4, v4
	s_delay_alu instid0(VALU_DEP_1) | instskip(SKIP_1) | instid1(VALU_DEP_2)
	v_fmac_f32_e32 v3, 0xcf800000, v4
	v_cvt_u32_f32_e32 v4, v4
	v_cvt_u32_f32_e32 v3, v3
	s_delay_alu instid0(VALU_DEP_2) | instskip(NEXT) | instid1(VALU_DEP_2)
	v_mul_lo_u32 v5, s0, v4
	v_mul_hi_u32 v6, s0, v3
	v_mul_lo_u32 v7, s16, v3
	s_delay_alu instid0(VALU_DEP_2) | instskip(SKIP_1) | instid1(VALU_DEP_2)
	v_add_nc_u32_e32 v5, v6, v5
	v_mul_lo_u32 v6, s0, v3
	v_add_nc_u32_e32 v5, v5, v7
	s_delay_alu instid0(VALU_DEP_2) | instskip(NEXT) | instid1(VALU_DEP_2)
	v_mul_hi_u32 v7, v3, v6
	v_mul_lo_u32 v8, v3, v5
	v_mul_hi_u32 v9, v3, v5
	v_mul_hi_u32 v10, v4, v6
	v_mul_lo_u32 v6, v4, v6
	v_mul_hi_u32 v11, v4, v5
	v_mul_lo_u32 v5, v4, v5
	v_add_co_u32 v7, vcc_lo, v7, v8
	v_add_co_ci_u32_e32 v8, vcc_lo, 0, v9, vcc_lo
	s_delay_alu instid0(VALU_DEP_2) | instskip(NEXT) | instid1(VALU_DEP_2)
	v_add_co_u32 v6, vcc_lo, v7, v6
	v_add_co_ci_u32_e32 v6, vcc_lo, v8, v10, vcc_lo
	v_add_co_ci_u32_e32 v7, vcc_lo, 0, v11, vcc_lo
	v_ashrrev_i32_e32 v10, 31, v1
	s_delay_alu instid0(VALU_DEP_3) | instskip(NEXT) | instid1(VALU_DEP_3)
	v_add_co_u32 v5, vcc_lo, v6, v5
	v_add_co_ci_u32_e32 v6, vcc_lo, 0, v7, vcc_lo
	s_delay_alu instid0(VALU_DEP_2) | instskip(NEXT) | instid1(VALU_DEP_2)
	v_add_co_u32 v3, vcc_lo, v3, v5
	v_add_co_ci_u32_e32 v4, vcc_lo, v4, v6, vcc_lo
	s_delay_alu instid0(VALU_DEP_2) | instskip(SKIP_1) | instid1(VALU_DEP_3)
	v_mul_hi_u32 v5, s0, v3
	v_mul_lo_u32 v7, s16, v3
	v_mul_lo_u32 v6, s0, v4
	s_delay_alu instid0(VALU_DEP_1) | instskip(SKIP_1) | instid1(VALU_DEP_2)
	v_add_nc_u32_e32 v5, v5, v6
	v_mul_lo_u32 v6, s0, v3
	v_add_nc_u32_e32 v5, v5, v7
	s_delay_alu instid0(VALU_DEP_2) | instskip(NEXT) | instid1(VALU_DEP_2)
	v_mul_hi_u32 v7, v3, v6
	v_mul_lo_u32 v8, v3, v5
	v_mul_hi_u32 v9, v3, v5
	v_mul_hi_u32 v11, v4, v6
	v_mul_lo_u32 v6, v4, v6
	v_mul_hi_u32 v12, v4, v5
	v_mul_lo_u32 v5, v4, v5
	v_add_co_u32 v7, vcc_lo, v7, v8
	v_add_co_ci_u32_e32 v8, vcc_lo, 0, v9, vcc_lo
	s_delay_alu instid0(VALU_DEP_2) | instskip(NEXT) | instid1(VALU_DEP_2)
	v_add_co_u32 v6, vcc_lo, v7, v6
	v_add_co_ci_u32_e32 v6, vcc_lo, v8, v11, vcc_lo
	v_add_co_ci_u32_e32 v7, vcc_lo, 0, v12, vcc_lo
	v_add_co_u32 v8, vcc_lo, v0, v10
	v_add_co_ci_u32_e32 v9, vcc_lo, v1, v10, vcc_lo
	s_delay_alu instid0(VALU_DEP_4) | instskip(NEXT) | instid1(VALU_DEP_4)
	v_add_co_u32 v5, vcc_lo, v6, v5
	v_add_co_ci_u32_e32 v6, vcc_lo, 0, v7, vcc_lo
	s_delay_alu instid0(VALU_DEP_4) | instskip(NEXT) | instid1(VALU_DEP_3)
	v_xor_b32_e32 v11, v8, v10
	v_add_co_u32 v7, vcc_lo, v3, v5
	s_delay_alu instid0(VALU_DEP_3) | instskip(SKIP_1) | instid1(VALU_DEP_3)
	v_add_co_ci_u32_e32 v12, vcc_lo, v4, v6, vcc_lo
	v_xor_b32_e32 v9, v9, v10
	v_mul_hi_u32 v13, v11, v7
	s_delay_alu instid0(VALU_DEP_3) | instskip(NEXT) | instid1(VALU_DEP_3)
	v_mad_u64_u32 v[3:4], null, v11, v12, 0
	v_mad_u64_u32 v[5:6], null, v9, v7, 0
	;; [unrolled: 1-line block ×3, first 2 shown]
	s_delay_alu instid0(VALU_DEP_3) | instskip(NEXT) | instid1(VALU_DEP_4)
	v_add_co_u32 v3, vcc_lo, v13, v3
	v_add_co_ci_u32_e32 v4, vcc_lo, 0, v4, vcc_lo
	s_delay_alu instid0(VALU_DEP_2) | instskip(NEXT) | instid1(VALU_DEP_2)
	v_add_co_u32 v3, vcc_lo, v3, v5
	v_add_co_ci_u32_e32 v3, vcc_lo, v4, v6, vcc_lo
	v_add_co_ci_u32_e32 v4, vcc_lo, 0, v8, vcc_lo
	s_delay_alu instid0(VALU_DEP_2) | instskip(NEXT) | instid1(VALU_DEP_2)
	v_add_co_u32 v5, vcc_lo, v3, v7
	v_add_co_ci_u32_e32 v6, vcc_lo, 0, v4, vcc_lo
	s_delay_alu instid0(VALU_DEP_2) | instskip(SKIP_1) | instid1(VALU_DEP_3)
	v_mul_lo_u32 v7, s25, v5
	v_mad_u64_u32 v[3:4], null, s24, v5, 0
	v_mul_lo_u32 v8, s24, v6
	s_delay_alu instid0(VALU_DEP_2) | instskip(NEXT) | instid1(VALU_DEP_2)
	v_sub_co_u32 v3, vcc_lo, v11, v3
	v_add3_u32 v4, v4, v8, v7
	s_delay_alu instid0(VALU_DEP_1) | instskip(NEXT) | instid1(VALU_DEP_1)
	v_sub_nc_u32_e32 v7, v9, v4
	v_subrev_co_ci_u32_e64 v7, s0, s25, v7, vcc_lo
	v_add_co_u32 v8, s0, v5, 2
	s_delay_alu instid0(VALU_DEP_1) | instskip(SKIP_3) | instid1(VALU_DEP_3)
	v_add_co_ci_u32_e64 v11, s0, 0, v6, s0
	v_sub_co_u32 v12, s0, v3, s24
	v_sub_co_ci_u32_e32 v4, vcc_lo, v9, v4, vcc_lo
	v_subrev_co_ci_u32_e64 v7, s0, 0, v7, s0
	v_cmp_le_u32_e32 vcc_lo, s24, v12
	s_delay_alu instid0(VALU_DEP_3) | instskip(SKIP_1) | instid1(VALU_DEP_4)
	v_cmp_eq_u32_e64 s0, s25, v4
	v_cndmask_b32_e64 v9, 0, -1, vcc_lo
	v_cmp_le_u32_e32 vcc_lo, s25, v7
	v_cndmask_b32_e64 v12, 0, -1, vcc_lo
	v_cmp_le_u32_e32 vcc_lo, s24, v3
	;; [unrolled: 2-line block ×3, first 2 shown]
	v_cndmask_b32_e64 v13, 0, -1, vcc_lo
	v_cmp_eq_u32_e32 vcc_lo, s25, v7
	s_delay_alu instid0(VALU_DEP_2) | instskip(SKIP_3) | instid1(VALU_DEP_3)
	v_cndmask_b32_e64 v3, v13, v3, s0
	v_cndmask_b32_e32 v7, v12, v9, vcc_lo
	v_add_co_u32 v9, vcc_lo, v5, 1
	v_add_co_ci_u32_e32 v12, vcc_lo, 0, v6, vcc_lo
	v_cmp_ne_u32_e32 vcc_lo, 0, v7
	s_delay_alu instid0(VALU_DEP_2) | instskip(SKIP_2) | instid1(VALU_DEP_3)
	v_dual_cndmask_b32 v4, v12, v11 :: v_dual_cndmask_b32 v7, v9, v8
	v_cmp_ne_u32_e32 vcc_lo, 0, v3
	v_xor_b32_e32 v3, s22, v10
	v_dual_cndmask_b32 v5, v5, v7 :: v_dual_cndmask_b32 v4, v6, v4
	v_xor_b32_e32 v6, s23, v10
	s_delay_alu instid0(VALU_DEP_2) | instskip(NEXT) | instid1(VALU_DEP_2)
	v_xor_b32_e32 v5, v5, v3
	v_xor_b32_e32 v7, v4, v6
	s_delay_alu instid0(VALU_DEP_2) | instskip(NEXT) | instid1(VALU_DEP_2)
	v_sub_co_u32 v4, vcc_lo, v5, v3
	v_sub_co_ci_u32_e32 v5, vcc_lo, v7, v6, vcc_lo
.LBB25_5:                               ;   in Loop: Header=BB25_3 Depth=1
	s_and_not1_saveexec_b32 s0, s13
; %bb.6:                                ;   in Loop: Header=BB25_3 Depth=1
	v_mul_hi_u32 v3, v0, v18
	s_delay_alu instid0(VALU_DEP_1) | instskip(NEXT) | instid1(VALU_DEP_1)
	v_mul_lo_u32 v4, v3, s30
	v_sub_nc_u32_e32 v4, v0, v4
	s_delay_alu instid0(VALU_DEP_1) | instskip(SKIP_1) | instid1(VALU_DEP_2)
	v_subrev_nc_u32_e32 v6, s30, v4
	v_cmp_le_u32_e32 vcc_lo, s30, v4
	v_dual_cndmask_b32 v4, v4, v6 :: v_dual_add_nc_u32 v5, 1, v3
	s_delay_alu instid0(VALU_DEP_1) | instskip(NEXT) | instid1(VALU_DEP_2)
	v_cndmask_b32_e32 v3, v3, v5, vcc_lo
	v_cmp_le_u32_e32 vcc_lo, s30, v4
	s_delay_alu instid0(VALU_DEP_2) | instskip(NEXT) | instid1(VALU_DEP_1)
	v_add_nc_u32_e32 v5, 1, v3
	v_dual_cndmask_b32 v4, v3, v5 :: v_dual_mov_b32 v5, v2
; %bb.7:                                ;   in Loop: Header=BB25_3 Depth=1
	s_or_b32 exec_lo, exec_lo, s0
	s_delay_alu instid0(VALU_DEP_1) | instskip(SKIP_1) | instid1(VALU_DEP_1)
	v_or_b32_e32 v3, s35, v5
                                        ; implicit-def: $vgpr8_vgpr9
	s_mov_b32 s0, exec_lo
	v_cmpx_ne_u64_e32 0, v[2:3]
	s_xor_b32 s13, exec_lo, s0
	s_cbranch_execz .LBB25_9
; %bb.8:                                ;   in Loop: Header=BB25_3 Depth=1
	s_add_u32 s24, s8, s35
	s_mov_b32 s22, s35
	s_mov_b32 s23, s35
	s_addc_u32 s25, s35, s35
	s_delay_alu instid0(SALU_CYCLE_1) | instskip(NEXT) | instid1(SALU_CYCLE_1)
	s_xor_b64 s[24:25], s[24:25], s[22:23]
	v_cvt_f32_u32_e32 v3, s24
	v_cvt_f32_u32_e32 v6, s25
	s_sub_u32 s0, 0, s24
	s_subb_u32 s16, 0, s25
	s_delay_alu instid0(VALU_DEP_1) | instskip(NEXT) | instid1(VALU_DEP_1)
	v_fmac_f32_e32 v3, 0x4f800000, v6
	v_rcp_f32_e32 v3, v3
	s_waitcnt_depctr 0xfff
	v_mul_f32_e32 v3, 0x5f7ffffc, v3
	s_delay_alu instid0(VALU_DEP_1) | instskip(NEXT) | instid1(VALU_DEP_1)
	v_mul_f32_e32 v6, 0x2f800000, v3
	v_trunc_f32_e32 v6, v6
	s_delay_alu instid0(VALU_DEP_1) | instskip(SKIP_1) | instid1(VALU_DEP_2)
	v_fmac_f32_e32 v3, 0xcf800000, v6
	v_cvt_u32_f32_e32 v6, v6
	v_cvt_u32_f32_e32 v3, v3
	s_delay_alu instid0(VALU_DEP_2) | instskip(NEXT) | instid1(VALU_DEP_2)
	v_mul_lo_u32 v7, s0, v6
	v_mul_hi_u32 v8, s0, v3
	v_mul_lo_u32 v9, s16, v3
	s_delay_alu instid0(VALU_DEP_2) | instskip(SKIP_1) | instid1(VALU_DEP_2)
	v_add_nc_u32_e32 v7, v8, v7
	v_mul_lo_u32 v8, s0, v3
	v_add_nc_u32_e32 v7, v7, v9
	s_delay_alu instid0(VALU_DEP_2) | instskip(NEXT) | instid1(VALU_DEP_2)
	v_mul_hi_u32 v9, v3, v8
	v_mul_lo_u32 v10, v3, v7
	v_mul_hi_u32 v11, v3, v7
	v_mul_hi_u32 v12, v6, v8
	v_mul_lo_u32 v8, v6, v8
	v_mul_hi_u32 v13, v6, v7
	v_mul_lo_u32 v7, v6, v7
	v_add_co_u32 v9, vcc_lo, v9, v10
	v_add_co_ci_u32_e32 v10, vcc_lo, 0, v11, vcc_lo
	s_delay_alu instid0(VALU_DEP_2) | instskip(NEXT) | instid1(VALU_DEP_2)
	v_add_co_u32 v8, vcc_lo, v9, v8
	v_add_co_ci_u32_e32 v8, vcc_lo, v10, v12, vcc_lo
	v_add_co_ci_u32_e32 v9, vcc_lo, 0, v13, vcc_lo
	v_ashrrev_i32_e32 v12, 31, v5
	s_delay_alu instid0(VALU_DEP_3) | instskip(NEXT) | instid1(VALU_DEP_3)
	v_add_co_u32 v7, vcc_lo, v8, v7
	v_add_co_ci_u32_e32 v8, vcc_lo, 0, v9, vcc_lo
	s_delay_alu instid0(VALU_DEP_2) | instskip(NEXT) | instid1(VALU_DEP_2)
	v_add_co_u32 v3, vcc_lo, v3, v7
	v_add_co_ci_u32_e32 v6, vcc_lo, v6, v8, vcc_lo
	s_delay_alu instid0(VALU_DEP_2) | instskip(SKIP_1) | instid1(VALU_DEP_3)
	v_mul_hi_u32 v7, s0, v3
	v_mul_lo_u32 v9, s16, v3
	v_mul_lo_u32 v8, s0, v6
	s_delay_alu instid0(VALU_DEP_1) | instskip(SKIP_1) | instid1(VALU_DEP_2)
	v_add_nc_u32_e32 v7, v7, v8
	v_mul_lo_u32 v8, s0, v3
	v_add_nc_u32_e32 v7, v7, v9
	s_delay_alu instid0(VALU_DEP_2) | instskip(NEXT) | instid1(VALU_DEP_2)
	v_mul_hi_u32 v9, v3, v8
	v_mul_lo_u32 v10, v3, v7
	v_mul_hi_u32 v11, v3, v7
	v_mul_hi_u32 v13, v6, v8
	v_mul_lo_u32 v8, v6, v8
	v_mul_hi_u32 v14, v6, v7
	v_mul_lo_u32 v7, v6, v7
	v_add_co_u32 v9, vcc_lo, v9, v10
	v_add_co_ci_u32_e32 v10, vcc_lo, 0, v11, vcc_lo
	s_delay_alu instid0(VALU_DEP_2) | instskip(NEXT) | instid1(VALU_DEP_2)
	v_add_co_u32 v8, vcc_lo, v9, v8
	v_add_co_ci_u32_e32 v8, vcc_lo, v10, v13, vcc_lo
	v_add_co_ci_u32_e32 v9, vcc_lo, 0, v14, vcc_lo
	v_add_co_u32 v10, vcc_lo, v4, v12
	v_add_co_ci_u32_e32 v5, vcc_lo, v5, v12, vcc_lo
	s_delay_alu instid0(VALU_DEP_4) | instskip(NEXT) | instid1(VALU_DEP_4)
	v_add_co_u32 v7, vcc_lo, v8, v7
	v_add_co_ci_u32_e32 v8, vcc_lo, 0, v9, vcc_lo
	s_delay_alu instid0(VALU_DEP_4) | instskip(NEXT) | instid1(VALU_DEP_3)
	v_xor_b32_e32 v11, v10, v12
	v_add_co_u32 v3, vcc_lo, v3, v7
	s_delay_alu instid0(VALU_DEP_3) | instskip(SKIP_1) | instid1(VALU_DEP_3)
	v_add_co_ci_u32_e32 v13, vcc_lo, v6, v8, vcc_lo
	v_xor_b32_e32 v14, v5, v12
	v_mul_hi_u32 v15, v11, v3
	s_delay_alu instid0(VALU_DEP_3) | instskip(NEXT) | instid1(VALU_DEP_3)
	v_mad_u64_u32 v[5:6], null, v11, v13, 0
	v_mad_u64_u32 v[7:8], null, v14, v3, 0
	;; [unrolled: 1-line block ×3, first 2 shown]
	s_delay_alu instid0(VALU_DEP_3) | instskip(NEXT) | instid1(VALU_DEP_4)
	v_add_co_u32 v3, vcc_lo, v15, v5
	v_add_co_ci_u32_e32 v5, vcc_lo, 0, v6, vcc_lo
	s_delay_alu instid0(VALU_DEP_2) | instskip(NEXT) | instid1(VALU_DEP_2)
	v_add_co_u32 v3, vcc_lo, v3, v7
	v_add_co_ci_u32_e32 v3, vcc_lo, v5, v8, vcc_lo
	v_add_co_ci_u32_e32 v5, vcc_lo, 0, v10, vcc_lo
	s_delay_alu instid0(VALU_DEP_2) | instskip(NEXT) | instid1(VALU_DEP_2)
	v_add_co_u32 v3, vcc_lo, v3, v9
	v_add_co_ci_u32_e32 v7, vcc_lo, 0, v5, vcc_lo
	s_delay_alu instid0(VALU_DEP_2) | instskip(SKIP_1) | instid1(VALU_DEP_3)
	v_mul_lo_u32 v8, s25, v3
	v_mad_u64_u32 v[5:6], null, s24, v3, 0
	v_mul_lo_u32 v9, s24, v7
	s_delay_alu instid0(VALU_DEP_2) | instskip(NEXT) | instid1(VALU_DEP_2)
	v_sub_co_u32 v5, vcc_lo, v11, v5
	v_add3_u32 v6, v6, v9, v8
	s_delay_alu instid0(VALU_DEP_1) | instskip(NEXT) | instid1(VALU_DEP_1)
	v_sub_nc_u32_e32 v8, v14, v6
	v_subrev_co_ci_u32_e64 v8, s0, s25, v8, vcc_lo
	v_add_co_u32 v9, s0, v3, 2
	s_delay_alu instid0(VALU_DEP_1) | instskip(SKIP_3) | instid1(VALU_DEP_3)
	v_add_co_ci_u32_e64 v10, s0, 0, v7, s0
	v_sub_co_u32 v11, s0, v5, s24
	v_sub_co_ci_u32_e32 v6, vcc_lo, v14, v6, vcc_lo
	v_subrev_co_ci_u32_e64 v8, s0, 0, v8, s0
	v_cmp_le_u32_e32 vcc_lo, s24, v11
	s_delay_alu instid0(VALU_DEP_3) | instskip(SKIP_1) | instid1(VALU_DEP_4)
	v_cmp_eq_u32_e64 s0, s25, v6
	v_cndmask_b32_e64 v11, 0, -1, vcc_lo
	v_cmp_le_u32_e32 vcc_lo, s25, v8
	v_cndmask_b32_e64 v13, 0, -1, vcc_lo
	v_cmp_le_u32_e32 vcc_lo, s24, v5
	;; [unrolled: 2-line block ×3, first 2 shown]
	v_cndmask_b32_e64 v14, 0, -1, vcc_lo
	v_cmp_eq_u32_e32 vcc_lo, s25, v8
	s_delay_alu instid0(VALU_DEP_2) | instskip(SKIP_3) | instid1(VALU_DEP_3)
	v_cndmask_b32_e64 v5, v14, v5, s0
	v_cndmask_b32_e32 v8, v13, v11, vcc_lo
	v_add_co_u32 v11, vcc_lo, v3, 1
	v_add_co_ci_u32_e32 v13, vcc_lo, 0, v7, vcc_lo
	v_cmp_ne_u32_e32 vcc_lo, 0, v8
	s_delay_alu instid0(VALU_DEP_3) | instskip(NEXT) | instid1(VALU_DEP_3)
	v_cndmask_b32_e32 v8, v11, v9, vcc_lo
	v_cndmask_b32_e32 v6, v13, v10, vcc_lo
	v_cmp_ne_u32_e32 vcc_lo, 0, v5
	v_xor_b32_e32 v5, s22, v12
	s_delay_alu instid0(VALU_DEP_4) | instskip(NEXT) | instid1(VALU_DEP_4)
	v_cndmask_b32_e32 v3, v3, v8, vcc_lo
	v_cndmask_b32_e32 v6, v7, v6, vcc_lo
	v_xor_b32_e32 v7, s23, v12
	s_delay_alu instid0(VALU_DEP_3) | instskip(NEXT) | instid1(VALU_DEP_2)
	v_xor_b32_e32 v3, v3, v5
	v_xor_b32_e32 v6, v6, v7
	s_delay_alu instid0(VALU_DEP_2) | instskip(NEXT) | instid1(VALU_DEP_2)
	v_sub_co_u32 v8, vcc_lo, v3, v5
	v_sub_co_ci_u32_e32 v9, vcc_lo, v6, v7, vcc_lo
.LBB25_9:                               ;   in Loop: Header=BB25_3 Depth=1
	s_and_not1_saveexec_b32 s0, s13
	s_cbranch_execz .LBB25_11
; %bb.10:                               ;   in Loop: Header=BB25_3 Depth=1
	v_cvt_f32_u32_e32 v3, s8
	s_sub_i32 s13, 0, s8
	v_mov_b32_e32 v9, v2
	s_delay_alu instid0(VALU_DEP_2) | instskip(SKIP_2) | instid1(VALU_DEP_1)
	v_rcp_iflag_f32_e32 v3, v3
	s_waitcnt_depctr 0xfff
	v_mul_f32_e32 v3, 0x4f7ffffe, v3
	v_cvt_u32_f32_e32 v3, v3
	s_delay_alu instid0(VALU_DEP_1) | instskip(NEXT) | instid1(VALU_DEP_1)
	v_mul_lo_u32 v5, s13, v3
	v_mul_hi_u32 v5, v3, v5
	s_delay_alu instid0(VALU_DEP_1) | instskip(NEXT) | instid1(VALU_DEP_1)
	v_add_nc_u32_e32 v3, v3, v5
	v_mul_hi_u32 v3, v4, v3
	s_delay_alu instid0(VALU_DEP_1) | instskip(SKIP_1) | instid1(VALU_DEP_2)
	v_mul_lo_u32 v5, v3, s8
	v_add_nc_u32_e32 v6, 1, v3
	v_sub_nc_u32_e32 v5, v4, v5
	s_delay_alu instid0(VALU_DEP_1) | instskip(SKIP_1) | instid1(VALU_DEP_4)
	v_cmp_le_u32_e32 vcc_lo, s8, v5
	v_subrev_nc_u32_e32 v7, s8, v5
	v_cndmask_b32_e32 v3, v3, v6, vcc_lo
	s_delay_alu instid0(VALU_DEP_1) | instskip(NEXT) | instid1(VALU_DEP_3)
	v_add_nc_u32_e32 v6, 1, v3
	v_cndmask_b32_e32 v5, v5, v7, vcc_lo
	s_delay_alu instid0(VALU_DEP_1) | instskip(NEXT) | instid1(VALU_DEP_3)
	v_cmp_le_u32_e32 vcc_lo, s8, v5
	v_cndmask_b32_e32 v8, v3, v6, vcc_lo
.LBB25_11:                              ;   in Loop: Header=BB25_3 Depth=1
	s_or_b32 exec_lo, exec_lo, s0
	v_mad_u64_u32 v[5:6], null, v4, s30, 0
	s_delay_alu instid0(VALU_DEP_2) | instskip(SKIP_1) | instid1(VALU_DEP_2)
	v_mad_u64_u32 v[6:7], null, v8, s8, 0
	s_and_not1_b32 vcc_lo, exec_lo, s1
	v_sub_co_u32 v19, null, v0, v5
	s_delay_alu instid0(VALU_DEP_2) | instskip(NEXT) | instid1(VALU_DEP_2)
	v_sub_co_u32 v20, null, v4, v6
	v_mul_lo_u32 v3, s18, v19
	v_mul_lo_u32 v10, s20, v19
	s_delay_alu instid0(VALU_DEP_2) | instskip(NEXT) | instid1(VALU_DEP_2)
	v_mad_u64_u32 v[6:7], null, s10, v20, v[3:4]
	v_mad_u64_u32 v[4:5], null, s12, v20, v[10:11]
	s_cbranch_vccnz .LBB25_40
; %bb.12:                               ;   in Loop: Header=BB25_3 Depth=1
	s_and_not1_b32 vcc_lo, exec_lo, s41
	s_mov_b32 s13, 1
	s_cbranch_vccnz .LBB25_20
; %bb.13:                               ;   in Loop: Header=BB25_3 Depth=1
	v_dual_mov_b32 v11, v9 :: v_dual_mov_b32 v10, v8
	s_mov_b32 s16, s38
.LBB25_14:                              ;   Parent Loop BB25_3 Depth=1
                                        ; =>  This Inner Loop Header: Depth=2
	s_delay_alu instid0(SALU_CYCLE_1)
	s_lshl_b64 s[24:25], s[16:17], 2
                                        ; implicit-def: $vgpr8_vgpr9
	s_mov_b32 s26, exec_lo
	s_add_u32 s22, s31, s24
	s_addc_u32 s23, s33, s25
	s_load_b32 s43, s[22:23], 0x8
	s_waitcnt lgkmcnt(0)
	s_ashr_i32 s0, s43, 31
	s_delay_alu instid0(SALU_CYCLE_1) | instskip(NEXT) | instid1(VALU_DEP_1)
	v_or_b32_e32 v3, s0, v11
	v_cmpx_ne_u64_e32 0, v[2:3]
	s_xor_b32 s44, exec_lo, s26
	s_cbranch_execz .LBB25_16
; %bb.15:                               ;   in Loop: Header=BB25_14 Depth=2
	s_add_u32 s28, s43, s0
	s_mov_b32 s26, s0
	s_mov_b32 s27, s0
	s_addc_u32 s29, s0, s0
	s_delay_alu instid0(SALU_CYCLE_1) | instskip(NEXT) | instid1(SALU_CYCLE_1)
	s_xor_b64 s[28:29], s[28:29], s[26:27]
	v_cvt_f32_u32_e32 v3, s28
	v_cvt_f32_u32_e32 v5, s29
	s_sub_u32 s0, 0, s28
	s_subb_u32 s45, 0, s29
	s_delay_alu instid0(VALU_DEP_1) | instskip(NEXT) | instid1(VALU_DEP_1)
	v_fmac_f32_e32 v3, 0x4f800000, v5
	v_rcp_f32_e32 v3, v3
	s_waitcnt_depctr 0xfff
	v_mul_f32_e32 v3, 0x5f7ffffc, v3
	s_delay_alu instid0(VALU_DEP_1) | instskip(NEXT) | instid1(VALU_DEP_1)
	v_mul_f32_e32 v5, 0x2f800000, v3
	v_trunc_f32_e32 v5, v5
	s_delay_alu instid0(VALU_DEP_1) | instskip(SKIP_1) | instid1(VALU_DEP_2)
	v_fmac_f32_e32 v3, 0xcf800000, v5
	v_cvt_u32_f32_e32 v5, v5
	v_cvt_u32_f32_e32 v3, v3
	s_delay_alu instid0(VALU_DEP_2) | instskip(NEXT) | instid1(VALU_DEP_2)
	v_mul_lo_u32 v7, s0, v5
	v_mul_hi_u32 v8, s0, v3
	v_mul_lo_u32 v9, s45, v3
	s_delay_alu instid0(VALU_DEP_2) | instskip(SKIP_1) | instid1(VALU_DEP_2)
	v_add_nc_u32_e32 v7, v8, v7
	v_mul_lo_u32 v8, s0, v3
	v_add_nc_u32_e32 v7, v7, v9
	s_delay_alu instid0(VALU_DEP_2) | instskip(NEXT) | instid1(VALU_DEP_2)
	v_mul_hi_u32 v9, v3, v8
	v_mul_lo_u32 v12, v3, v7
	v_mul_hi_u32 v13, v3, v7
	v_mul_hi_u32 v14, v5, v8
	v_mul_lo_u32 v8, v5, v8
	v_mul_hi_u32 v15, v5, v7
	v_mul_lo_u32 v7, v5, v7
	v_add_co_u32 v9, vcc_lo, v9, v12
	v_add_co_ci_u32_e32 v12, vcc_lo, 0, v13, vcc_lo
	s_delay_alu instid0(VALU_DEP_2) | instskip(NEXT) | instid1(VALU_DEP_2)
	v_add_co_u32 v8, vcc_lo, v9, v8
	v_add_co_ci_u32_e32 v8, vcc_lo, v12, v14, vcc_lo
	v_add_co_ci_u32_e32 v9, vcc_lo, 0, v15, vcc_lo
	v_ashrrev_i32_e32 v15, 31, v11
	s_delay_alu instid0(VALU_DEP_3) | instskip(NEXT) | instid1(VALU_DEP_3)
	v_add_co_u32 v7, vcc_lo, v8, v7
	v_add_co_ci_u32_e32 v8, vcc_lo, 0, v9, vcc_lo
	s_delay_alu instid0(VALU_DEP_2) | instskip(NEXT) | instid1(VALU_DEP_2)
	v_add_co_u32 v3, vcc_lo, v3, v7
	v_add_co_ci_u32_e32 v5, vcc_lo, v5, v8, vcc_lo
	s_delay_alu instid0(VALU_DEP_2) | instskip(SKIP_1) | instid1(VALU_DEP_3)
	v_mul_hi_u32 v7, s0, v3
	v_mul_lo_u32 v9, s45, v3
	v_mul_lo_u32 v8, s0, v5
	s_delay_alu instid0(VALU_DEP_1) | instskip(SKIP_1) | instid1(VALU_DEP_2)
	v_add_nc_u32_e32 v7, v7, v8
	v_mul_lo_u32 v8, s0, v3
	v_add_nc_u32_e32 v7, v7, v9
	s_delay_alu instid0(VALU_DEP_2) | instskip(NEXT) | instid1(VALU_DEP_2)
	v_mul_hi_u32 v9, v3, v8
	v_mul_lo_u32 v12, v3, v7
	v_mul_hi_u32 v13, v3, v7
	v_mul_hi_u32 v14, v5, v8
	v_mul_lo_u32 v8, v5, v8
	v_mul_hi_u32 v16, v5, v7
	v_mul_lo_u32 v7, v5, v7
	v_add_co_u32 v9, vcc_lo, v9, v12
	v_add_co_ci_u32_e32 v12, vcc_lo, 0, v13, vcc_lo
	s_delay_alu instid0(VALU_DEP_2) | instskip(NEXT) | instid1(VALU_DEP_2)
	v_add_co_u32 v8, vcc_lo, v9, v8
	v_add_co_ci_u32_e32 v8, vcc_lo, v12, v14, vcc_lo
	v_add_co_ci_u32_e32 v9, vcc_lo, 0, v16, vcc_lo
	v_add_co_u32 v12, vcc_lo, v10, v15
	v_add_co_ci_u32_e32 v11, vcc_lo, v11, v15, vcc_lo
	s_delay_alu instid0(VALU_DEP_4) | instskip(NEXT) | instid1(VALU_DEP_4)
	v_add_co_u32 v7, vcc_lo, v8, v7
	v_add_co_ci_u32_e32 v8, vcc_lo, 0, v9, vcc_lo
	s_delay_alu instid0(VALU_DEP_4) | instskip(NEXT) | instid1(VALU_DEP_3)
	v_xor_b32_e32 v9, v12, v15
	v_add_co_u32 v3, vcc_lo, v3, v7
	s_delay_alu instid0(VALU_DEP_3) | instskip(SKIP_1) | instid1(VALU_DEP_3)
	v_add_co_ci_u32_e32 v5, vcc_lo, v5, v8, vcc_lo
	v_xor_b32_e32 v16, v11, v15
	v_mul_hi_u32 v17, v9, v3
	s_delay_alu instid0(VALU_DEP_3) | instskip(NEXT) | instid1(VALU_DEP_3)
	v_mad_u64_u32 v[7:8], null, v9, v5, 0
	v_mad_u64_u32 v[11:12], null, v16, v3, 0
	;; [unrolled: 1-line block ×3, first 2 shown]
	s_delay_alu instid0(VALU_DEP_3) | instskip(NEXT) | instid1(VALU_DEP_4)
	v_add_co_u32 v3, vcc_lo, v17, v7
	v_add_co_ci_u32_e32 v5, vcc_lo, 0, v8, vcc_lo
	s_delay_alu instid0(VALU_DEP_2) | instskip(NEXT) | instid1(VALU_DEP_2)
	v_add_co_u32 v3, vcc_lo, v3, v11
	v_add_co_ci_u32_e32 v3, vcc_lo, v5, v12, vcc_lo
	v_add_co_ci_u32_e32 v5, vcc_lo, 0, v14, vcc_lo
	s_delay_alu instid0(VALU_DEP_2) | instskip(NEXT) | instid1(VALU_DEP_2)
	v_add_co_u32 v3, vcc_lo, v3, v13
	v_add_co_ci_u32_e32 v5, vcc_lo, 0, v5, vcc_lo
	s_delay_alu instid0(VALU_DEP_2) | instskip(SKIP_1) | instid1(VALU_DEP_3)
	v_mul_lo_u32 v11, s29, v3
	v_mad_u64_u32 v[7:8], null, s28, v3, 0
	v_mul_lo_u32 v12, s28, v5
	s_delay_alu instid0(VALU_DEP_2) | instskip(NEXT) | instid1(VALU_DEP_2)
	v_sub_co_u32 v7, vcc_lo, v9, v7
	v_add3_u32 v8, v8, v12, v11
	s_delay_alu instid0(VALU_DEP_1) | instskip(NEXT) | instid1(VALU_DEP_1)
	v_sub_nc_u32_e32 v11, v16, v8
	v_subrev_co_ci_u32_e64 v9, s0, s29, v11, vcc_lo
	v_add_co_u32 v11, s0, v3, 2
	s_delay_alu instid0(VALU_DEP_1) | instskip(SKIP_3) | instid1(VALU_DEP_3)
	v_add_co_ci_u32_e64 v12, s0, 0, v5, s0
	v_sub_co_u32 v13, s0, v7, s28
	v_sub_co_ci_u32_e32 v8, vcc_lo, v16, v8, vcc_lo
	v_subrev_co_ci_u32_e64 v9, s0, 0, v9, s0
	v_cmp_le_u32_e32 vcc_lo, s28, v13
	s_delay_alu instid0(VALU_DEP_3) | instskip(SKIP_1) | instid1(VALU_DEP_4)
	v_cmp_eq_u32_e64 s0, s29, v8
	v_cndmask_b32_e64 v13, 0, -1, vcc_lo
	v_cmp_le_u32_e32 vcc_lo, s29, v9
	v_cndmask_b32_e64 v14, 0, -1, vcc_lo
	v_cmp_le_u32_e32 vcc_lo, s28, v7
	;; [unrolled: 2-line block ×3, first 2 shown]
	v_cndmask_b32_e64 v16, 0, -1, vcc_lo
	v_cmp_eq_u32_e32 vcc_lo, s29, v9
	s_delay_alu instid0(VALU_DEP_2) | instskip(SKIP_3) | instid1(VALU_DEP_3)
	v_cndmask_b32_e64 v7, v16, v7, s0
	v_cndmask_b32_e32 v9, v14, v13, vcc_lo
	v_add_co_u32 v13, vcc_lo, v3, 1
	v_add_co_ci_u32_e32 v14, vcc_lo, 0, v5, vcc_lo
	v_cmp_ne_u32_e32 vcc_lo, 0, v9
	s_delay_alu instid0(VALU_DEP_2) | instskip(SKIP_2) | instid1(VALU_DEP_3)
	v_dual_cndmask_b32 v8, v14, v12 :: v_dual_cndmask_b32 v9, v13, v11
	v_cmp_ne_u32_e32 vcc_lo, 0, v7
	v_xor_b32_e32 v7, s26, v15
	v_cndmask_b32_e32 v3, v3, v9, vcc_lo
	s_delay_alu instid0(VALU_DEP_4) | instskip(SKIP_1) | instid1(VALU_DEP_3)
	v_cndmask_b32_e32 v5, v5, v8, vcc_lo
	v_xor_b32_e32 v9, s27, v15
	v_xor_b32_e32 v3, v3, v7
	s_delay_alu instid0(VALU_DEP_2) | instskip(NEXT) | instid1(VALU_DEP_2)
	v_xor_b32_e32 v5, v5, v9
	v_sub_co_u32 v8, vcc_lo, v3, v7
	s_delay_alu instid0(VALU_DEP_2)
	v_sub_co_ci_u32_e32 v9, vcc_lo, v5, v9, vcc_lo
.LBB25_16:                              ;   in Loop: Header=BB25_14 Depth=2
	s_and_not1_saveexec_b32 s0, s44
	s_cbranch_execz .LBB25_18
; %bb.17:                               ;   in Loop: Header=BB25_14 Depth=2
	v_cvt_f32_u32_e32 v3, s43
	s_sub_i32 s26, 0, s43
	v_mov_b32_e32 v9, v2
	s_delay_alu instid0(VALU_DEP_2) | instskip(SKIP_2) | instid1(VALU_DEP_1)
	v_rcp_iflag_f32_e32 v3, v3
	s_waitcnt_depctr 0xfff
	v_mul_f32_e32 v3, 0x4f7ffffe, v3
	v_cvt_u32_f32_e32 v3, v3
	s_delay_alu instid0(VALU_DEP_1) | instskip(NEXT) | instid1(VALU_DEP_1)
	v_mul_lo_u32 v5, s26, v3
	v_mul_hi_u32 v5, v3, v5
	s_delay_alu instid0(VALU_DEP_1) | instskip(NEXT) | instid1(VALU_DEP_1)
	v_add_nc_u32_e32 v3, v3, v5
	v_mul_hi_u32 v3, v10, v3
	s_delay_alu instid0(VALU_DEP_1) | instskip(SKIP_1) | instid1(VALU_DEP_2)
	v_mul_lo_u32 v5, v3, s43
	v_add_nc_u32_e32 v7, 1, v3
	v_sub_nc_u32_e32 v5, v10, v5
	s_delay_alu instid0(VALU_DEP_1) | instskip(SKIP_1) | instid1(VALU_DEP_4)
	v_cmp_le_u32_e32 vcc_lo, s43, v5
	v_subrev_nc_u32_e32 v8, s43, v5
	v_cndmask_b32_e32 v3, v3, v7, vcc_lo
	s_delay_alu instid0(VALU_DEP_1) | instskip(NEXT) | instid1(VALU_DEP_3)
	v_add_nc_u32_e32 v7, 1, v3
	v_cndmask_b32_e32 v5, v5, v8, vcc_lo
	s_delay_alu instid0(VALU_DEP_1) | instskip(NEXT) | instid1(VALU_DEP_3)
	v_cmp_le_u32_e32 vcc_lo, s43, v5
	v_cndmask_b32_e32 v8, v3, v7, vcc_lo
.LBB25_18:                              ;   in Loop: Header=BB25_14 Depth=2
	s_or_b32 exec_lo, exec_lo, s0
	s_add_u32 s24, s36, s24
	s_addc_u32 s25, s37, s25
	s_clause 0x1
	s_load_b32 s0, s[22:23], 0x6c
	s_load_b32 s22, s[24:25], 0x0
	v_mul_lo_u32 v3, v8, s43
	s_add_i32 s16, s16, -1
	s_delay_alu instid0(VALU_DEP_1) | instskip(SKIP_1) | instid1(VALU_DEP_1)
	v_sub_nc_u32_e32 v3, v10, v3
	s_waitcnt lgkmcnt(0)
	v_mad_u64_u32 v[10:11], null, s0, v3, v[6:7]
	v_mad_u64_u32 v[5:6], null, s22, v3, v[4:5]
	s_xor_b32 s0, s39, s13
	s_add_i32 s13, s13, 1
	s_cmp_lg_u32 s0, 2
	s_delay_alu instid0(VALU_DEP_2) | instskip(NEXT) | instid1(VALU_DEP_2)
	v_mov_b32_e32 v6, v10
	v_mov_b32_e32 v4, v5
	s_cbranch_scc0 .LBB25_21
; %bb.19:                               ;   in Loop: Header=BB25_14 Depth=2
	v_dual_mov_b32 v11, v9 :: v_dual_mov_b32 v10, v8
	s_branch .LBB25_14
.LBB25_20:                              ;   in Loop: Header=BB25_3 Depth=1
	s_mov_b32 s16, s38
.LBB25_21:                              ;   in Loop: Header=BB25_3 Depth=1
	s_and_b32 vcc_lo, exec_lo, s42
	s_cbranch_vccz .LBB25_40
.LBB25_22:                              ;   Parent Loop BB25_3 Depth=1
                                        ; =>  This Inner Loop Header: Depth=2
	s_lshl_b64 s[22:23], s[16:17], 2
                                        ; implicit-def: $vgpr10_vgpr11
	s_mov_b32 s26, exec_lo
	s_add_u32 s24, s31, s22
	s_addc_u32 s25, s33, s23
	s_load_b32 s13, s[24:25], 0x8
	s_waitcnt lgkmcnt(0)
	s_ashr_i32 s0, s13, 31
	s_delay_alu instid0(SALU_CYCLE_1) | instskip(NEXT) | instid1(VALU_DEP_1)
	v_or_b32_e32 v3, s0, v9
	v_cmpx_ne_u64_e32 0, v[2:3]
	s_xor_b32 s43, exec_lo, s26
	s_cbranch_execz .LBB25_24
; %bb.23:                               ;   in Loop: Header=BB25_22 Depth=2
	s_add_u32 s28, s13, s0
	s_mov_b32 s26, s0
	s_mov_b32 s27, s0
	s_addc_u32 s29, s0, s0
	s_delay_alu instid0(SALU_CYCLE_1) | instskip(NEXT) | instid1(SALU_CYCLE_1)
	s_xor_b64 s[28:29], s[28:29], s[26:27]
	v_cvt_f32_u32_e32 v3, s28
	v_cvt_f32_u32_e32 v5, s29
	s_sub_u32 s0, 0, s28
	s_subb_u32 s44, 0, s29
	s_delay_alu instid0(VALU_DEP_1) | instskip(NEXT) | instid1(VALU_DEP_1)
	v_fmac_f32_e32 v3, 0x4f800000, v5
	v_rcp_f32_e32 v3, v3
	s_waitcnt_depctr 0xfff
	v_mul_f32_e32 v3, 0x5f7ffffc, v3
	s_delay_alu instid0(VALU_DEP_1) | instskip(NEXT) | instid1(VALU_DEP_1)
	v_mul_f32_e32 v5, 0x2f800000, v3
	v_trunc_f32_e32 v5, v5
	s_delay_alu instid0(VALU_DEP_1) | instskip(SKIP_1) | instid1(VALU_DEP_2)
	v_fmac_f32_e32 v3, 0xcf800000, v5
	v_cvt_u32_f32_e32 v5, v5
	v_cvt_u32_f32_e32 v3, v3
	s_delay_alu instid0(VALU_DEP_2) | instskip(NEXT) | instid1(VALU_DEP_2)
	v_mul_lo_u32 v7, s0, v5
	v_mul_hi_u32 v10, s0, v3
	v_mul_lo_u32 v11, s44, v3
	s_delay_alu instid0(VALU_DEP_2) | instskip(SKIP_1) | instid1(VALU_DEP_2)
	v_add_nc_u32_e32 v7, v10, v7
	v_mul_lo_u32 v10, s0, v3
	v_add_nc_u32_e32 v7, v7, v11
	s_delay_alu instid0(VALU_DEP_2) | instskip(NEXT) | instid1(VALU_DEP_2)
	v_mul_hi_u32 v11, v3, v10
	v_mul_lo_u32 v12, v3, v7
	v_mul_hi_u32 v13, v3, v7
	v_mul_hi_u32 v14, v5, v10
	v_mul_lo_u32 v10, v5, v10
	v_mul_hi_u32 v15, v5, v7
	v_mul_lo_u32 v7, v5, v7
	v_add_co_u32 v11, vcc_lo, v11, v12
	v_add_co_ci_u32_e32 v12, vcc_lo, 0, v13, vcc_lo
	s_delay_alu instid0(VALU_DEP_2) | instskip(NEXT) | instid1(VALU_DEP_2)
	v_add_co_u32 v10, vcc_lo, v11, v10
	v_add_co_ci_u32_e32 v10, vcc_lo, v12, v14, vcc_lo
	v_add_co_ci_u32_e32 v11, vcc_lo, 0, v15, vcc_lo
	v_ashrrev_i32_e32 v15, 31, v9
	s_delay_alu instid0(VALU_DEP_3) | instskip(NEXT) | instid1(VALU_DEP_3)
	v_add_co_u32 v7, vcc_lo, v10, v7
	v_add_co_ci_u32_e32 v10, vcc_lo, 0, v11, vcc_lo
	s_delay_alu instid0(VALU_DEP_2) | instskip(NEXT) | instid1(VALU_DEP_2)
	v_add_co_u32 v3, vcc_lo, v3, v7
	v_add_co_ci_u32_e32 v5, vcc_lo, v5, v10, vcc_lo
	s_delay_alu instid0(VALU_DEP_2) | instskip(SKIP_1) | instid1(VALU_DEP_3)
	v_mul_hi_u32 v7, s0, v3
	v_mul_lo_u32 v11, s44, v3
	v_mul_lo_u32 v10, s0, v5
	s_delay_alu instid0(VALU_DEP_1) | instskip(SKIP_1) | instid1(VALU_DEP_2)
	v_add_nc_u32_e32 v7, v7, v10
	v_mul_lo_u32 v10, s0, v3
	v_add_nc_u32_e32 v7, v7, v11
	s_delay_alu instid0(VALU_DEP_2) | instskip(NEXT) | instid1(VALU_DEP_2)
	v_mul_hi_u32 v11, v3, v10
	v_mul_lo_u32 v12, v3, v7
	v_mul_hi_u32 v13, v3, v7
	v_mul_hi_u32 v14, v5, v10
	v_mul_lo_u32 v10, v5, v10
	v_mul_hi_u32 v16, v5, v7
	v_mul_lo_u32 v7, v5, v7
	v_add_co_u32 v11, vcc_lo, v11, v12
	v_add_co_ci_u32_e32 v12, vcc_lo, 0, v13, vcc_lo
	s_delay_alu instid0(VALU_DEP_2) | instskip(NEXT) | instid1(VALU_DEP_2)
	v_add_co_u32 v10, vcc_lo, v11, v10
	v_add_co_ci_u32_e32 v10, vcc_lo, v12, v14, vcc_lo
	v_add_co_ci_u32_e32 v11, vcc_lo, 0, v16, vcc_lo
	v_add_co_u32 v12, vcc_lo, v8, v15
	v_add_co_ci_u32_e32 v9, vcc_lo, v9, v15, vcc_lo
	s_delay_alu instid0(VALU_DEP_4) | instskip(NEXT) | instid1(VALU_DEP_4)
	v_add_co_u32 v7, vcc_lo, v10, v7
	v_add_co_ci_u32_e32 v10, vcc_lo, 0, v11, vcc_lo
	s_delay_alu instid0(VALU_DEP_4) | instskip(NEXT) | instid1(VALU_DEP_3)
	v_xor_b32_e32 v16, v12, v15
	v_add_co_u32 v3, vcc_lo, v3, v7
	s_delay_alu instid0(VALU_DEP_3) | instskip(SKIP_1) | instid1(VALU_DEP_3)
	v_add_co_ci_u32_e32 v5, vcc_lo, v5, v10, vcc_lo
	v_xor_b32_e32 v7, v9, v15
	v_mul_hi_u32 v17, v16, v3
	s_delay_alu instid0(VALU_DEP_3) | instskip(NEXT) | instid1(VALU_DEP_3)
	v_mad_u64_u32 v[9:10], null, v16, v5, 0
	v_mad_u64_u32 v[11:12], null, v7, v3, 0
	;; [unrolled: 1-line block ×3, first 2 shown]
	s_delay_alu instid0(VALU_DEP_3) | instskip(NEXT) | instid1(VALU_DEP_4)
	v_add_co_u32 v3, vcc_lo, v17, v9
	v_add_co_ci_u32_e32 v5, vcc_lo, 0, v10, vcc_lo
	s_delay_alu instid0(VALU_DEP_2) | instskip(NEXT) | instid1(VALU_DEP_2)
	v_add_co_u32 v3, vcc_lo, v3, v11
	v_add_co_ci_u32_e32 v3, vcc_lo, v5, v12, vcc_lo
	v_add_co_ci_u32_e32 v5, vcc_lo, 0, v14, vcc_lo
	s_delay_alu instid0(VALU_DEP_2) | instskip(NEXT) | instid1(VALU_DEP_2)
	v_add_co_u32 v3, vcc_lo, v3, v13
	v_add_co_ci_u32_e32 v5, vcc_lo, 0, v5, vcc_lo
	s_delay_alu instid0(VALU_DEP_2) | instskip(SKIP_1) | instid1(VALU_DEP_3)
	v_mul_lo_u32 v11, s29, v3
	v_mad_u64_u32 v[9:10], null, s28, v3, 0
	v_mul_lo_u32 v12, s28, v5
	s_delay_alu instid0(VALU_DEP_2) | instskip(NEXT) | instid1(VALU_DEP_2)
	v_sub_co_u32 v9, vcc_lo, v16, v9
	v_add3_u32 v10, v10, v12, v11
	s_delay_alu instid0(VALU_DEP_1) | instskip(NEXT) | instid1(VALU_DEP_1)
	v_sub_nc_u32_e32 v11, v7, v10
	v_subrev_co_ci_u32_e64 v11, s0, s29, v11, vcc_lo
	v_add_co_u32 v12, s0, v3, 2
	s_delay_alu instid0(VALU_DEP_1) | instskip(SKIP_3) | instid1(VALU_DEP_3)
	v_add_co_ci_u32_e64 v13, s0, 0, v5, s0
	v_sub_co_u32 v14, s0, v9, s28
	v_sub_co_ci_u32_e32 v7, vcc_lo, v7, v10, vcc_lo
	v_subrev_co_ci_u32_e64 v11, s0, 0, v11, s0
	v_cmp_le_u32_e32 vcc_lo, s28, v14
	s_delay_alu instid0(VALU_DEP_3) | instskip(SKIP_1) | instid1(VALU_DEP_4)
	v_cmp_eq_u32_e64 s0, s29, v7
	v_cndmask_b32_e64 v10, 0, -1, vcc_lo
	v_cmp_le_u32_e32 vcc_lo, s29, v11
	v_cndmask_b32_e64 v14, 0, -1, vcc_lo
	v_cmp_le_u32_e32 vcc_lo, s28, v9
	;; [unrolled: 2-line block ×3, first 2 shown]
	v_cndmask_b32_e64 v16, 0, -1, vcc_lo
	v_cmp_eq_u32_e32 vcc_lo, s29, v11
	s_delay_alu instid0(VALU_DEP_2) | instskip(SKIP_3) | instid1(VALU_DEP_3)
	v_cndmask_b32_e64 v7, v16, v9, s0
	v_cndmask_b32_e32 v10, v14, v10, vcc_lo
	v_add_co_u32 v11, vcc_lo, v3, 1
	v_add_co_ci_u32_e32 v14, vcc_lo, 0, v5, vcc_lo
	v_cmp_ne_u32_e32 vcc_lo, 0, v10
	s_delay_alu instid0(VALU_DEP_2) | instskip(SKIP_2) | instid1(VALU_DEP_3)
	v_dual_cndmask_b32 v10, v11, v12 :: v_dual_cndmask_b32 v9, v14, v13
	v_cmp_ne_u32_e32 vcc_lo, 0, v7
	v_xor_b32_e32 v7, s26, v15
	v_cndmask_b32_e32 v3, v3, v10, vcc_lo
	s_delay_alu instid0(VALU_DEP_4) | instskip(SKIP_1) | instid1(VALU_DEP_3)
	v_cndmask_b32_e32 v5, v5, v9, vcc_lo
	v_xor_b32_e32 v9, s27, v15
	v_xor_b32_e32 v3, v3, v7
	s_delay_alu instid0(VALU_DEP_2) | instskip(NEXT) | instid1(VALU_DEP_2)
	v_xor_b32_e32 v5, v5, v9
	v_sub_co_u32 v10, vcc_lo, v3, v7
	s_delay_alu instid0(VALU_DEP_2)
	v_sub_co_ci_u32_e32 v11, vcc_lo, v5, v9, vcc_lo
.LBB25_24:                              ;   in Loop: Header=BB25_22 Depth=2
	s_and_not1_saveexec_b32 s0, s43
	s_cbranch_execz .LBB25_26
; %bb.25:                               ;   in Loop: Header=BB25_22 Depth=2
	v_cvt_f32_u32_e32 v3, s13
	s_sub_i32 s26, 0, s13
	v_mov_b32_e32 v11, v2
	s_delay_alu instid0(VALU_DEP_2) | instskip(SKIP_2) | instid1(VALU_DEP_1)
	v_rcp_iflag_f32_e32 v3, v3
	s_waitcnt_depctr 0xfff
	v_mul_f32_e32 v3, 0x4f7ffffe, v3
	v_cvt_u32_f32_e32 v3, v3
	s_delay_alu instid0(VALU_DEP_1) | instskip(NEXT) | instid1(VALU_DEP_1)
	v_mul_lo_u32 v5, s26, v3
	v_mul_hi_u32 v5, v3, v5
	s_delay_alu instid0(VALU_DEP_1) | instskip(NEXT) | instid1(VALU_DEP_1)
	v_add_nc_u32_e32 v3, v3, v5
	v_mul_hi_u32 v3, v8, v3
	s_delay_alu instid0(VALU_DEP_1) | instskip(SKIP_1) | instid1(VALU_DEP_2)
	v_mul_lo_u32 v5, v3, s13
	v_add_nc_u32_e32 v7, 1, v3
	v_sub_nc_u32_e32 v5, v8, v5
	s_delay_alu instid0(VALU_DEP_1) | instskip(SKIP_1) | instid1(VALU_DEP_4)
	v_cmp_le_u32_e32 vcc_lo, s13, v5
	v_subrev_nc_u32_e32 v9, s13, v5
	v_cndmask_b32_e32 v3, v3, v7, vcc_lo
	s_delay_alu instid0(VALU_DEP_1) | instskip(NEXT) | instid1(VALU_DEP_3)
	v_add_nc_u32_e32 v7, 1, v3
	v_cndmask_b32_e32 v5, v5, v9, vcc_lo
	s_delay_alu instid0(VALU_DEP_1) | instskip(NEXT) | instid1(VALU_DEP_3)
	v_cmp_le_u32_e32 vcc_lo, s13, v5
	v_cndmask_b32_e32 v10, v3, v7, vcc_lo
.LBB25_26:                              ;   in Loop: Header=BB25_22 Depth=2
	s_or_b32 exec_lo, exec_lo, s0
	s_add_u32 s28, s36, s22
	s_addc_u32 s29, s37, s23
	s_add_i32 s22, s16, -1
	s_mov_b32 s23, s17
                                        ; implicit-def: $vgpr12_vgpr13
	s_delay_alu instid0(SALU_CYCLE_1) | instskip(NEXT) | instid1(SALU_CYCLE_1)
	s_lshl_b64 s[26:27], s[22:23], 2
	s_add_u32 s22, s31, s26
	s_addc_u32 s23, s33, s27
	s_clause 0x2
	s_load_b32 s45, s[22:23], 0x8
	s_load_b32 s43, s[24:25], 0x6c
	;; [unrolled: 1-line block ×3, first 2 shown]
	s_mov_b32 s24, exec_lo
	s_waitcnt lgkmcnt(0)
	s_ashr_i32 s0, s45, 31
	s_delay_alu instid0(SALU_CYCLE_1) | instskip(NEXT) | instid1(VALU_DEP_1)
	v_or_b32_e32 v3, s0, v11
	v_cmpx_ne_u64_e32 0, v[2:3]
	s_xor_b32 s46, exec_lo, s24
	s_cbranch_execz .LBB25_28
; %bb.27:                               ;   in Loop: Header=BB25_22 Depth=2
	s_add_u32 s28, s45, s0
	s_mov_b32 s24, s0
	s_mov_b32 s25, s0
	s_addc_u32 s29, s0, s0
	v_ashrrev_i32_e32 v17, 31, v11
	s_xor_b64 s[28:29], s[28:29], s[24:25]
	s_delay_alu instid0(SALU_CYCLE_1) | instskip(SKIP_3) | instid1(VALU_DEP_1)
	v_cvt_f32_u32_e32 v3, s28
	v_cvt_f32_u32_e32 v5, s29
	s_sub_u32 s0, 0, s28
	s_subb_u32 s47, 0, s29
	v_fmac_f32_e32 v3, 0x4f800000, v5
	s_delay_alu instid0(VALU_DEP_1) | instskip(SKIP_2) | instid1(VALU_DEP_1)
	v_rcp_f32_e32 v3, v3
	s_waitcnt_depctr 0xfff
	v_mul_f32_e32 v3, 0x5f7ffffc, v3
	v_mul_f32_e32 v5, 0x2f800000, v3
	s_delay_alu instid0(VALU_DEP_1) | instskip(NEXT) | instid1(VALU_DEP_1)
	v_trunc_f32_e32 v5, v5
	v_fmac_f32_e32 v3, 0xcf800000, v5
	v_cvt_u32_f32_e32 v5, v5
	s_delay_alu instid0(VALU_DEP_2) | instskip(NEXT) | instid1(VALU_DEP_2)
	v_cvt_u32_f32_e32 v3, v3
	v_mul_lo_u32 v7, s0, v5
	s_delay_alu instid0(VALU_DEP_2) | instskip(SKIP_1) | instid1(VALU_DEP_2)
	v_mul_hi_u32 v9, s0, v3
	v_mul_lo_u32 v12, s47, v3
	v_add_nc_u32_e32 v7, v9, v7
	v_mul_lo_u32 v9, s0, v3
	s_delay_alu instid0(VALU_DEP_2) | instskip(NEXT) | instid1(VALU_DEP_2)
	v_add_nc_u32_e32 v7, v7, v12
	v_mul_hi_u32 v12, v3, v9
	s_delay_alu instid0(VALU_DEP_2)
	v_mul_lo_u32 v13, v3, v7
	v_mul_hi_u32 v14, v3, v7
	v_mul_hi_u32 v15, v5, v9
	v_mul_lo_u32 v9, v5, v9
	v_mul_hi_u32 v16, v5, v7
	v_mul_lo_u32 v7, v5, v7
	v_add_co_u32 v12, vcc_lo, v12, v13
	v_add_co_ci_u32_e32 v13, vcc_lo, 0, v14, vcc_lo
	s_delay_alu instid0(VALU_DEP_2) | instskip(NEXT) | instid1(VALU_DEP_2)
	v_add_co_u32 v9, vcc_lo, v12, v9
	v_add_co_ci_u32_e32 v9, vcc_lo, v13, v15, vcc_lo
	v_add_co_ci_u32_e32 v12, vcc_lo, 0, v16, vcc_lo
	s_delay_alu instid0(VALU_DEP_2) | instskip(NEXT) | instid1(VALU_DEP_2)
	v_add_co_u32 v7, vcc_lo, v9, v7
	v_add_co_ci_u32_e32 v9, vcc_lo, 0, v12, vcc_lo
	s_delay_alu instid0(VALU_DEP_2) | instskip(NEXT) | instid1(VALU_DEP_2)
	v_add_co_u32 v3, vcc_lo, v3, v7
	v_add_co_ci_u32_e32 v5, vcc_lo, v5, v9, vcc_lo
	s_delay_alu instid0(VALU_DEP_2) | instskip(SKIP_1) | instid1(VALU_DEP_3)
	v_mul_hi_u32 v7, s0, v3
	v_mul_lo_u32 v12, s47, v3
	v_mul_lo_u32 v9, s0, v5
	s_delay_alu instid0(VALU_DEP_1) | instskip(SKIP_1) | instid1(VALU_DEP_2)
	v_add_nc_u32_e32 v7, v7, v9
	v_mul_lo_u32 v9, s0, v3
	v_add_nc_u32_e32 v7, v7, v12
	s_delay_alu instid0(VALU_DEP_2) | instskip(NEXT) | instid1(VALU_DEP_2)
	v_mul_hi_u32 v12, v3, v9
	v_mul_lo_u32 v13, v3, v7
	v_mul_hi_u32 v14, v3, v7
	v_mul_hi_u32 v15, v5, v9
	v_mul_lo_u32 v9, v5, v9
	v_mul_hi_u32 v16, v5, v7
	v_mul_lo_u32 v7, v5, v7
	v_add_co_u32 v12, vcc_lo, v12, v13
	v_add_co_ci_u32_e32 v13, vcc_lo, 0, v14, vcc_lo
	s_delay_alu instid0(VALU_DEP_2) | instskip(NEXT) | instid1(VALU_DEP_2)
	v_add_co_u32 v9, vcc_lo, v12, v9
	v_add_co_ci_u32_e32 v9, vcc_lo, v13, v15, vcc_lo
	v_add_co_ci_u32_e32 v12, vcc_lo, 0, v16, vcc_lo
	v_add_co_u32 v13, vcc_lo, v10, v17
	v_add_co_ci_u32_e32 v11, vcc_lo, v11, v17, vcc_lo
	s_delay_alu instid0(VALU_DEP_4) | instskip(NEXT) | instid1(VALU_DEP_4)
	v_add_co_u32 v7, vcc_lo, v9, v7
	v_add_co_ci_u32_e32 v9, vcc_lo, 0, v12, vcc_lo
	s_delay_alu instid0(VALU_DEP_4) | instskip(NEXT) | instid1(VALU_DEP_3)
	v_xor_b32_e32 v21, v13, v17
	v_add_co_u32 v3, vcc_lo, v3, v7
	s_delay_alu instid0(VALU_DEP_3) | instskip(SKIP_1) | instid1(VALU_DEP_3)
	v_add_co_ci_u32_e32 v5, vcc_lo, v5, v9, vcc_lo
	v_xor_b32_e32 v7, v11, v17
	v_mul_hi_u32 v9, v21, v3
	s_delay_alu instid0(VALU_DEP_3) | instskip(NEXT) | instid1(VALU_DEP_3)
	v_mad_u64_u32 v[11:12], null, v21, v5, 0
	v_mad_u64_u32 v[13:14], null, v7, v3, 0
	;; [unrolled: 1-line block ×3, first 2 shown]
	s_delay_alu instid0(VALU_DEP_3) | instskip(NEXT) | instid1(VALU_DEP_4)
	v_add_co_u32 v3, vcc_lo, v9, v11
	v_add_co_ci_u32_e32 v5, vcc_lo, 0, v12, vcc_lo
	s_delay_alu instid0(VALU_DEP_2) | instskip(NEXT) | instid1(VALU_DEP_2)
	v_add_co_u32 v3, vcc_lo, v3, v13
	v_add_co_ci_u32_e32 v3, vcc_lo, v5, v14, vcc_lo
	v_add_co_ci_u32_e32 v5, vcc_lo, 0, v16, vcc_lo
	s_delay_alu instid0(VALU_DEP_2) | instskip(NEXT) | instid1(VALU_DEP_2)
	v_add_co_u32 v3, vcc_lo, v3, v15
	v_add_co_ci_u32_e32 v5, vcc_lo, 0, v5, vcc_lo
	s_delay_alu instid0(VALU_DEP_2) | instskip(SKIP_1) | instid1(VALU_DEP_3)
	v_mul_lo_u32 v9, s29, v3
	v_mad_u64_u32 v[11:12], null, s28, v3, 0
	v_mul_lo_u32 v13, s28, v5
	s_delay_alu instid0(VALU_DEP_2) | instskip(NEXT) | instid1(VALU_DEP_2)
	v_sub_co_u32 v11, vcc_lo, v21, v11
	v_add3_u32 v9, v12, v13, v9
	s_delay_alu instid0(VALU_DEP_1) | instskip(NEXT) | instid1(VALU_DEP_1)
	v_sub_nc_u32_e32 v12, v7, v9
	v_subrev_co_ci_u32_e64 v12, s0, s29, v12, vcc_lo
	v_add_co_u32 v13, s0, v3, 2
	s_delay_alu instid0(VALU_DEP_1) | instskip(SKIP_3) | instid1(VALU_DEP_3)
	v_add_co_ci_u32_e64 v14, s0, 0, v5, s0
	v_sub_co_u32 v15, s0, v11, s28
	v_sub_co_ci_u32_e32 v7, vcc_lo, v7, v9, vcc_lo
	v_subrev_co_ci_u32_e64 v12, s0, 0, v12, s0
	v_cmp_le_u32_e32 vcc_lo, s28, v15
	s_delay_alu instid0(VALU_DEP_3) | instskip(SKIP_1) | instid1(VALU_DEP_4)
	v_cmp_eq_u32_e64 s0, s29, v7
	v_cndmask_b32_e64 v9, 0, -1, vcc_lo
	v_cmp_le_u32_e32 vcc_lo, s29, v12
	v_cndmask_b32_e64 v15, 0, -1, vcc_lo
	v_cmp_le_u32_e32 vcc_lo, s28, v11
	;; [unrolled: 2-line block ×3, first 2 shown]
	v_cndmask_b32_e64 v16, 0, -1, vcc_lo
	v_cmp_eq_u32_e32 vcc_lo, s29, v12
	s_delay_alu instid0(VALU_DEP_2) | instskip(SKIP_3) | instid1(VALU_DEP_3)
	v_cndmask_b32_e64 v7, v16, v11, s0
	v_cndmask_b32_e32 v9, v15, v9, vcc_lo
	v_add_co_u32 v12, vcc_lo, v3, 1
	v_add_co_ci_u32_e32 v15, vcc_lo, 0, v5, vcc_lo
	v_cmp_ne_u32_e32 vcc_lo, 0, v9
	s_delay_alu instid0(VALU_DEP_2) | instskip(NEXT) | instid1(VALU_DEP_4)
	v_cndmask_b32_e32 v9, v15, v14, vcc_lo
	v_cndmask_b32_e32 v11, v12, v13, vcc_lo
	v_cmp_ne_u32_e32 vcc_lo, 0, v7
	v_xor_b32_e32 v7, s24, v17
	s_delay_alu instid0(VALU_DEP_3) | instskip(SKIP_2) | instid1(VALU_DEP_3)
	v_cndmask_b32_e32 v3, v3, v11, vcc_lo
	v_cndmask_b32_e32 v5, v5, v9, vcc_lo
	v_xor_b32_e32 v9, s25, v17
	v_xor_b32_e32 v3, v3, v7
	s_delay_alu instid0(VALU_DEP_2) | instskip(NEXT) | instid1(VALU_DEP_2)
	v_xor_b32_e32 v5, v5, v9
	v_sub_co_u32 v12, vcc_lo, v3, v7
	s_delay_alu instid0(VALU_DEP_2)
	v_sub_co_ci_u32_e32 v13, vcc_lo, v5, v9, vcc_lo
.LBB25_28:                              ;   in Loop: Header=BB25_22 Depth=2
	s_and_not1_saveexec_b32 s0, s46
	s_cbranch_execz .LBB25_30
; %bb.29:                               ;   in Loop: Header=BB25_22 Depth=2
	v_cvt_f32_u32_e32 v3, s45
	s_sub_i32 s24, 0, s45
	v_mov_b32_e32 v13, v2
	s_delay_alu instid0(VALU_DEP_2) | instskip(SKIP_2) | instid1(VALU_DEP_1)
	v_rcp_iflag_f32_e32 v3, v3
	s_waitcnt_depctr 0xfff
	v_mul_f32_e32 v3, 0x4f7ffffe, v3
	v_cvt_u32_f32_e32 v3, v3
	s_delay_alu instid0(VALU_DEP_1) | instskip(NEXT) | instid1(VALU_DEP_1)
	v_mul_lo_u32 v5, s24, v3
	v_mul_hi_u32 v5, v3, v5
	s_delay_alu instid0(VALU_DEP_1) | instskip(NEXT) | instid1(VALU_DEP_1)
	v_add_nc_u32_e32 v3, v3, v5
	v_mul_hi_u32 v3, v10, v3
	s_delay_alu instid0(VALU_DEP_1) | instskip(SKIP_1) | instid1(VALU_DEP_2)
	v_mul_lo_u32 v5, v3, s45
	v_add_nc_u32_e32 v7, 1, v3
	v_sub_nc_u32_e32 v5, v10, v5
	s_delay_alu instid0(VALU_DEP_1) | instskip(SKIP_1) | instid1(VALU_DEP_4)
	v_cmp_le_u32_e32 vcc_lo, s45, v5
	v_subrev_nc_u32_e32 v9, s45, v5
	v_cndmask_b32_e32 v3, v3, v7, vcc_lo
	s_delay_alu instid0(VALU_DEP_1) | instskip(NEXT) | instid1(VALU_DEP_3)
	v_add_nc_u32_e32 v7, 1, v3
	v_cndmask_b32_e32 v5, v5, v9, vcc_lo
	s_delay_alu instid0(VALU_DEP_1) | instskip(NEXT) | instid1(VALU_DEP_3)
	v_cmp_le_u32_e32 vcc_lo, s45, v5
	v_cndmask_b32_e32 v12, v3, v7, vcc_lo
.LBB25_30:                              ;   in Loop: Header=BB25_22 Depth=2
	s_or_b32 exec_lo, exec_lo, s0
	s_add_u32 s28, s36, s26
	s_addc_u32 s29, s37, s27
	s_add_i32 s24, s16, -2
	s_mov_b32 s25, s17
                                        ; implicit-def: $vgpr14_vgpr15
	s_delay_alu instid0(SALU_CYCLE_1) | instskip(NEXT) | instid1(SALU_CYCLE_1)
	s_lshl_b64 s[24:25], s[24:25], 2
	s_add_u32 s26, s31, s24
	s_addc_u32 s27, s33, s25
	s_clause 0x2
	s_load_b32 s48, s[26:27], 0x8
	s_load_b32 s46, s[22:23], 0x6c
	;; [unrolled: 1-line block ×3, first 2 shown]
	s_mov_b32 s22, exec_lo
	s_waitcnt lgkmcnt(0)
	s_ashr_i32 s0, s48, 31
	s_delay_alu instid0(SALU_CYCLE_1) | instskip(NEXT) | instid1(VALU_DEP_1)
	v_or_b32_e32 v3, s0, v13
	v_cmpx_ne_u64_e32 0, v[2:3]
	s_xor_b32 s49, exec_lo, s22
	s_cbranch_execz .LBB25_32
; %bb.31:                               ;   in Loop: Header=BB25_22 Depth=2
	s_add_u32 s28, s48, s0
	s_mov_b32 s22, s0
	s_mov_b32 s23, s0
	s_addc_u32 s29, s0, s0
	s_delay_alu instid0(SALU_CYCLE_1) | instskip(NEXT) | instid1(SALU_CYCLE_1)
	s_xor_b64 s[28:29], s[28:29], s[22:23]
	v_cvt_f32_u32_e32 v3, s28
	v_cvt_f32_u32_e32 v5, s29
	s_sub_u32 s0, 0, s28
	s_subb_u32 s50, 0, s29
	s_delay_alu instid0(VALU_DEP_1) | instskip(NEXT) | instid1(VALU_DEP_1)
	v_fmac_f32_e32 v3, 0x4f800000, v5
	v_rcp_f32_e32 v3, v3
	s_waitcnt_depctr 0xfff
	v_mul_f32_e32 v3, 0x5f7ffffc, v3
	s_delay_alu instid0(VALU_DEP_1) | instskip(NEXT) | instid1(VALU_DEP_1)
	v_mul_f32_e32 v5, 0x2f800000, v3
	v_trunc_f32_e32 v5, v5
	s_delay_alu instid0(VALU_DEP_1) | instskip(SKIP_1) | instid1(VALU_DEP_2)
	v_fmac_f32_e32 v3, 0xcf800000, v5
	v_cvt_u32_f32_e32 v5, v5
	v_cvt_u32_f32_e32 v3, v3
	s_delay_alu instid0(VALU_DEP_2) | instskip(NEXT) | instid1(VALU_DEP_2)
	v_mul_lo_u32 v7, s0, v5
	v_mul_hi_u32 v9, s0, v3
	v_mul_lo_u32 v11, s50, v3
	s_delay_alu instid0(VALU_DEP_2) | instskip(SKIP_1) | instid1(VALU_DEP_2)
	v_add_nc_u32_e32 v7, v9, v7
	v_mul_lo_u32 v9, s0, v3
	v_add_nc_u32_e32 v7, v7, v11
	s_delay_alu instid0(VALU_DEP_2) | instskip(NEXT) | instid1(VALU_DEP_2)
	v_mul_hi_u32 v11, v3, v9
	v_mul_lo_u32 v14, v3, v7
	v_mul_hi_u32 v15, v3, v7
	v_mul_hi_u32 v16, v5, v9
	v_mul_lo_u32 v9, v5, v9
	v_mul_hi_u32 v17, v5, v7
	v_mul_lo_u32 v7, v5, v7
	v_add_co_u32 v11, vcc_lo, v11, v14
	v_add_co_ci_u32_e32 v14, vcc_lo, 0, v15, vcc_lo
	s_delay_alu instid0(VALU_DEP_2) | instskip(NEXT) | instid1(VALU_DEP_2)
	v_add_co_u32 v9, vcc_lo, v11, v9
	v_add_co_ci_u32_e32 v9, vcc_lo, v14, v16, vcc_lo
	v_add_co_ci_u32_e32 v11, vcc_lo, 0, v17, vcc_lo
	v_ashrrev_i32_e32 v17, 31, v13
	s_delay_alu instid0(VALU_DEP_3) | instskip(NEXT) | instid1(VALU_DEP_3)
	v_add_co_u32 v7, vcc_lo, v9, v7
	v_add_co_ci_u32_e32 v9, vcc_lo, 0, v11, vcc_lo
	s_delay_alu instid0(VALU_DEP_2) | instskip(NEXT) | instid1(VALU_DEP_2)
	v_add_co_u32 v3, vcc_lo, v3, v7
	v_add_co_ci_u32_e32 v5, vcc_lo, v5, v9, vcc_lo
	s_delay_alu instid0(VALU_DEP_2) | instskip(SKIP_1) | instid1(VALU_DEP_3)
	v_mul_hi_u32 v7, s0, v3
	v_mul_lo_u32 v11, s50, v3
	v_mul_lo_u32 v9, s0, v5
	s_delay_alu instid0(VALU_DEP_1) | instskip(SKIP_1) | instid1(VALU_DEP_2)
	v_add_nc_u32_e32 v7, v7, v9
	v_mul_lo_u32 v9, s0, v3
	v_add_nc_u32_e32 v7, v7, v11
	s_delay_alu instid0(VALU_DEP_2) | instskip(NEXT) | instid1(VALU_DEP_2)
	v_mul_hi_u32 v11, v3, v9
	v_mul_lo_u32 v14, v3, v7
	v_mul_hi_u32 v15, v3, v7
	v_mul_hi_u32 v16, v5, v9
	v_mul_lo_u32 v9, v5, v9
	v_mul_hi_u32 v21, v5, v7
	v_mul_lo_u32 v7, v5, v7
	v_add_co_u32 v11, vcc_lo, v11, v14
	v_add_co_ci_u32_e32 v14, vcc_lo, 0, v15, vcc_lo
	s_delay_alu instid0(VALU_DEP_2) | instskip(NEXT) | instid1(VALU_DEP_2)
	v_add_co_u32 v9, vcc_lo, v11, v9
	v_add_co_ci_u32_e32 v9, vcc_lo, v14, v16, vcc_lo
	v_add_co_ci_u32_e32 v11, vcc_lo, 0, v21, vcc_lo
	v_add_co_u32 v14, vcc_lo, v12, v17
	v_add_co_ci_u32_e32 v13, vcc_lo, v13, v17, vcc_lo
	s_delay_alu instid0(VALU_DEP_4) | instskip(NEXT) | instid1(VALU_DEP_4)
	v_add_co_u32 v7, vcc_lo, v9, v7
	v_add_co_ci_u32_e32 v9, vcc_lo, 0, v11, vcc_lo
	s_delay_alu instid0(VALU_DEP_4) | instskip(NEXT) | instid1(VALU_DEP_3)
	v_xor_b32_e32 v11, v14, v17
	v_add_co_u32 v3, vcc_lo, v3, v7
	s_delay_alu instid0(VALU_DEP_3) | instskip(SKIP_1) | instid1(VALU_DEP_3)
	v_add_co_ci_u32_e32 v5, vcc_lo, v5, v9, vcc_lo
	v_xor_b32_e32 v7, v13, v17
	v_mul_hi_u32 v9, v11, v3
	s_delay_alu instid0(VALU_DEP_3) | instskip(NEXT) | instid1(VALU_DEP_3)
	v_mad_u64_u32 v[13:14], null, v11, v5, 0
	v_mad_u64_u32 v[15:16], null, v7, v3, 0
	;; [unrolled: 1-line block ×3, first 2 shown]
	s_delay_alu instid0(VALU_DEP_3) | instskip(NEXT) | instid1(VALU_DEP_4)
	v_add_co_u32 v3, vcc_lo, v9, v13
	v_add_co_ci_u32_e32 v5, vcc_lo, 0, v14, vcc_lo
	s_delay_alu instid0(VALU_DEP_2) | instskip(NEXT) | instid1(VALU_DEP_2)
	v_add_co_u32 v3, vcc_lo, v3, v15
	v_add_co_ci_u32_e32 v3, vcc_lo, v5, v16, vcc_lo
	v_add_co_ci_u32_e32 v5, vcc_lo, 0, v22, vcc_lo
	s_delay_alu instid0(VALU_DEP_2) | instskip(NEXT) | instid1(VALU_DEP_2)
	v_add_co_u32 v3, vcc_lo, v3, v21
	v_add_co_ci_u32_e32 v5, vcc_lo, 0, v5, vcc_lo
	s_delay_alu instid0(VALU_DEP_2) | instskip(SKIP_1) | instid1(VALU_DEP_3)
	v_mul_lo_u32 v9, s29, v3
	v_mad_u64_u32 v[13:14], null, s28, v3, 0
	v_mul_lo_u32 v15, s28, v5
	s_delay_alu instid0(VALU_DEP_2) | instskip(NEXT) | instid1(VALU_DEP_2)
	v_sub_co_u32 v11, vcc_lo, v11, v13
	v_add3_u32 v9, v14, v15, v9
	s_delay_alu instid0(VALU_DEP_1) | instskip(NEXT) | instid1(VALU_DEP_1)
	v_sub_nc_u32_e32 v14, v7, v9
	v_subrev_co_ci_u32_e64 v13, s0, s29, v14, vcc_lo
	v_add_co_u32 v14, s0, v3, 2
	s_delay_alu instid0(VALU_DEP_1) | instskip(SKIP_3) | instid1(VALU_DEP_3)
	v_add_co_ci_u32_e64 v15, s0, 0, v5, s0
	v_sub_co_u32 v16, s0, v11, s28
	v_sub_co_ci_u32_e32 v7, vcc_lo, v7, v9, vcc_lo
	v_subrev_co_ci_u32_e64 v13, s0, 0, v13, s0
	v_cmp_le_u32_e32 vcc_lo, s28, v16
	s_delay_alu instid0(VALU_DEP_3) | instskip(SKIP_1) | instid1(VALU_DEP_4)
	v_cmp_eq_u32_e64 s0, s29, v7
	v_cndmask_b32_e64 v9, 0, -1, vcc_lo
	v_cmp_le_u32_e32 vcc_lo, s29, v13
	v_cndmask_b32_e64 v16, 0, -1, vcc_lo
	v_cmp_le_u32_e32 vcc_lo, s28, v11
	;; [unrolled: 2-line block ×3, first 2 shown]
	v_cndmask_b32_e64 v21, 0, -1, vcc_lo
	v_cmp_eq_u32_e32 vcc_lo, s29, v13
	s_delay_alu instid0(VALU_DEP_2) | instskip(SKIP_3) | instid1(VALU_DEP_3)
	v_cndmask_b32_e64 v7, v21, v11, s0
	v_cndmask_b32_e32 v9, v16, v9, vcc_lo
	v_add_co_u32 v13, vcc_lo, v3, 1
	v_add_co_ci_u32_e32 v16, vcc_lo, 0, v5, vcc_lo
	v_cmp_ne_u32_e32 vcc_lo, 0, v9
	s_delay_alu instid0(VALU_DEP_2) | instskip(NEXT) | instid1(VALU_DEP_4)
	v_cndmask_b32_e32 v9, v16, v15, vcc_lo
	v_cndmask_b32_e32 v11, v13, v14, vcc_lo
	v_cmp_ne_u32_e32 vcc_lo, 0, v7
	v_xor_b32_e32 v7, s22, v17
	s_delay_alu instid0(VALU_DEP_3) | instskip(SKIP_2) | instid1(VALU_DEP_3)
	v_cndmask_b32_e32 v3, v3, v11, vcc_lo
	v_cndmask_b32_e32 v5, v5, v9, vcc_lo
	v_xor_b32_e32 v9, s23, v17
	v_xor_b32_e32 v3, v3, v7
	s_delay_alu instid0(VALU_DEP_2) | instskip(NEXT) | instid1(VALU_DEP_2)
	v_xor_b32_e32 v5, v5, v9
	v_sub_co_u32 v14, vcc_lo, v3, v7
	s_delay_alu instid0(VALU_DEP_2)
	v_sub_co_ci_u32_e32 v15, vcc_lo, v5, v9, vcc_lo
.LBB25_32:                              ;   in Loop: Header=BB25_22 Depth=2
	s_and_not1_saveexec_b32 s0, s49
	s_cbranch_execz .LBB25_34
; %bb.33:                               ;   in Loop: Header=BB25_22 Depth=2
	v_cvt_f32_u32_e32 v3, s48
	s_sub_i32 s22, 0, s48
	v_mov_b32_e32 v15, v2
	s_delay_alu instid0(VALU_DEP_2) | instskip(SKIP_2) | instid1(VALU_DEP_1)
	v_rcp_iflag_f32_e32 v3, v3
	s_waitcnt_depctr 0xfff
	v_mul_f32_e32 v3, 0x4f7ffffe, v3
	v_cvt_u32_f32_e32 v3, v3
	s_delay_alu instid0(VALU_DEP_1) | instskip(NEXT) | instid1(VALU_DEP_1)
	v_mul_lo_u32 v5, s22, v3
	v_mul_hi_u32 v5, v3, v5
	s_delay_alu instid0(VALU_DEP_1) | instskip(NEXT) | instid1(VALU_DEP_1)
	v_add_nc_u32_e32 v3, v3, v5
	v_mul_hi_u32 v3, v12, v3
	s_delay_alu instid0(VALU_DEP_1) | instskip(SKIP_1) | instid1(VALU_DEP_2)
	v_mul_lo_u32 v5, v3, s48
	v_add_nc_u32_e32 v7, 1, v3
	v_sub_nc_u32_e32 v5, v12, v5
	s_delay_alu instid0(VALU_DEP_1) | instskip(SKIP_1) | instid1(VALU_DEP_4)
	v_cmp_le_u32_e32 vcc_lo, s48, v5
	v_subrev_nc_u32_e32 v9, s48, v5
	v_cndmask_b32_e32 v3, v3, v7, vcc_lo
	s_delay_alu instid0(VALU_DEP_1) | instskip(NEXT) | instid1(VALU_DEP_3)
	v_add_nc_u32_e32 v7, 1, v3
	v_cndmask_b32_e32 v5, v5, v9, vcc_lo
	s_delay_alu instid0(VALU_DEP_1) | instskip(NEXT) | instid1(VALU_DEP_3)
	v_cmp_le_u32_e32 vcc_lo, s48, v5
	v_cndmask_b32_e32 v14, v3, v7, vcc_lo
.LBB25_34:                              ;   in Loop: Header=BB25_22 Depth=2
	s_or_b32 exec_lo, exec_lo, s0
	s_add_u32 s28, s36, s24
	s_addc_u32 s29, s37, s25
	s_add_i32 s22, s16, -3
	s_mov_b32 s23, s17
                                        ; implicit-def: $vgpr16_vgpr17
	s_delay_alu instid0(SALU_CYCLE_1) | instskip(NEXT) | instid1(SALU_CYCLE_1)
	s_lshl_b64 s[24:25], s[22:23], 2
	s_add_u32 s22, s31, s24
	s_addc_u32 s23, s33, s25
	s_clause 0x2
	s_load_b32 s51, s[22:23], 0x8
	s_load_b32 s49, s[26:27], 0x6c
	;; [unrolled: 1-line block ×3, first 2 shown]
	s_mov_b32 s26, exec_lo
	s_waitcnt lgkmcnt(0)
	s_ashr_i32 s0, s51, 31
	s_delay_alu instid0(SALU_CYCLE_1) | instskip(NEXT) | instid1(VALU_DEP_1)
	v_or_b32_e32 v3, s0, v15
	v_cmpx_ne_u64_e32 0, v[2:3]
	s_xor_b32 s52, exec_lo, s26
	s_cbranch_execz .LBB25_36
; %bb.35:                               ;   in Loop: Header=BB25_22 Depth=2
	s_add_u32 s28, s51, s0
	s_mov_b32 s26, s0
	s_mov_b32 s27, s0
	s_addc_u32 s29, s0, s0
	s_delay_alu instid0(SALU_CYCLE_1) | instskip(NEXT) | instid1(SALU_CYCLE_1)
	s_xor_b64 s[28:29], s[28:29], s[26:27]
	v_cvt_f32_u32_e32 v3, s28
	v_cvt_f32_u32_e32 v5, s29
	s_sub_u32 s0, 0, s28
	s_subb_u32 s53, 0, s29
	s_delay_alu instid0(VALU_DEP_1) | instskip(NEXT) | instid1(VALU_DEP_1)
	v_fmac_f32_e32 v3, 0x4f800000, v5
	v_rcp_f32_e32 v3, v3
	s_waitcnt_depctr 0xfff
	v_mul_f32_e32 v3, 0x5f7ffffc, v3
	s_delay_alu instid0(VALU_DEP_1) | instskip(NEXT) | instid1(VALU_DEP_1)
	v_mul_f32_e32 v5, 0x2f800000, v3
	v_trunc_f32_e32 v5, v5
	s_delay_alu instid0(VALU_DEP_1) | instskip(SKIP_1) | instid1(VALU_DEP_2)
	v_fmac_f32_e32 v3, 0xcf800000, v5
	v_cvt_u32_f32_e32 v5, v5
	v_cvt_u32_f32_e32 v3, v3
	s_delay_alu instid0(VALU_DEP_2) | instskip(NEXT) | instid1(VALU_DEP_2)
	v_mul_lo_u32 v7, s0, v5
	v_mul_hi_u32 v9, s0, v3
	v_mul_lo_u32 v11, s53, v3
	s_delay_alu instid0(VALU_DEP_2) | instskip(SKIP_1) | instid1(VALU_DEP_2)
	v_add_nc_u32_e32 v7, v9, v7
	v_mul_lo_u32 v9, s0, v3
	v_add_nc_u32_e32 v7, v7, v11
	s_delay_alu instid0(VALU_DEP_2) | instskip(NEXT) | instid1(VALU_DEP_2)
	v_mul_hi_u32 v11, v3, v9
	v_mul_lo_u32 v13, v3, v7
	v_mul_hi_u32 v16, v3, v7
	v_mul_hi_u32 v17, v5, v9
	v_mul_lo_u32 v9, v5, v9
	v_mul_hi_u32 v21, v5, v7
	v_mul_lo_u32 v7, v5, v7
	v_add_co_u32 v11, vcc_lo, v11, v13
	v_add_co_ci_u32_e32 v13, vcc_lo, 0, v16, vcc_lo
	s_delay_alu instid0(VALU_DEP_2) | instskip(NEXT) | instid1(VALU_DEP_2)
	v_add_co_u32 v9, vcc_lo, v11, v9
	v_add_co_ci_u32_e32 v9, vcc_lo, v13, v17, vcc_lo
	v_add_co_ci_u32_e32 v11, vcc_lo, 0, v21, vcc_lo
	v_ashrrev_i32_e32 v17, 31, v15
	s_delay_alu instid0(VALU_DEP_3) | instskip(NEXT) | instid1(VALU_DEP_3)
	v_add_co_u32 v7, vcc_lo, v9, v7
	v_add_co_ci_u32_e32 v9, vcc_lo, 0, v11, vcc_lo
	s_delay_alu instid0(VALU_DEP_2) | instskip(NEXT) | instid1(VALU_DEP_2)
	v_add_co_u32 v3, vcc_lo, v3, v7
	v_add_co_ci_u32_e32 v5, vcc_lo, v5, v9, vcc_lo
	s_delay_alu instid0(VALU_DEP_2) | instskip(SKIP_1) | instid1(VALU_DEP_3)
	v_mul_hi_u32 v7, s0, v3
	v_mul_lo_u32 v11, s53, v3
	v_mul_lo_u32 v9, s0, v5
	s_delay_alu instid0(VALU_DEP_1) | instskip(SKIP_1) | instid1(VALU_DEP_2)
	v_add_nc_u32_e32 v7, v7, v9
	v_mul_lo_u32 v9, s0, v3
	v_add_nc_u32_e32 v7, v7, v11
	s_delay_alu instid0(VALU_DEP_2) | instskip(NEXT) | instid1(VALU_DEP_2)
	v_mul_hi_u32 v11, v3, v9
	v_mul_lo_u32 v13, v3, v7
	v_mul_hi_u32 v16, v3, v7
	v_mul_hi_u32 v21, v5, v9
	v_mul_lo_u32 v9, v5, v9
	v_mul_hi_u32 v22, v5, v7
	v_mul_lo_u32 v7, v5, v7
	v_add_co_u32 v11, vcc_lo, v11, v13
	v_add_co_ci_u32_e32 v13, vcc_lo, 0, v16, vcc_lo
	s_delay_alu instid0(VALU_DEP_2) | instskip(NEXT) | instid1(VALU_DEP_2)
	v_add_co_u32 v9, vcc_lo, v11, v9
	v_add_co_ci_u32_e32 v9, vcc_lo, v13, v21, vcc_lo
	v_add_co_ci_u32_e32 v11, vcc_lo, 0, v22, vcc_lo
	v_add_co_u32 v13, vcc_lo, v14, v17
	v_add_co_ci_u32_e32 v15, vcc_lo, v15, v17, vcc_lo
	s_delay_alu instid0(VALU_DEP_4) | instskip(NEXT) | instid1(VALU_DEP_4)
	v_add_co_u32 v7, vcc_lo, v9, v7
	v_add_co_ci_u32_e32 v9, vcc_lo, 0, v11, vcc_lo
	s_delay_alu instid0(VALU_DEP_4) | instskip(NEXT) | instid1(VALU_DEP_3)
	v_xor_b32_e32 v11, v13, v17
	v_add_co_u32 v3, vcc_lo, v3, v7
	s_delay_alu instid0(VALU_DEP_3) | instskip(SKIP_1) | instid1(VALU_DEP_3)
	v_add_co_ci_u32_e32 v5, vcc_lo, v5, v9, vcc_lo
	v_xor_b32_e32 v7, v15, v17
	v_mul_hi_u32 v9, v11, v3
	s_delay_alu instid0(VALU_DEP_3) | instskip(NEXT) | instid1(VALU_DEP_3)
	v_mad_u64_u32 v[15:16], null, v11, v5, 0
	v_mad_u64_u32 v[21:22], null, v7, v3, 0
	;; [unrolled: 1-line block ×3, first 2 shown]
	s_delay_alu instid0(VALU_DEP_3) | instskip(NEXT) | instid1(VALU_DEP_4)
	v_add_co_u32 v3, vcc_lo, v9, v15
	v_add_co_ci_u32_e32 v5, vcc_lo, 0, v16, vcc_lo
	s_delay_alu instid0(VALU_DEP_2) | instskip(NEXT) | instid1(VALU_DEP_2)
	v_add_co_u32 v3, vcc_lo, v3, v21
	v_add_co_ci_u32_e32 v3, vcc_lo, v5, v22, vcc_lo
	v_add_co_ci_u32_e32 v5, vcc_lo, 0, v24, vcc_lo
	s_delay_alu instid0(VALU_DEP_2) | instskip(NEXT) | instid1(VALU_DEP_2)
	v_add_co_u32 v3, vcc_lo, v3, v23
	v_add_co_ci_u32_e32 v5, vcc_lo, 0, v5, vcc_lo
	s_delay_alu instid0(VALU_DEP_2) | instskip(SKIP_1) | instid1(VALU_DEP_3)
	v_mul_lo_u32 v9, s29, v3
	v_mad_u64_u32 v[15:16], null, s28, v3, 0
	v_mul_lo_u32 v13, s28, v5
	s_delay_alu instid0(VALU_DEP_2) | instskip(NEXT) | instid1(VALU_DEP_2)
	v_sub_co_u32 v11, vcc_lo, v11, v15
	v_add3_u32 v9, v16, v13, v9
	s_delay_alu instid0(VALU_DEP_1) | instskip(NEXT) | instid1(VALU_DEP_1)
	v_sub_nc_u32_e32 v13, v7, v9
	v_subrev_co_ci_u32_e64 v13, s0, s29, v13, vcc_lo
	v_add_co_u32 v15, s0, v3, 2
	s_delay_alu instid0(VALU_DEP_1) | instskip(SKIP_3) | instid1(VALU_DEP_3)
	v_add_co_ci_u32_e64 v16, s0, 0, v5, s0
	v_sub_co_u32 v21, s0, v11, s28
	v_sub_co_ci_u32_e32 v7, vcc_lo, v7, v9, vcc_lo
	v_subrev_co_ci_u32_e64 v13, s0, 0, v13, s0
	v_cmp_le_u32_e32 vcc_lo, s28, v21
	s_delay_alu instid0(VALU_DEP_3) | instskip(SKIP_1) | instid1(VALU_DEP_4)
	v_cmp_eq_u32_e64 s0, s29, v7
	v_cndmask_b32_e64 v9, 0, -1, vcc_lo
	v_cmp_le_u32_e32 vcc_lo, s29, v13
	v_cndmask_b32_e64 v21, 0, -1, vcc_lo
	v_cmp_le_u32_e32 vcc_lo, s28, v11
	;; [unrolled: 2-line block ×3, first 2 shown]
	v_cndmask_b32_e64 v22, 0, -1, vcc_lo
	v_cmp_eq_u32_e32 vcc_lo, s29, v13
	s_delay_alu instid0(VALU_DEP_2) | instskip(SKIP_3) | instid1(VALU_DEP_3)
	v_cndmask_b32_e64 v7, v22, v11, s0
	v_cndmask_b32_e32 v9, v21, v9, vcc_lo
	v_add_co_u32 v13, vcc_lo, v3, 1
	v_add_co_ci_u32_e32 v21, vcc_lo, 0, v5, vcc_lo
	v_cmp_ne_u32_e32 vcc_lo, 0, v9
	s_delay_alu instid0(VALU_DEP_2) | instskip(NEXT) | instid1(VALU_DEP_4)
	v_cndmask_b32_e32 v9, v21, v16, vcc_lo
	v_cndmask_b32_e32 v11, v13, v15, vcc_lo
	v_cmp_ne_u32_e32 vcc_lo, 0, v7
	v_xor_b32_e32 v7, s26, v17
	s_delay_alu instid0(VALU_DEP_3) | instskip(SKIP_2) | instid1(VALU_DEP_3)
	v_cndmask_b32_e32 v3, v3, v11, vcc_lo
	v_cndmask_b32_e32 v5, v5, v9, vcc_lo
	v_xor_b32_e32 v9, s27, v17
	v_xor_b32_e32 v3, v3, v7
	s_delay_alu instid0(VALU_DEP_2) | instskip(NEXT) | instid1(VALU_DEP_2)
	v_xor_b32_e32 v5, v5, v9
	v_sub_co_u32 v16, vcc_lo, v3, v7
	s_delay_alu instid0(VALU_DEP_2)
	v_sub_co_ci_u32_e32 v17, vcc_lo, v5, v9, vcc_lo
.LBB25_36:                              ;   in Loop: Header=BB25_22 Depth=2
	s_and_not1_saveexec_b32 s0, s52
	s_cbranch_execz .LBB25_38
; %bb.37:                               ;   in Loop: Header=BB25_22 Depth=2
	v_cvt_f32_u32_e32 v3, s51
	s_sub_i32 s26, 0, s51
	v_mov_b32_e32 v17, v2
	s_delay_alu instid0(VALU_DEP_2) | instskip(SKIP_2) | instid1(VALU_DEP_1)
	v_rcp_iflag_f32_e32 v3, v3
	s_waitcnt_depctr 0xfff
	v_mul_f32_e32 v3, 0x4f7ffffe, v3
	v_cvt_u32_f32_e32 v3, v3
	s_delay_alu instid0(VALU_DEP_1) | instskip(NEXT) | instid1(VALU_DEP_1)
	v_mul_lo_u32 v5, s26, v3
	v_mul_hi_u32 v5, v3, v5
	s_delay_alu instid0(VALU_DEP_1) | instskip(NEXT) | instid1(VALU_DEP_1)
	v_add_nc_u32_e32 v3, v3, v5
	v_mul_hi_u32 v3, v14, v3
	s_delay_alu instid0(VALU_DEP_1) | instskip(SKIP_1) | instid1(VALU_DEP_2)
	v_mul_lo_u32 v5, v3, s51
	v_add_nc_u32_e32 v7, 1, v3
	v_sub_nc_u32_e32 v5, v14, v5
	s_delay_alu instid0(VALU_DEP_1) | instskip(SKIP_1) | instid1(VALU_DEP_4)
	v_cmp_le_u32_e32 vcc_lo, s51, v5
	v_subrev_nc_u32_e32 v9, s51, v5
	v_cndmask_b32_e32 v3, v3, v7, vcc_lo
	s_delay_alu instid0(VALU_DEP_1) | instskip(NEXT) | instid1(VALU_DEP_3)
	v_add_nc_u32_e32 v7, 1, v3
	v_cndmask_b32_e32 v5, v5, v9, vcc_lo
	s_delay_alu instid0(VALU_DEP_1) | instskip(NEXT) | instid1(VALU_DEP_3)
	v_cmp_le_u32_e32 vcc_lo, s51, v5
	v_cndmask_b32_e32 v16, v3, v7, vcc_lo
.LBB25_38:                              ;   in Loop: Header=BB25_22 Depth=2
	s_or_b32 exec_lo, exec_lo, s0
	s_add_u32 s24, s36, s24
	s_addc_u32 s25, s37, s25
	v_mul_lo_u32 v3, v10, s13
	s_clause 0x1
	s_load_b32 s0, s[22:23], 0x6c
	s_load_b32 s13, s[24:25], 0x0
	v_mul_lo_u32 v5, v12, s45
	v_mul_lo_u32 v7, v14, s48
	v_mul_lo_u32 v9, v16, s51
	s_add_i32 s16, s16, -4
	s_delay_alu instid0(SALU_CYCLE_1) | instskip(SKIP_1) | instid1(VALU_DEP_4)
	s_cmp_eq_u32 s16, -1
	v_sub_nc_u32_e32 v3, v8, v3
	v_sub_nc_u32_e32 v5, v10, v5
	s_delay_alu instid0(VALU_DEP_4) | instskip(NEXT) | instid1(VALU_DEP_4)
	v_sub_nc_u32_e32 v7, v12, v7
	v_sub_nc_u32_e32 v8, v14, v9
	s_delay_alu instid0(VALU_DEP_4)
	v_mul_lo_u32 v9, s43, v3
	v_mul_lo_u32 v3, s44, v3
	;; [unrolled: 1-line block ×6, first 2 shown]
	s_waitcnt lgkmcnt(0)
	v_mul_lo_u32 v12, s0, v8
	v_mul_lo_u32 v8, s13, v8
	v_add3_u32 v6, v9, v6, v10
	v_add3_u32 v3, v3, v4, v5
	s_delay_alu instid0(VALU_DEP_2) | instskip(NEXT) | instid1(VALU_DEP_2)
	v_add3_u32 v6, v11, v6, v12
	v_add3_u32 v4, v7, v3, v8
	s_cbranch_scc1 .LBB25_40
; %bb.39:                               ;   in Loop: Header=BB25_22 Depth=2
	v_dual_mov_b32 v8, v16 :: v_dual_mov_b32 v9, v17
	s_branch .LBB25_22
.LBB25_40:                              ;   in Loop: Header=BB25_3 Depth=1
	v_sub_nc_u32_e32 v8, v19, v20
	v_dual_mov_b32 v7, 0 :: v_dual_mov_b32 v10, 0
	s_mov_b32 s0, exec_lo
	s_delay_alu instid0(VALU_DEP_2) | instskip(NEXT) | instid1(VALU_DEP_1)
	v_ashrrev_i32_e32 v9, 31, v8
	v_cmpx_ge_i64_e64 s[4:5], v[8:9]
	s_cbranch_execz .LBB25_46
; %bb.41:                               ;   in Loop: Header=BB25_3 Depth=1
	v_mov_b32_e32 v3, 0
	v_mov_b32_e32 v7, 0
	s_mov_b32 s13, exec_lo
	v_cmpx_gt_i32_e64 s9, v19
	s_cbranch_execz .LBB25_45
; %bb.42:                               ;   in Loop: Header=BB25_3 Depth=1
	v_ashrrev_i32_e32 v7, 31, v6
	s_delay_alu instid0(VALU_DEP_1) | instskip(SKIP_1) | instid1(VALU_DEP_2)
	v_lshlrev_b64 v[5:6], 2, v[6:7]
	v_add_nc_u32_e32 v7, 1, v19
	v_add_co_u32 v5, vcc_lo, s2, v5
	s_delay_alu instid0(VALU_DEP_3) | instskip(NEXT) | instid1(VALU_DEP_3)
	v_add_co_ci_u32_e32 v6, vcc_lo, s3, v6, vcc_lo
	v_cmp_gt_i32_e32 vcc_lo, s9, v7
	v_mov_b32_e32 v7, 0
	global_load_b32 v3, v[5:6], off
	s_and_saveexec_b32 s16, vcc_lo
	s_delay_alu instid0(SALU_CYCLE_1)
	s_xor_b32 s16, exec_lo, s16
	s_cbranch_execz .LBB25_44
; %bb.43:                               ;   in Loop: Header=BB25_3 Depth=1
	s_lshl_b64 s[22:23], s[18:19], 2
	s_delay_alu instid0(SALU_CYCLE_1)
	v_add_co_u32 v5, vcc_lo, v5, s22
	v_add_co_ci_u32_e32 v6, vcc_lo, s23, v6, vcc_lo
	global_load_b32 v7, v[5:6], off
.LBB25_44:                              ;   in Loop: Header=BB25_3 Depth=1
	s_or_b32 exec_lo, exec_lo, s16
.LBB25_45:                              ;   in Loop: Header=BB25_3 Depth=1
	s_delay_alu instid0(SALU_CYCLE_1) | instskip(SKIP_3) | instid1(VALU_DEP_1)
	s_or_b32 exec_lo, exec_lo, s13
	v_cmp_ge_i64_e32 vcc_lo, s[4:5], v[8:9]
	s_waitcnt vmcnt(0)
	v_dual_cndmask_b32 v10, 0, v3 :: v_dual_add_nc_u32 v5, 1, v8
	v_ashrrev_i32_e32 v6, 31, v5
	s_delay_alu instid0(VALU_DEP_1)
	v_cmp_ge_i64_e32 vcc_lo, s[4:5], v[5:6]
	v_cndmask_b32_e32 v7, 0, v7, vcc_lo
.LBB25_46:                              ;   in Loop: Header=BB25_3 Depth=1
	s_or_b32 exec_lo, exec_lo, s0
	s_delay_alu instid0(SALU_CYCLE_1)
	s_mov_b32 s0, exec_lo
	v_cmpx_gt_i32_e64 s9, v19
	s_cbranch_execz .LBB25_2
; %bb.47:                               ;   in Loop: Header=BB25_3 Depth=1
	v_ashrrev_i32_e32 v5, 31, v4
	s_mov_b32 s13, exec_lo
	s_delay_alu instid0(VALU_DEP_1) | instskip(SKIP_1) | instid1(VALU_DEP_2)
	v_lshlrev_b64 v[3:4], 2, v[4:5]
	v_add_nc_u32_e32 v5, 1, v19
	v_add_co_u32 v3, vcc_lo, s14, v3
	s_delay_alu instid0(VALU_DEP_3)
	v_add_co_ci_u32_e32 v4, vcc_lo, s15, v4, vcc_lo
	global_store_b32 v[3:4], v10, off
	v_cmpx_gt_i32_e64 s9, v5
	s_xor_b32 s13, exec_lo, s13
	s_cbranch_execz .LBB25_2
; %bb.48:                               ;   in Loop: Header=BB25_3 Depth=1
	s_lshl_b64 s[22:23], s[20:21], 2
	s_delay_alu instid0(SALU_CYCLE_1)
	v_add_co_u32 v3, vcc_lo, v3, s22
	v_add_co_ci_u32_e32 v4, vcc_lo, s23, v4, vcc_lo
	global_store_b32 v[3:4], v7, off
	s_branch .LBB25_2
.LBB25_49:
	s_nop 0
	s_sendmsg sendmsg(MSG_DEALLOC_VGPRS)
	s_endpgm
	.section	.rodata,"a",@progbits
	.p2align	6, 0x0
	.amdhsa_kernel _ZN2at6native16triu_tril_kernelIfiLb0ELi2ELb0EEEvNS_4cuda6detail10TensorInfoIT_T0_EENS4_IKS5_S6_EEllS6_
		.amdhsa_group_segment_fixed_size 0
		.amdhsa_private_segment_fixed_size 0
		.amdhsa_kernarg_size 712
		.amdhsa_user_sgpr_count 15
		.amdhsa_user_sgpr_dispatch_ptr 0
		.amdhsa_user_sgpr_queue_ptr 0
		.amdhsa_user_sgpr_kernarg_segment_ptr 1
		.amdhsa_user_sgpr_dispatch_id 0
		.amdhsa_user_sgpr_private_segment_size 0
		.amdhsa_wavefront_size32 1
		.amdhsa_uses_dynamic_stack 0
		.amdhsa_enable_private_segment 0
		.amdhsa_system_sgpr_workgroup_id_x 1
		.amdhsa_system_sgpr_workgroup_id_y 0
		.amdhsa_system_sgpr_workgroup_id_z 0
		.amdhsa_system_sgpr_workgroup_info 0
		.amdhsa_system_vgpr_workitem_id 0
		.amdhsa_next_free_vgpr 25
		.amdhsa_next_free_sgpr 54
		.amdhsa_reserve_vcc 1
		.amdhsa_float_round_mode_32 0
		.amdhsa_float_round_mode_16_64 0
		.amdhsa_float_denorm_mode_32 3
		.amdhsa_float_denorm_mode_16_64 3
		.amdhsa_dx10_clamp 1
		.amdhsa_ieee_mode 1
		.amdhsa_fp16_overflow 0
		.amdhsa_workgroup_processor_mode 1
		.amdhsa_memory_ordered 1
		.amdhsa_forward_progress 0
		.amdhsa_shared_vgpr_count 0
		.amdhsa_exception_fp_ieee_invalid_op 0
		.amdhsa_exception_fp_denorm_src 0
		.amdhsa_exception_fp_ieee_div_zero 0
		.amdhsa_exception_fp_ieee_overflow 0
		.amdhsa_exception_fp_ieee_underflow 0
		.amdhsa_exception_fp_ieee_inexact 0
		.amdhsa_exception_int_div_zero 0
	.end_amdhsa_kernel
	.section	.text._ZN2at6native16triu_tril_kernelIfiLb0ELi2ELb0EEEvNS_4cuda6detail10TensorInfoIT_T0_EENS4_IKS5_S6_EEllS6_,"axG",@progbits,_ZN2at6native16triu_tril_kernelIfiLb0ELi2ELb0EEEvNS_4cuda6detail10TensorInfoIT_T0_EENS4_IKS5_S6_EEllS6_,comdat
.Lfunc_end25:
	.size	_ZN2at6native16triu_tril_kernelIfiLb0ELi2ELb0EEEvNS_4cuda6detail10TensorInfoIT_T0_EENS4_IKS5_S6_EEllS6_, .Lfunc_end25-_ZN2at6native16triu_tril_kernelIfiLb0ELi2ELb0EEEvNS_4cuda6detail10TensorInfoIT_T0_EENS4_IKS5_S6_EEllS6_
                                        ; -- End function
	.section	.AMDGPU.csdata,"",@progbits
; Kernel info:
; codeLenInByte = 8340
; NumSgprs: 56
; NumVgprs: 25
; ScratchSize: 0
; MemoryBound: 0
; FloatMode: 240
; IeeeMode: 1
; LDSByteSize: 0 bytes/workgroup (compile time only)
; SGPRBlocks: 6
; VGPRBlocks: 3
; NumSGPRsForWavesPerEU: 56
; NumVGPRsForWavesPerEU: 25
; Occupancy: 16
; WaveLimiterHint : 0
; COMPUTE_PGM_RSRC2:SCRATCH_EN: 0
; COMPUTE_PGM_RSRC2:USER_SGPR: 15
; COMPUTE_PGM_RSRC2:TRAP_HANDLER: 0
; COMPUTE_PGM_RSRC2:TGID_X_EN: 1
; COMPUTE_PGM_RSRC2:TGID_Y_EN: 0
; COMPUTE_PGM_RSRC2:TGID_Z_EN: 0
; COMPUTE_PGM_RSRC2:TIDIG_COMP_CNT: 0
	.section	.text._ZN2at6native16triu_tril_kernelIflLb0ELi2ELb1EEEvNS_4cuda6detail10TensorInfoIT_T0_EENS4_IKS5_S6_EEllS6_,"axG",@progbits,_ZN2at6native16triu_tril_kernelIflLb0ELi2ELb1EEEvNS_4cuda6detail10TensorInfoIT_T0_EENS4_IKS5_S6_EEllS6_,comdat
	.protected	_ZN2at6native16triu_tril_kernelIflLb0ELi2ELb1EEEvNS_4cuda6detail10TensorInfoIT_T0_EENS4_IKS5_S6_EEllS6_ ; -- Begin function _ZN2at6native16triu_tril_kernelIflLb0ELi2ELb1EEEvNS_4cuda6detail10TensorInfoIT_T0_EENS4_IKS5_S6_EEllS6_
	.globl	_ZN2at6native16triu_tril_kernelIflLb0ELi2ELb1EEEvNS_4cuda6detail10TensorInfoIT_T0_EENS4_IKS5_S6_EEllS6_
	.p2align	8
	.type	_ZN2at6native16triu_tril_kernelIflLb0ELi2ELb1EEEvNS_4cuda6detail10TensorInfoIT_T0_EENS4_IKS5_S6_EEllS6_,@function
_ZN2at6native16triu_tril_kernelIflLb0ELi2ELb1EEEvNS_4cuda6detail10TensorInfoIT_T0_EENS4_IKS5_S6_EEllS6_: ; @_ZN2at6native16triu_tril_kernelIflLb0ELi2ELb1EEEvNS_4cuda6detail10TensorInfoIT_T0_EENS4_IKS5_S6_EEllS6_
; %bb.0:
	s_clause 0x1
	s_load_b32 s2, s[0:1], 0x364
	s_load_b128 s[4:7], s[0:1], 0x340
	v_mov_b32_e32 v2, 0
	s_add_u32 s8, s0, 0x358
	s_addc_u32 s9, s1, 0
	s_delay_alu instid0(VALU_DEP_1) | instskip(SKIP_3) | instid1(VALU_DEP_1)
	v_mov_b32_e32 v1, v2
	s_waitcnt lgkmcnt(0)
	s_and_b32 s10, s2, 0xffff
	s_mov_b32 s2, exec_lo
	v_mad_u64_u32 v[3:4], null, s10, s15, v[0:1]
	s_delay_alu instid0(VALU_DEP_1) | instskip(NEXT) | instid1(VALU_DEP_1)
	v_lshlrev_b64 v[0:1], 1, v[3:4]
	v_cmpx_gt_i64_e64 s[6:7], v[0:1]
	s_cbranch_execz .LBB26_23
; %bb.1:
	s_clause 0x1
	s_load_b32 s24, s[0:1], 0x338
	s_load_b64 s[2:3], s[0:1], 0x350
	s_load_b32 s11, s[8:9], 0x0
	s_load_b64 s[8:9], s[0:1], 0x0
	s_mov_b32 s44, 0
	s_waitcnt lgkmcnt(0)
	s_ashr_i32 s25, s24, 31
	s_add_u32 s26, s0, 0x1a8
	s_addc_u32 s27, s1, 0
	s_lshl_b64 s[12:13], s[24:25], 3
	v_cvt_f32_u32_e32 v3, s2
	s_add_u32 s14, s12, -16
	s_addc_u32 s15, s13, -1
	s_add_u32 s22, s26, s14
	s_addc_u32 s23, s27, s15
	v_rcp_iflag_f32_e32 v3, v3
	s_add_u32 s17, s12, -8
	s_addc_u32 s18, s13, -1
	s_add_u32 s0, s0, 0xd0
	s_addc_u32 s28, s1, 0
	s_mul_i32 s16, s11, s10
	s_add_u32 s10, s0, s17
	s_addc_u32 s11, s28, s18
	s_add_u32 s12, s0, s14
	s_addc_u32 s13, s28, s15
	s_add_i32 s20, s24, -3
	s_waitcnt_depctr 0xfff
	v_mul_f32_e32 v3, 0x4f7ffffe, v3
	s_ashr_i32 s21, s20, 31
	s_add_u32 s14, s26, s17
	s_addc_u32 s15, s27, s18
	s_lshl_b64 s[18:19], s[20:21], 3
	s_lshl_b32 s1, s16, 1
	s_add_u32 s16, s0, s18
	s_addc_u32 s17, s28, s19
	v_cvt_u32_f32_e32 v3, v3
	s_add_u32 s18, s26, s18
	s_addc_u32 s19, s27, s19
	s_add_u32 s20, s20, 1
	s_addc_u32 s21, s21, 0
	s_sub_i32 s0, 0, s2
	s_load_b64 s[22:23], s[22:23], 0x0
	v_mul_lo_u32 v4, s0, v3
	v_cmp_gt_i64_e64 s33, s[24:25], 2
	s_ashr_i32 s24, s3, 31
	s_delay_alu instid0(VALU_DEP_2) | instskip(NEXT) | instid1(VALU_DEP_1)
	v_mul_hi_u32 v4, v3, v4
	v_add_nc_u32_e32 v16, v3, v4
	s_waitcnt lgkmcnt(0)
	s_ashr_i32 s26, s23, 31
	s_branch .LBB26_3
.LBB26_2:                               ;   in Loop: Header=BB26_3 Depth=1
	s_or_b32 exec_lo, exec_lo, s25
	v_add_co_u32 v0, vcc_lo, v0, s1
	v_add_co_ci_u32_e32 v1, vcc_lo, 0, v1, vcc_lo
	s_delay_alu instid0(VALU_DEP_1) | instskip(SKIP_1) | instid1(SALU_CYCLE_1)
	v_cmp_le_i64_e32 vcc_lo, s[6:7], v[0:1]
	s_or_b32 s44, vcc_lo, s44
	s_and_not1_b32 exec_lo, exec_lo, s44
	s_cbranch_execz .LBB26_23
.LBB26_3:                               ; =>This Loop Header: Depth=1
                                        ;     Child Loop BB26_19 Depth 2
	v_or_b32_e32 v3, s3, v1
                                        ; implicit-def: $vgpr6_vgpr7
	s_mov_b32 s0, exec_lo
	s_delay_alu instid0(VALU_DEP_1)
	v_cmpx_ne_u64_e32 0, v[2:3]
	s_xor_b32 s27, exec_lo, s0
	s_cbranch_execz .LBB26_5
; %bb.4:                                ;   in Loop: Header=BB26_3 Depth=1
	s_add_u32 s28, s2, s24
	s_mov_b32 s25, s24
	s_addc_u32 s29, s3, s24
	s_delay_alu instid0(SALU_CYCLE_1) | instskip(NEXT) | instid1(SALU_CYCLE_1)
	s_xor_b64 s[28:29], s[28:29], s[24:25]
	v_cvt_f32_u32_e32 v3, s28
	v_cvt_f32_u32_e32 v4, s29
	s_sub_u32 s0, 0, s28
	s_subb_u32 s25, 0, s29
	s_delay_alu instid0(VALU_DEP_1) | instskip(NEXT) | instid1(VALU_DEP_1)
	v_fmac_f32_e32 v3, 0x4f800000, v4
	v_rcp_f32_e32 v3, v3
	s_waitcnt_depctr 0xfff
	v_mul_f32_e32 v3, 0x5f7ffffc, v3
	s_delay_alu instid0(VALU_DEP_1) | instskip(NEXT) | instid1(VALU_DEP_1)
	v_mul_f32_e32 v4, 0x2f800000, v3
	v_trunc_f32_e32 v4, v4
	s_delay_alu instid0(VALU_DEP_1) | instskip(SKIP_1) | instid1(VALU_DEP_2)
	v_fmac_f32_e32 v3, 0xcf800000, v4
	v_cvt_u32_f32_e32 v4, v4
	v_cvt_u32_f32_e32 v3, v3
	s_delay_alu instid0(VALU_DEP_2) | instskip(NEXT) | instid1(VALU_DEP_2)
	v_mul_lo_u32 v5, s0, v4
	v_mul_hi_u32 v6, s0, v3
	v_mul_lo_u32 v7, s25, v3
	s_delay_alu instid0(VALU_DEP_2) | instskip(SKIP_1) | instid1(VALU_DEP_2)
	v_add_nc_u32_e32 v5, v6, v5
	v_mul_lo_u32 v6, s0, v3
	v_add_nc_u32_e32 v5, v5, v7
	s_delay_alu instid0(VALU_DEP_2) | instskip(NEXT) | instid1(VALU_DEP_2)
	v_mul_hi_u32 v7, v3, v6
	v_mul_lo_u32 v8, v3, v5
	v_mul_hi_u32 v9, v3, v5
	v_mul_hi_u32 v10, v4, v6
	v_mul_lo_u32 v6, v4, v6
	v_mul_hi_u32 v11, v4, v5
	v_mul_lo_u32 v5, v4, v5
	v_add_co_u32 v7, vcc_lo, v7, v8
	v_add_co_ci_u32_e32 v8, vcc_lo, 0, v9, vcc_lo
	s_delay_alu instid0(VALU_DEP_2) | instskip(NEXT) | instid1(VALU_DEP_2)
	v_add_co_u32 v6, vcc_lo, v7, v6
	v_add_co_ci_u32_e32 v6, vcc_lo, v8, v10, vcc_lo
	v_add_co_ci_u32_e32 v7, vcc_lo, 0, v11, vcc_lo
	v_ashrrev_i32_e32 v10, 31, v1
	s_delay_alu instid0(VALU_DEP_3) | instskip(NEXT) | instid1(VALU_DEP_3)
	v_add_co_u32 v5, vcc_lo, v6, v5
	v_add_co_ci_u32_e32 v6, vcc_lo, 0, v7, vcc_lo
	s_delay_alu instid0(VALU_DEP_2) | instskip(NEXT) | instid1(VALU_DEP_2)
	v_add_co_u32 v3, vcc_lo, v3, v5
	v_add_co_ci_u32_e32 v4, vcc_lo, v4, v6, vcc_lo
	s_delay_alu instid0(VALU_DEP_2) | instskip(SKIP_1) | instid1(VALU_DEP_3)
	v_mul_hi_u32 v5, s0, v3
	v_mul_lo_u32 v7, s25, v3
	v_mul_lo_u32 v6, s0, v4
	s_delay_alu instid0(VALU_DEP_1) | instskip(SKIP_1) | instid1(VALU_DEP_2)
	v_add_nc_u32_e32 v5, v5, v6
	v_mul_lo_u32 v6, s0, v3
	v_add_nc_u32_e32 v5, v5, v7
	s_delay_alu instid0(VALU_DEP_2) | instskip(NEXT) | instid1(VALU_DEP_2)
	v_mul_hi_u32 v7, v3, v6
	v_mul_lo_u32 v8, v3, v5
	v_mul_hi_u32 v9, v3, v5
	v_mul_hi_u32 v11, v4, v6
	v_mul_lo_u32 v6, v4, v6
	v_mul_hi_u32 v12, v4, v5
	v_mul_lo_u32 v5, v4, v5
	v_add_co_u32 v7, vcc_lo, v7, v8
	v_add_co_ci_u32_e32 v8, vcc_lo, 0, v9, vcc_lo
	s_delay_alu instid0(VALU_DEP_2) | instskip(NEXT) | instid1(VALU_DEP_2)
	v_add_co_u32 v6, vcc_lo, v7, v6
	v_add_co_ci_u32_e32 v6, vcc_lo, v8, v11, vcc_lo
	v_add_co_ci_u32_e32 v7, vcc_lo, 0, v12, vcc_lo
	v_add_co_u32 v8, vcc_lo, v0, v10
	v_add_co_ci_u32_e32 v9, vcc_lo, v1, v10, vcc_lo
	s_delay_alu instid0(VALU_DEP_4) | instskip(NEXT) | instid1(VALU_DEP_4)
	v_add_co_u32 v5, vcc_lo, v6, v5
	v_add_co_ci_u32_e32 v6, vcc_lo, 0, v7, vcc_lo
	s_delay_alu instid0(VALU_DEP_4) | instskip(NEXT) | instid1(VALU_DEP_3)
	v_xor_b32_e32 v11, v8, v10
	v_add_co_u32 v7, vcc_lo, v3, v5
	s_delay_alu instid0(VALU_DEP_3) | instskip(SKIP_1) | instid1(VALU_DEP_3)
	v_add_co_ci_u32_e32 v12, vcc_lo, v4, v6, vcc_lo
	v_xor_b32_e32 v9, v9, v10
	v_mul_hi_u32 v13, v11, v7
	s_delay_alu instid0(VALU_DEP_3) | instskip(NEXT) | instid1(VALU_DEP_3)
	v_mad_u64_u32 v[3:4], null, v11, v12, 0
	v_mad_u64_u32 v[5:6], null, v9, v7, 0
	;; [unrolled: 1-line block ×3, first 2 shown]
	s_delay_alu instid0(VALU_DEP_3) | instskip(NEXT) | instid1(VALU_DEP_4)
	v_add_co_u32 v3, vcc_lo, v13, v3
	v_add_co_ci_u32_e32 v4, vcc_lo, 0, v4, vcc_lo
	s_delay_alu instid0(VALU_DEP_2) | instskip(NEXT) | instid1(VALU_DEP_2)
	v_add_co_u32 v3, vcc_lo, v3, v5
	v_add_co_ci_u32_e32 v3, vcc_lo, v4, v6, vcc_lo
	v_add_co_ci_u32_e32 v4, vcc_lo, 0, v8, vcc_lo
	s_delay_alu instid0(VALU_DEP_2) | instskip(NEXT) | instid1(VALU_DEP_2)
	v_add_co_u32 v5, vcc_lo, v3, v7
	v_add_co_ci_u32_e32 v6, vcc_lo, 0, v4, vcc_lo
	s_delay_alu instid0(VALU_DEP_2) | instskip(SKIP_1) | instid1(VALU_DEP_3)
	v_mul_lo_u32 v7, s29, v5
	v_mad_u64_u32 v[3:4], null, s28, v5, 0
	v_mul_lo_u32 v8, s28, v6
	s_delay_alu instid0(VALU_DEP_2) | instskip(NEXT) | instid1(VALU_DEP_2)
	v_sub_co_u32 v3, vcc_lo, v11, v3
	v_add3_u32 v4, v4, v8, v7
	s_delay_alu instid0(VALU_DEP_1) | instskip(NEXT) | instid1(VALU_DEP_1)
	v_sub_nc_u32_e32 v7, v9, v4
	v_subrev_co_ci_u32_e64 v7, s0, s29, v7, vcc_lo
	v_add_co_u32 v8, s0, v5, 2
	s_delay_alu instid0(VALU_DEP_1) | instskip(SKIP_3) | instid1(VALU_DEP_3)
	v_add_co_ci_u32_e64 v11, s0, 0, v6, s0
	v_sub_co_u32 v12, s0, v3, s28
	v_sub_co_ci_u32_e32 v4, vcc_lo, v9, v4, vcc_lo
	v_subrev_co_ci_u32_e64 v7, s0, 0, v7, s0
	v_cmp_le_u32_e32 vcc_lo, s28, v12
	s_delay_alu instid0(VALU_DEP_3) | instskip(SKIP_1) | instid1(VALU_DEP_4)
	v_cmp_eq_u32_e64 s0, s29, v4
	v_cndmask_b32_e64 v9, 0, -1, vcc_lo
	v_cmp_le_u32_e32 vcc_lo, s29, v7
	v_cndmask_b32_e64 v12, 0, -1, vcc_lo
	v_cmp_le_u32_e32 vcc_lo, s28, v3
	;; [unrolled: 2-line block ×3, first 2 shown]
	v_cndmask_b32_e64 v13, 0, -1, vcc_lo
	v_cmp_eq_u32_e32 vcc_lo, s29, v7
	s_delay_alu instid0(VALU_DEP_2) | instskip(SKIP_3) | instid1(VALU_DEP_3)
	v_cndmask_b32_e64 v3, v13, v3, s0
	v_cndmask_b32_e32 v7, v12, v9, vcc_lo
	v_add_co_u32 v9, vcc_lo, v5, 1
	v_add_co_ci_u32_e32 v12, vcc_lo, 0, v6, vcc_lo
	v_cmp_ne_u32_e32 vcc_lo, 0, v7
	s_delay_alu instid0(VALU_DEP_2) | instskip(SKIP_2) | instid1(VALU_DEP_3)
	v_dual_cndmask_b32 v4, v12, v11 :: v_dual_cndmask_b32 v7, v9, v8
	v_cmp_ne_u32_e32 vcc_lo, 0, v3
	v_xor_b32_e32 v3, s24, v10
	v_dual_cndmask_b32 v5, v5, v7 :: v_dual_cndmask_b32 v4, v6, v4
	s_delay_alu instid0(VALU_DEP_1) | instskip(NEXT) | instid1(VALU_DEP_2)
	v_xor_b32_e32 v5, v5, v3
	v_xor_b32_e32 v4, v4, v3
	s_delay_alu instid0(VALU_DEP_2) | instskip(NEXT) | instid1(VALU_DEP_2)
	v_sub_co_u32 v6, vcc_lo, v5, v3
	v_sub_co_ci_u32_e32 v7, vcc_lo, v4, v3, vcc_lo
.LBB26_5:                               ;   in Loop: Header=BB26_3 Depth=1
	s_and_not1_saveexec_b32 s0, s27
; %bb.6:                                ;   in Loop: Header=BB26_3 Depth=1
	v_mul_hi_u32 v3, v0, v16
	v_mov_b32_e32 v7, v2
	s_delay_alu instid0(VALU_DEP_2) | instskip(NEXT) | instid1(VALU_DEP_1)
	v_mul_lo_u32 v4, v3, s2
	v_sub_nc_u32_e32 v4, v0, v4
	s_delay_alu instid0(VALU_DEP_1) | instskip(SKIP_1) | instid1(VALU_DEP_2)
	v_subrev_nc_u32_e32 v6, s2, v4
	v_cmp_le_u32_e32 vcc_lo, s2, v4
	v_dual_cndmask_b32 v4, v4, v6 :: v_dual_add_nc_u32 v5, 1, v3
	s_delay_alu instid0(VALU_DEP_1) | instskip(NEXT) | instid1(VALU_DEP_2)
	v_cndmask_b32_e32 v3, v3, v5, vcc_lo
	v_cmp_le_u32_e32 vcc_lo, s2, v4
	s_delay_alu instid0(VALU_DEP_2) | instskip(NEXT) | instid1(VALU_DEP_1)
	v_add_nc_u32_e32 v5, 1, v3
	v_cndmask_b32_e32 v6, v3, v5, vcc_lo
; %bb.7:                                ;   in Loop: Header=BB26_3 Depth=1
	s_or_b32 exec_lo, exec_lo, s0
	v_or_b32_e32 v3, s23, v7
                                        ; implicit-def: $vgpr8_vgpr9
	s_mov_b32 s0, exec_lo
	s_delay_alu instid0(VALU_DEP_1)
	v_cmpx_ne_u64_e32 0, v[2:3]
	s_xor_b32 s25, exec_lo, s0
	s_cbranch_execz .LBB26_9
; %bb.8:                                ;   in Loop: Header=BB26_3 Depth=1
	s_add_u32 s28, s22, s26
	s_mov_b32 s27, s26
	s_addc_u32 s29, s23, s26
	s_delay_alu instid0(SALU_CYCLE_1) | instskip(NEXT) | instid1(SALU_CYCLE_1)
	s_xor_b64 s[28:29], s[28:29], s[26:27]
	v_cvt_f32_u32_e32 v3, s28
	v_cvt_f32_u32_e32 v4, s29
	s_sub_u32 s0, 0, s28
	s_subb_u32 s27, 0, s29
	s_delay_alu instid0(VALU_DEP_1) | instskip(NEXT) | instid1(VALU_DEP_1)
	v_fmac_f32_e32 v3, 0x4f800000, v4
	v_rcp_f32_e32 v3, v3
	s_waitcnt_depctr 0xfff
	v_mul_f32_e32 v3, 0x5f7ffffc, v3
	s_delay_alu instid0(VALU_DEP_1) | instskip(NEXT) | instid1(VALU_DEP_1)
	v_mul_f32_e32 v4, 0x2f800000, v3
	v_trunc_f32_e32 v4, v4
	s_delay_alu instid0(VALU_DEP_1) | instskip(SKIP_1) | instid1(VALU_DEP_2)
	v_fmac_f32_e32 v3, 0xcf800000, v4
	v_cvt_u32_f32_e32 v4, v4
	v_cvt_u32_f32_e32 v3, v3
	s_delay_alu instid0(VALU_DEP_2) | instskip(NEXT) | instid1(VALU_DEP_2)
	v_mul_lo_u32 v5, s0, v4
	v_mul_hi_u32 v8, s0, v3
	v_mul_lo_u32 v9, s27, v3
	s_delay_alu instid0(VALU_DEP_2) | instskip(SKIP_1) | instid1(VALU_DEP_2)
	v_add_nc_u32_e32 v5, v8, v5
	v_mul_lo_u32 v8, s0, v3
	v_add_nc_u32_e32 v5, v5, v9
	s_delay_alu instid0(VALU_DEP_2) | instskip(NEXT) | instid1(VALU_DEP_2)
	v_mul_hi_u32 v9, v3, v8
	v_mul_lo_u32 v10, v3, v5
	v_mul_hi_u32 v11, v3, v5
	v_mul_hi_u32 v12, v4, v8
	v_mul_lo_u32 v8, v4, v8
	v_mul_hi_u32 v13, v4, v5
	v_mul_lo_u32 v5, v4, v5
	v_add_co_u32 v9, vcc_lo, v9, v10
	v_add_co_ci_u32_e32 v10, vcc_lo, 0, v11, vcc_lo
	s_delay_alu instid0(VALU_DEP_2) | instskip(NEXT) | instid1(VALU_DEP_2)
	v_add_co_u32 v8, vcc_lo, v9, v8
	v_add_co_ci_u32_e32 v8, vcc_lo, v10, v12, vcc_lo
	v_add_co_ci_u32_e32 v9, vcc_lo, 0, v13, vcc_lo
	v_ashrrev_i32_e32 v12, 31, v7
	s_delay_alu instid0(VALU_DEP_3) | instskip(NEXT) | instid1(VALU_DEP_3)
	v_add_co_u32 v5, vcc_lo, v8, v5
	v_add_co_ci_u32_e32 v8, vcc_lo, 0, v9, vcc_lo
	s_delay_alu instid0(VALU_DEP_2) | instskip(NEXT) | instid1(VALU_DEP_2)
	v_add_co_u32 v3, vcc_lo, v3, v5
	v_add_co_ci_u32_e32 v4, vcc_lo, v4, v8, vcc_lo
	s_delay_alu instid0(VALU_DEP_2) | instskip(SKIP_1) | instid1(VALU_DEP_3)
	v_mul_hi_u32 v5, s0, v3
	v_mul_lo_u32 v9, s27, v3
	v_mul_lo_u32 v8, s0, v4
	s_delay_alu instid0(VALU_DEP_1) | instskip(SKIP_1) | instid1(VALU_DEP_2)
	v_add_nc_u32_e32 v5, v5, v8
	v_mul_lo_u32 v8, s0, v3
	v_add_nc_u32_e32 v5, v5, v9
	s_delay_alu instid0(VALU_DEP_2) | instskip(NEXT) | instid1(VALU_DEP_2)
	v_mul_hi_u32 v9, v3, v8
	v_mul_lo_u32 v10, v3, v5
	v_mul_hi_u32 v11, v3, v5
	v_mul_hi_u32 v13, v4, v8
	v_mul_lo_u32 v8, v4, v8
	v_mul_hi_u32 v14, v4, v5
	v_mul_lo_u32 v5, v4, v5
	v_add_co_u32 v9, vcc_lo, v9, v10
	v_add_co_ci_u32_e32 v10, vcc_lo, 0, v11, vcc_lo
	s_delay_alu instid0(VALU_DEP_2) | instskip(NEXT) | instid1(VALU_DEP_2)
	v_add_co_u32 v8, vcc_lo, v9, v8
	v_add_co_ci_u32_e32 v8, vcc_lo, v10, v13, vcc_lo
	v_add_co_ci_u32_e32 v9, vcc_lo, 0, v14, vcc_lo
	v_add_co_u32 v10, vcc_lo, v6, v12
	v_add_co_ci_u32_e32 v11, vcc_lo, v7, v12, vcc_lo
	s_delay_alu instid0(VALU_DEP_4) | instskip(NEXT) | instid1(VALU_DEP_4)
	v_add_co_u32 v5, vcc_lo, v8, v5
	v_add_co_ci_u32_e32 v8, vcc_lo, 0, v9, vcc_lo
	s_delay_alu instid0(VALU_DEP_4) | instskip(NEXT) | instid1(VALU_DEP_3)
	v_xor_b32_e32 v13, v10, v12
	v_add_co_u32 v5, vcc_lo, v3, v5
	s_delay_alu instid0(VALU_DEP_3) | instskip(SKIP_1) | instid1(VALU_DEP_3)
	v_add_co_ci_u32_e32 v14, vcc_lo, v4, v8, vcc_lo
	v_xor_b32_e32 v15, v11, v12
	v_mul_hi_u32 v17, v13, v5
	s_delay_alu instid0(VALU_DEP_3) | instskip(NEXT) | instid1(VALU_DEP_3)
	v_mad_u64_u32 v[3:4], null, v13, v14, 0
	v_mad_u64_u32 v[8:9], null, v15, v5, 0
	;; [unrolled: 1-line block ×3, first 2 shown]
	s_delay_alu instid0(VALU_DEP_3) | instskip(NEXT) | instid1(VALU_DEP_4)
	v_add_co_u32 v3, vcc_lo, v17, v3
	v_add_co_ci_u32_e32 v4, vcc_lo, 0, v4, vcc_lo
	s_delay_alu instid0(VALU_DEP_2) | instskip(NEXT) | instid1(VALU_DEP_2)
	v_add_co_u32 v3, vcc_lo, v3, v8
	v_add_co_ci_u32_e32 v3, vcc_lo, v4, v9, vcc_lo
	v_add_co_ci_u32_e32 v4, vcc_lo, 0, v11, vcc_lo
	s_delay_alu instid0(VALU_DEP_2) | instskip(NEXT) | instid1(VALU_DEP_2)
	v_add_co_u32 v5, vcc_lo, v3, v10
	v_add_co_ci_u32_e32 v8, vcc_lo, 0, v4, vcc_lo
	s_delay_alu instid0(VALU_DEP_2) | instskip(SKIP_1) | instid1(VALU_DEP_3)
	v_mul_lo_u32 v9, s29, v5
	v_mad_u64_u32 v[3:4], null, s28, v5, 0
	v_mul_lo_u32 v10, s28, v8
	s_delay_alu instid0(VALU_DEP_2) | instskip(NEXT) | instid1(VALU_DEP_2)
	v_sub_co_u32 v3, vcc_lo, v13, v3
	v_add3_u32 v4, v4, v10, v9
	s_delay_alu instid0(VALU_DEP_1) | instskip(NEXT) | instid1(VALU_DEP_1)
	v_sub_nc_u32_e32 v9, v15, v4
	v_subrev_co_ci_u32_e64 v9, s0, s29, v9, vcc_lo
	v_add_co_u32 v10, s0, v5, 2
	s_delay_alu instid0(VALU_DEP_1) | instskip(SKIP_3) | instid1(VALU_DEP_3)
	v_add_co_ci_u32_e64 v11, s0, 0, v8, s0
	v_sub_co_u32 v13, s0, v3, s28
	v_sub_co_ci_u32_e32 v4, vcc_lo, v15, v4, vcc_lo
	v_subrev_co_ci_u32_e64 v9, s0, 0, v9, s0
	v_cmp_le_u32_e32 vcc_lo, s28, v13
	s_delay_alu instid0(VALU_DEP_3) | instskip(SKIP_1) | instid1(VALU_DEP_4)
	v_cmp_eq_u32_e64 s0, s29, v4
	v_cndmask_b32_e64 v13, 0, -1, vcc_lo
	v_cmp_le_u32_e32 vcc_lo, s29, v9
	v_cndmask_b32_e64 v14, 0, -1, vcc_lo
	v_cmp_le_u32_e32 vcc_lo, s28, v3
	;; [unrolled: 2-line block ×3, first 2 shown]
	v_cndmask_b32_e64 v15, 0, -1, vcc_lo
	v_cmp_eq_u32_e32 vcc_lo, s29, v9
	s_delay_alu instid0(VALU_DEP_2) | instskip(SKIP_3) | instid1(VALU_DEP_3)
	v_cndmask_b32_e64 v3, v15, v3, s0
	v_cndmask_b32_e32 v9, v14, v13, vcc_lo
	v_add_co_u32 v13, vcc_lo, v5, 1
	v_add_co_ci_u32_e32 v14, vcc_lo, 0, v8, vcc_lo
	v_cmp_ne_u32_e32 vcc_lo, 0, v9
	s_delay_alu instid0(VALU_DEP_2) | instskip(SKIP_2) | instid1(VALU_DEP_3)
	v_dual_cndmask_b32 v4, v14, v11 :: v_dual_cndmask_b32 v9, v13, v10
	v_cmp_ne_u32_e32 vcc_lo, 0, v3
	v_xor_b32_e32 v3, s26, v12
	v_dual_cndmask_b32 v5, v5, v9 :: v_dual_cndmask_b32 v4, v8, v4
	s_delay_alu instid0(VALU_DEP_1) | instskip(NEXT) | instid1(VALU_DEP_2)
	v_xor_b32_e32 v5, v5, v3
	v_xor_b32_e32 v4, v4, v3
	s_delay_alu instid0(VALU_DEP_2) | instskip(NEXT) | instid1(VALU_DEP_2)
	v_sub_co_u32 v8, vcc_lo, v5, v3
	v_sub_co_ci_u32_e32 v9, vcc_lo, v4, v3, vcc_lo
.LBB26_9:                               ;   in Loop: Header=BB26_3 Depth=1
	s_and_not1_saveexec_b32 s0, s25
	s_cbranch_execz .LBB26_11
; %bb.10:                               ;   in Loop: Header=BB26_3 Depth=1
	v_cvt_f32_u32_e32 v3, s22
	s_sub_i32 s25, 0, s22
	v_mov_b32_e32 v9, v2
	s_delay_alu instid0(VALU_DEP_2) | instskip(SKIP_2) | instid1(VALU_DEP_1)
	v_rcp_iflag_f32_e32 v3, v3
	s_waitcnt_depctr 0xfff
	v_mul_f32_e32 v3, 0x4f7ffffe, v3
	v_cvt_u32_f32_e32 v3, v3
	s_delay_alu instid0(VALU_DEP_1) | instskip(NEXT) | instid1(VALU_DEP_1)
	v_mul_lo_u32 v4, s25, v3
	v_mul_hi_u32 v4, v3, v4
	s_delay_alu instid0(VALU_DEP_1) | instskip(NEXT) | instid1(VALU_DEP_1)
	v_add_nc_u32_e32 v3, v3, v4
	v_mul_hi_u32 v3, v6, v3
	s_delay_alu instid0(VALU_DEP_1) | instskip(SKIP_1) | instid1(VALU_DEP_2)
	v_mul_lo_u32 v4, v3, s22
	v_add_nc_u32_e32 v5, 1, v3
	v_sub_nc_u32_e32 v4, v6, v4
	s_delay_alu instid0(VALU_DEP_1) | instskip(SKIP_1) | instid1(VALU_DEP_2)
	v_subrev_nc_u32_e32 v8, s22, v4
	v_cmp_le_u32_e32 vcc_lo, s22, v4
	v_dual_cndmask_b32 v4, v4, v8 :: v_dual_cndmask_b32 v3, v3, v5
	s_delay_alu instid0(VALU_DEP_1) | instskip(NEXT) | instid1(VALU_DEP_2)
	v_cmp_le_u32_e32 vcc_lo, s22, v4
	v_add_nc_u32_e32 v5, 1, v3
	s_delay_alu instid0(VALU_DEP_1)
	v_cndmask_b32_e32 v8, v3, v5, vcc_lo
.LBB26_11:                              ;   in Loop: Header=BB26_3 Depth=1
	s_or_b32 exec_lo, exec_lo, s0
	v_mul_lo_u32 v5, v7, s2
	v_mul_lo_u32 v12, v6, s3
	v_mad_u64_u32 v[3:4], null, v6, s2, 0
	v_mul_lo_u32 v13, v9, s22
	v_mul_lo_u32 v14, v8, s23
	v_mad_u64_u32 v[10:11], null, v8, s22, 0
	s_mov_b32 s25, exec_lo
	s_delay_alu instid0(VALU_DEP_4) | instskip(SKIP_1) | instid1(VALU_DEP_3)
	v_add3_u32 v5, v4, v12, v5
	v_sub_co_u32 v4, vcc_lo, v0, v3
	v_add3_u32 v11, v11, v14, v13
	s_delay_alu instid0(VALU_DEP_3) | instskip(SKIP_1) | instid1(VALU_DEP_3)
	v_sub_co_ci_u32_e32 v5, vcc_lo, v1, v5, vcc_lo
	v_sub_co_u32 v17, vcc_lo, v6, v10
	v_sub_co_ci_u32_e32 v18, vcc_lo, v7, v11, vcc_lo
	s_delay_alu instid0(VALU_DEP_2) | instskip(NEXT) | instid1(VALU_DEP_2)
	v_sub_co_u32 v6, vcc_lo, v4, v17
	v_sub_co_ci_u32_e32 v7, vcc_lo, v5, v18, vcc_lo
	s_delay_alu instid0(VALU_DEP_2) | instskip(NEXT) | instid1(VALU_DEP_2)
	v_add_co_u32 v10, vcc_lo, v6, 2
	v_add_co_ci_u32_e32 v11, vcc_lo, 0, v7, vcc_lo
	s_delay_alu instid0(VALU_DEP_1)
	v_cmpx_lt_i64_e64 s[4:5], v[10:11]
	s_cbranch_execz .LBB26_2
; %bb.12:                               ;   in Loop: Header=BB26_3 Depth=1
	s_clause 0x1
	s_load_b64 s[28:29], s[10:11], 0x0
	s_load_b64 s[30:31], s[12:13], 0x0
	s_and_b32 vcc_lo, exec_lo, s33
	s_mov_b64 s[34:35], s[18:19]
	s_mov_b64 s[36:37], s[16:17]
	s_waitcnt lgkmcnt(0)
	v_mul_lo_u32 v3, s29, v4
	v_mul_lo_u32 v12, s28, v5
	v_mad_u64_u32 v[10:11], null, s28, v4, 0
	s_delay_alu instid0(VALU_DEP_1) | instskip(SKIP_1) | instid1(VALU_DEP_2)
	v_add3_u32 v11, v11, v12, v3
	v_mul_lo_u32 v3, s30, v18
	v_mad_u64_u32 v[14:15], null, s30, v17, v[10:11]
	v_mul_lo_u32 v10, s31, v17
	s_mov_b64 s[30:31], s[20:21]
	s_delay_alu instid0(VALU_DEP_1) | instskip(NEXT) | instid1(VALU_DEP_1)
	v_add3_u32 v15, v10, v15, v3
	v_dual_mov_b32 v10, v14 :: v_dual_mov_b32 v11, v15
	s_cbranch_vccnz .LBB26_19
.LBB26_13:                              ;   in Loop: Header=BB26_3 Depth=1
	s_load_b64 s[30:31], s[14:15], 0x0
	s_waitcnt lgkmcnt(0)
	v_cmp_gt_i64_e32 vcc_lo, s[30:31], v[4:5]
	s_and_b32 exec_lo, exec_lo, vcc_lo
	s_cbranch_execz .LBB26_2
; %bb.14:                               ;   in Loop: Header=BB26_3 Depth=1
	v_lshlrev_b64 v[8:9], 2, v[14:15]
	v_cmp_lt_i64_e32 vcc_lo, s[4:5], v[6:7]
	s_delay_alu instid0(VALU_DEP_2) | instskip(NEXT) | instid1(VALU_DEP_1)
	v_add_co_u32 v6, s0, s8, v8
	v_add_co_ci_u32_e64 v7, s0, s9, v9, s0
	s_and_saveexec_b32 s0, vcc_lo
	s_cbranch_execz .LBB26_16
; %bb.15:                               ;   in Loop: Header=BB26_3 Depth=1
	global_store_b32 v[6:7], v2, off
.LBB26_16:                              ;   in Loop: Header=BB26_3 Depth=1
	s_or_b32 exec_lo, exec_lo, s0
	v_add_co_u32 v3, vcc_lo, v4, 1
	v_add_co_ci_u32_e32 v4, vcc_lo, 0, v5, vcc_lo
	s_delay_alu instid0(VALU_DEP_2) | instskip(NEXT) | instid1(VALU_DEP_2)
	v_sub_co_u32 v8, vcc_lo, v3, v17
	v_sub_co_ci_u32_e32 v9, vcc_lo, v4, v18, vcc_lo
	v_cmp_gt_i64_e32 vcc_lo, s[30:31], v[3:4]
	s_delay_alu instid0(VALU_DEP_2) | instskip(NEXT) | instid1(VALU_DEP_1)
	v_cmp_lt_i64_e64 s0, s[4:5], v[8:9]
	s_and_b32 s0, vcc_lo, s0
	s_delay_alu instid0(SALU_CYCLE_1)
	s_and_b32 exec_lo, exec_lo, s0
	s_cbranch_execz .LBB26_2
; %bb.17:                               ;   in Loop: Header=BB26_3 Depth=1
	s_lshl_b64 s[28:29], s[28:29], 2
	s_delay_alu instid0(SALU_CYCLE_1)
	v_add_co_u32 v3, vcc_lo, v6, s28
	v_add_co_ci_u32_e32 v4, vcc_lo, s29, v7, vcc_lo
	global_store_b32 v[3:4], v2, off
	s_branch .LBB26_2
.LBB26_18:                              ;   in Loop: Header=BB26_19 Depth=2
	s_or_b32 exec_lo, exec_lo, s0
	s_load_b64 s[40:41], s[36:37], 0x0
	s_delay_alu instid0(VALU_DEP_1)
	v_mul_lo_u32 v3, v13, s38
	v_mul_lo_u32 v19, v12, s39
	v_mad_u64_u32 v[14:15], null, v12, s38, 0
	s_add_u32 s36, s36, -8
	s_addc_u32 s37, s37, -1
	s_add_u32 s34, s34, -8
	s_addc_u32 s35, s35, -1
	;; [unrolled: 2-line block ×3, first 2 shown]
	s_delay_alu instid0(VALU_DEP_1) | instskip(SKIP_2) | instid1(VALU_DEP_3)
	v_add3_u32 v3, v15, v19, v3
	v_sub_co_u32 v8, vcc_lo, v8, v14
	v_cmp_lt_i64_e64 s0, s[30:31], 1
	v_sub_co_ci_u32_e32 v3, vcc_lo, v9, v3, vcc_lo
	s_delay_alu instid0(VALU_DEP_2) | instskip(SKIP_1) | instid1(VALU_DEP_1)
	s_and_b32 vcc_lo, exec_lo, s0
	s_waitcnt lgkmcnt(0)
	v_mul_lo_u32 v3, s40, v3
	v_mul_lo_u32 v9, s41, v8
	v_mad_u64_u32 v[14:15], null, s40, v8, v[10:11]
	s_delay_alu instid0(VALU_DEP_1) | instskip(NEXT) | instid1(VALU_DEP_2)
	v_add3_u32 v15, v9, v15, v3
	v_mov_b32_e32 v10, v14
	v_dual_mov_b32 v8, v12 :: v_dual_mov_b32 v9, v13
	s_delay_alu instid0(VALU_DEP_3)
	v_mov_b32_e32 v11, v15
	s_cbranch_vccnz .LBB26_13
.LBB26_19:                              ;   Parent Loop BB26_3 Depth=1
                                        ; =>  This Inner Loop Header: Depth=2
	s_load_b64 s[38:39], s[34:35], 0x0
                                        ; implicit-def: $vgpr12_vgpr13
	s_mov_b32 s0, exec_lo
	s_waitcnt lgkmcnt(0)
	v_or_b32_e32 v3, s39, v9
	s_delay_alu instid0(VALU_DEP_1)
	v_cmpx_ne_u64_e32 0, v[2:3]
	s_xor_b32 s27, exec_lo, s0
	s_cbranch_execz .LBB26_21
; %bb.20:                               ;   in Loop: Header=BB26_19 Depth=2
	s_ashr_i32 s40, s39, 31
	s_delay_alu instid0(SALU_CYCLE_1) | instskip(SKIP_2) | instid1(SALU_CYCLE_1)
	s_add_u32 s42, s38, s40
	s_mov_b32 s41, s40
	s_addc_u32 s43, s39, s40
	s_xor_b64 s[42:43], s[42:43], s[40:41]
	s_delay_alu instid0(SALU_CYCLE_1) | instskip(SKIP_3) | instid1(VALU_DEP_1)
	v_cvt_f32_u32_e32 v3, s42
	v_cvt_f32_u32_e32 v12, s43
	s_sub_u32 s0, 0, s42
	s_subb_u32 s41, 0, s43
	v_fmac_f32_e32 v3, 0x4f800000, v12
	s_delay_alu instid0(VALU_DEP_1) | instskip(SKIP_2) | instid1(VALU_DEP_1)
	v_rcp_f32_e32 v3, v3
	s_waitcnt_depctr 0xfff
	v_mul_f32_e32 v3, 0x5f7ffffc, v3
	v_mul_f32_e32 v12, 0x2f800000, v3
	s_delay_alu instid0(VALU_DEP_1) | instskip(NEXT) | instid1(VALU_DEP_1)
	v_trunc_f32_e32 v12, v12
	v_fmac_f32_e32 v3, 0xcf800000, v12
	v_cvt_u32_f32_e32 v12, v12
	s_delay_alu instid0(VALU_DEP_2) | instskip(NEXT) | instid1(VALU_DEP_2)
	v_cvt_u32_f32_e32 v3, v3
	v_mul_lo_u32 v13, s0, v12
	s_delay_alu instid0(VALU_DEP_2) | instskip(SKIP_1) | instid1(VALU_DEP_2)
	v_mul_hi_u32 v14, s0, v3
	v_mul_lo_u32 v15, s41, v3
	v_add_nc_u32_e32 v13, v14, v13
	v_mul_lo_u32 v14, s0, v3
	s_delay_alu instid0(VALU_DEP_2) | instskip(NEXT) | instid1(VALU_DEP_2)
	v_add_nc_u32_e32 v13, v13, v15
	v_mul_hi_u32 v15, v3, v14
	s_delay_alu instid0(VALU_DEP_2)
	v_mul_lo_u32 v19, v3, v13
	v_mul_hi_u32 v20, v3, v13
	v_mul_hi_u32 v21, v12, v14
	v_mul_lo_u32 v14, v12, v14
	v_mul_hi_u32 v22, v12, v13
	v_mul_lo_u32 v13, v12, v13
	v_add_co_u32 v15, vcc_lo, v15, v19
	v_add_co_ci_u32_e32 v19, vcc_lo, 0, v20, vcc_lo
	s_delay_alu instid0(VALU_DEP_2) | instskip(NEXT) | instid1(VALU_DEP_2)
	v_add_co_u32 v14, vcc_lo, v15, v14
	v_add_co_ci_u32_e32 v14, vcc_lo, v19, v21, vcc_lo
	v_add_co_ci_u32_e32 v15, vcc_lo, 0, v22, vcc_lo
	v_ashrrev_i32_e32 v21, 31, v9
	s_delay_alu instid0(VALU_DEP_3) | instskip(NEXT) | instid1(VALU_DEP_3)
	v_add_co_u32 v13, vcc_lo, v14, v13
	v_add_co_ci_u32_e32 v14, vcc_lo, 0, v15, vcc_lo
	s_delay_alu instid0(VALU_DEP_2) | instskip(NEXT) | instid1(VALU_DEP_2)
	v_add_co_u32 v3, vcc_lo, v3, v13
	v_add_co_ci_u32_e32 v12, vcc_lo, v12, v14, vcc_lo
	s_delay_alu instid0(VALU_DEP_2) | instskip(SKIP_1) | instid1(VALU_DEP_3)
	v_mul_hi_u32 v13, s0, v3
	v_mul_lo_u32 v15, s41, v3
	v_mul_lo_u32 v14, s0, v12
	s_delay_alu instid0(VALU_DEP_1) | instskip(SKIP_1) | instid1(VALU_DEP_2)
	v_add_nc_u32_e32 v13, v13, v14
	v_mul_lo_u32 v14, s0, v3
	v_add_nc_u32_e32 v13, v13, v15
	s_delay_alu instid0(VALU_DEP_2) | instskip(NEXT) | instid1(VALU_DEP_2)
	v_mul_hi_u32 v15, v3, v14
	v_mul_lo_u32 v19, v3, v13
	v_mul_hi_u32 v20, v3, v13
	v_mul_hi_u32 v22, v12, v14
	v_mul_lo_u32 v14, v12, v14
	v_mul_hi_u32 v23, v12, v13
	v_mul_lo_u32 v13, v12, v13
	v_add_co_u32 v15, vcc_lo, v15, v19
	v_add_co_ci_u32_e32 v19, vcc_lo, 0, v20, vcc_lo
	s_delay_alu instid0(VALU_DEP_2) | instskip(NEXT) | instid1(VALU_DEP_2)
	v_add_co_u32 v14, vcc_lo, v15, v14
	v_add_co_ci_u32_e32 v14, vcc_lo, v19, v22, vcc_lo
	v_add_co_ci_u32_e32 v15, vcc_lo, 0, v23, vcc_lo
	v_add_co_u32 v19, vcc_lo, v8, v21
	v_add_co_ci_u32_e32 v20, vcc_lo, v9, v21, vcc_lo
	s_delay_alu instid0(VALU_DEP_4) | instskip(NEXT) | instid1(VALU_DEP_4)
	v_add_co_u32 v13, vcc_lo, v14, v13
	v_add_co_ci_u32_e32 v14, vcc_lo, 0, v15, vcc_lo
	s_delay_alu instid0(VALU_DEP_4) | instskip(NEXT) | instid1(VALU_DEP_3)
	v_xor_b32_e32 v22, v19, v21
	v_add_co_u32 v3, vcc_lo, v3, v13
	s_delay_alu instid0(VALU_DEP_3) | instskip(SKIP_1) | instid1(VALU_DEP_3)
	v_add_co_ci_u32_e32 v23, vcc_lo, v12, v14, vcc_lo
	v_xor_b32_e32 v24, v20, v21
	v_mul_hi_u32 v25, v22, v3
	s_delay_alu instid0(VALU_DEP_3) | instskip(NEXT) | instid1(VALU_DEP_3)
	v_mad_u64_u32 v[12:13], null, v22, v23, 0
	v_mad_u64_u32 v[14:15], null, v24, v3, 0
	;; [unrolled: 1-line block ×3, first 2 shown]
	s_delay_alu instid0(VALU_DEP_3) | instskip(NEXT) | instid1(VALU_DEP_4)
	v_add_co_u32 v3, vcc_lo, v25, v12
	v_add_co_ci_u32_e32 v12, vcc_lo, 0, v13, vcc_lo
	s_delay_alu instid0(VALU_DEP_2) | instskip(NEXT) | instid1(VALU_DEP_2)
	v_add_co_u32 v3, vcc_lo, v3, v14
	v_add_co_ci_u32_e32 v3, vcc_lo, v12, v15, vcc_lo
	v_add_co_ci_u32_e32 v12, vcc_lo, 0, v20, vcc_lo
	s_delay_alu instid0(VALU_DEP_2) | instskip(NEXT) | instid1(VALU_DEP_2)
	v_add_co_u32 v3, vcc_lo, v3, v19
	v_add_co_ci_u32_e32 v14, vcc_lo, 0, v12, vcc_lo
	s_delay_alu instid0(VALU_DEP_2) | instskip(SKIP_1) | instid1(VALU_DEP_3)
	v_mul_lo_u32 v15, s43, v3
	v_mad_u64_u32 v[12:13], null, s42, v3, 0
	v_mul_lo_u32 v19, s42, v14
	s_delay_alu instid0(VALU_DEP_2) | instskip(NEXT) | instid1(VALU_DEP_2)
	v_sub_co_u32 v12, vcc_lo, v22, v12
	v_add3_u32 v13, v13, v19, v15
	s_delay_alu instid0(VALU_DEP_1) | instskip(NEXT) | instid1(VALU_DEP_1)
	v_sub_nc_u32_e32 v15, v24, v13
	v_subrev_co_ci_u32_e64 v15, s0, s43, v15, vcc_lo
	v_add_co_u32 v19, s0, v3, 2
	s_delay_alu instid0(VALU_DEP_1) | instskip(SKIP_3) | instid1(VALU_DEP_3)
	v_add_co_ci_u32_e64 v20, s0, 0, v14, s0
	v_sub_co_u32 v22, s0, v12, s42
	v_sub_co_ci_u32_e32 v13, vcc_lo, v24, v13, vcc_lo
	v_subrev_co_ci_u32_e64 v15, s0, 0, v15, s0
	v_cmp_le_u32_e32 vcc_lo, s42, v22
	s_delay_alu instid0(VALU_DEP_3) | instskip(SKIP_1) | instid1(VALU_DEP_4)
	v_cmp_eq_u32_e64 s0, s43, v13
	v_cndmask_b32_e64 v22, 0, -1, vcc_lo
	v_cmp_le_u32_e32 vcc_lo, s43, v15
	v_cndmask_b32_e64 v23, 0, -1, vcc_lo
	v_cmp_le_u32_e32 vcc_lo, s42, v12
	;; [unrolled: 2-line block ×3, first 2 shown]
	v_cndmask_b32_e64 v24, 0, -1, vcc_lo
	v_cmp_eq_u32_e32 vcc_lo, s43, v15
	s_delay_alu instid0(VALU_DEP_2) | instskip(SKIP_3) | instid1(VALU_DEP_3)
	v_cndmask_b32_e64 v12, v24, v12, s0
	v_cndmask_b32_e32 v15, v23, v22, vcc_lo
	v_add_co_u32 v22, vcc_lo, v3, 1
	v_add_co_ci_u32_e32 v23, vcc_lo, 0, v14, vcc_lo
	v_cmp_ne_u32_e32 vcc_lo, 0, v15
	s_delay_alu instid0(VALU_DEP_2) | instskip(NEXT) | instid1(VALU_DEP_4)
	v_cndmask_b32_e32 v13, v23, v20, vcc_lo
	v_cndmask_b32_e32 v15, v22, v19, vcc_lo
	v_cmp_ne_u32_e32 vcc_lo, 0, v12
	v_xor_b32_e32 v19, s40, v21
	s_delay_alu instid0(VALU_DEP_3) | instskip(NEXT) | instid1(VALU_DEP_1)
	v_dual_cndmask_b32 v3, v3, v15 :: v_dual_cndmask_b32 v12, v14, v13
	v_xor_b32_e32 v3, v3, v19
	s_delay_alu instid0(VALU_DEP_2) | instskip(NEXT) | instid1(VALU_DEP_2)
	v_xor_b32_e32 v13, v12, v19
	v_sub_co_u32 v12, vcc_lo, v3, v19
	s_delay_alu instid0(VALU_DEP_2)
	v_sub_co_ci_u32_e32 v13, vcc_lo, v13, v19, vcc_lo
.LBB26_21:                              ;   in Loop: Header=BB26_19 Depth=2
	s_and_not1_saveexec_b32 s0, s27
	s_cbranch_execz .LBB26_18
; %bb.22:                               ;   in Loop: Header=BB26_19 Depth=2
	v_cvt_f32_u32_e32 v3, s38
	s_sub_i32 s27, 0, s38
	s_delay_alu instid0(VALU_DEP_1) | instskip(SKIP_2) | instid1(VALU_DEP_1)
	v_rcp_iflag_f32_e32 v3, v3
	s_waitcnt_depctr 0xfff
	v_mul_f32_e32 v3, 0x4f7ffffe, v3
	v_cvt_u32_f32_e32 v3, v3
	s_delay_alu instid0(VALU_DEP_1) | instskip(NEXT) | instid1(VALU_DEP_1)
	v_mul_lo_u32 v12, s27, v3
	v_mul_hi_u32 v12, v3, v12
	s_delay_alu instid0(VALU_DEP_1) | instskip(NEXT) | instid1(VALU_DEP_1)
	v_add_nc_u32_e32 v3, v3, v12
	v_mul_hi_u32 v3, v8, v3
	s_delay_alu instid0(VALU_DEP_1) | instskip(SKIP_1) | instid1(VALU_DEP_2)
	v_mul_lo_u32 v12, v3, s38
	v_add_nc_u32_e32 v13, 1, v3
	v_sub_nc_u32_e32 v12, v8, v12
	s_delay_alu instid0(VALU_DEP_1) | instskip(SKIP_1) | instid1(VALU_DEP_2)
	v_subrev_nc_u32_e32 v14, s38, v12
	v_cmp_le_u32_e32 vcc_lo, s38, v12
	v_dual_cndmask_b32 v12, v12, v14 :: v_dual_cndmask_b32 v3, v3, v13
	s_delay_alu instid0(VALU_DEP_1) | instskip(NEXT) | instid1(VALU_DEP_2)
	v_cmp_le_u32_e32 vcc_lo, s38, v12
	v_add_nc_u32_e32 v13, 1, v3
	s_delay_alu instid0(VALU_DEP_1)
	v_dual_cndmask_b32 v12, v3, v13 :: v_dual_mov_b32 v13, v2
	s_branch .LBB26_18
.LBB26_23:
	s_nop 0
	s_sendmsg sendmsg(MSG_DEALLOC_VGPRS)
	s_endpgm
	.section	.rodata,"a",@progbits
	.p2align	6, 0x0
	.amdhsa_kernel _ZN2at6native16triu_tril_kernelIflLb0ELi2ELb1EEEvNS_4cuda6detail10TensorInfoIT_T0_EENS4_IKS5_S6_EEllS6_
		.amdhsa_group_segment_fixed_size 0
		.amdhsa_private_segment_fixed_size 0
		.amdhsa_kernarg_size 1112
		.amdhsa_user_sgpr_count 15
		.amdhsa_user_sgpr_dispatch_ptr 0
		.amdhsa_user_sgpr_queue_ptr 0
		.amdhsa_user_sgpr_kernarg_segment_ptr 1
		.amdhsa_user_sgpr_dispatch_id 0
		.amdhsa_user_sgpr_private_segment_size 0
		.amdhsa_wavefront_size32 1
		.amdhsa_uses_dynamic_stack 0
		.amdhsa_enable_private_segment 0
		.amdhsa_system_sgpr_workgroup_id_x 1
		.amdhsa_system_sgpr_workgroup_id_y 0
		.amdhsa_system_sgpr_workgroup_id_z 0
		.amdhsa_system_sgpr_workgroup_info 0
		.amdhsa_system_vgpr_workitem_id 0
		.amdhsa_next_free_vgpr 26
		.amdhsa_next_free_sgpr 45
		.amdhsa_reserve_vcc 1
		.amdhsa_float_round_mode_32 0
		.amdhsa_float_round_mode_16_64 0
		.amdhsa_float_denorm_mode_32 3
		.amdhsa_float_denorm_mode_16_64 3
		.amdhsa_dx10_clamp 1
		.amdhsa_ieee_mode 1
		.amdhsa_fp16_overflow 0
		.amdhsa_workgroup_processor_mode 1
		.amdhsa_memory_ordered 1
		.amdhsa_forward_progress 0
		.amdhsa_shared_vgpr_count 0
		.amdhsa_exception_fp_ieee_invalid_op 0
		.amdhsa_exception_fp_denorm_src 0
		.amdhsa_exception_fp_ieee_div_zero 0
		.amdhsa_exception_fp_ieee_overflow 0
		.amdhsa_exception_fp_ieee_underflow 0
		.amdhsa_exception_fp_ieee_inexact 0
		.amdhsa_exception_int_div_zero 0
	.end_amdhsa_kernel
	.section	.text._ZN2at6native16triu_tril_kernelIflLb0ELi2ELb1EEEvNS_4cuda6detail10TensorInfoIT_T0_EENS4_IKS5_S6_EEllS6_,"axG",@progbits,_ZN2at6native16triu_tril_kernelIflLb0ELi2ELb1EEEvNS_4cuda6detail10TensorInfoIT_T0_EENS4_IKS5_S6_EEllS6_,comdat
.Lfunc_end26:
	.size	_ZN2at6native16triu_tril_kernelIflLb0ELi2ELb1EEEvNS_4cuda6detail10TensorInfoIT_T0_EENS4_IKS5_S6_EEllS6_, .Lfunc_end26-_ZN2at6native16triu_tril_kernelIflLb0ELi2ELb1EEEvNS_4cuda6detail10TensorInfoIT_T0_EENS4_IKS5_S6_EEllS6_
                                        ; -- End function
	.section	.AMDGPU.csdata,"",@progbits
; Kernel info:
; codeLenInByte = 3912
; NumSgprs: 47
; NumVgprs: 26
; ScratchSize: 0
; MemoryBound: 0
; FloatMode: 240
; IeeeMode: 1
; LDSByteSize: 0 bytes/workgroup (compile time only)
; SGPRBlocks: 5
; VGPRBlocks: 3
; NumSGPRsForWavesPerEU: 47
; NumVGPRsForWavesPerEU: 26
; Occupancy: 16
; WaveLimiterHint : 0
; COMPUTE_PGM_RSRC2:SCRATCH_EN: 0
; COMPUTE_PGM_RSRC2:USER_SGPR: 15
; COMPUTE_PGM_RSRC2:TRAP_HANDLER: 0
; COMPUTE_PGM_RSRC2:TGID_X_EN: 1
; COMPUTE_PGM_RSRC2:TGID_Y_EN: 0
; COMPUTE_PGM_RSRC2:TGID_Z_EN: 0
; COMPUTE_PGM_RSRC2:TIDIG_COMP_CNT: 0
	.section	.text._ZN2at6native16triu_tril_kernelIflLb0ELi2ELb0EEEvNS_4cuda6detail10TensorInfoIT_T0_EENS4_IKS5_S6_EEllS6_,"axG",@progbits,_ZN2at6native16triu_tril_kernelIflLb0ELi2ELb0EEEvNS_4cuda6detail10TensorInfoIT_T0_EENS4_IKS5_S6_EEllS6_,comdat
	.protected	_ZN2at6native16triu_tril_kernelIflLb0ELi2ELb0EEEvNS_4cuda6detail10TensorInfoIT_T0_EENS4_IKS5_S6_EEllS6_ ; -- Begin function _ZN2at6native16triu_tril_kernelIflLb0ELi2ELb0EEEvNS_4cuda6detail10TensorInfoIT_T0_EENS4_IKS5_S6_EEllS6_
	.globl	_ZN2at6native16triu_tril_kernelIflLb0ELi2ELb0EEEvNS_4cuda6detail10TensorInfoIT_T0_EENS4_IKS5_S6_EEllS6_
	.p2align	8
	.type	_ZN2at6native16triu_tril_kernelIflLb0ELi2ELb0EEEvNS_4cuda6detail10TensorInfoIT_T0_EENS4_IKS5_S6_EEllS6_,@function
_ZN2at6native16triu_tril_kernelIflLb0ELi2ELb0EEEvNS_4cuda6detail10TensorInfoIT_T0_EENS4_IKS5_S6_EEllS6_: ; @_ZN2at6native16triu_tril_kernelIflLb0ELi2ELb0EEEvNS_4cuda6detail10TensorInfoIT_T0_EENS4_IKS5_S6_EEllS6_
; %bb.0:
	s_clause 0x1
	s_load_b32 s2, s[0:1], 0x364
	s_load_b128 s[4:7], s[0:1], 0x340
	v_mov_b32_e32 v2, 0
	s_add_u32 s8, s0, 0x358
	s_addc_u32 s9, s1, 0
	s_delay_alu instid0(VALU_DEP_1) | instskip(SKIP_3) | instid1(VALU_DEP_1)
	v_mov_b32_e32 v1, v2
	s_waitcnt lgkmcnt(0)
	s_and_b32 s24, s2, 0xffff
	s_mov_b32 s2, exec_lo
	v_mad_u64_u32 v[3:4], null, s24, s15, v[0:1]
	s_delay_alu instid0(VALU_DEP_1) | instskip(NEXT) | instid1(VALU_DEP_1)
	v_lshlrev_b64 v[0:1], 1, v[3:4]
	v_cmpx_gt_i64_e64 s[6:7], v[0:1]
	s_cbranch_execz .LBB27_26
; %bb.1:
	s_clause 0x1
	s_load_b32 s26, s[0:1], 0x338
	s_load_b64 s[2:3], s[0:1], 0x350
	s_add_u32 s10, s0, 0x1a0
	s_addc_u32 s11, s1, 0
	s_load_b32 s25, s[8:9], 0x0
	s_clause 0x1
	s_load_b64 s[20:21], s[0:1], 0x1a0
	s_load_b64 s[22:23], s[0:1], 0x0
	s_mov_b32 s46, 0
	s_waitcnt lgkmcnt(0)
	s_ashr_i32 s27, s26, 31
	s_add_u32 s30, s0, 0x1a8
	s_addc_u32 s31, s1, 0
	s_lshl_b64 s[8:9], s[26:27], 3
	v_cvt_f32_u32_e32 v3, s2
	s_add_u32 s14, s8, -16
	s_addc_u32 s15, s9, -1
	s_add_u32 s8, s30, s14
	s_addc_u32 s9, s31, s15
	s_add_u32 s12, s10, s14
	s_addc_u32 s13, s11, s15
	;; [unrolled: 2-line block ×4, first 2 shown]
	s_clause 0x2
	s_load_b128 s[8:11], s[8:9], 0x0
	s_load_b128 s[12:15], s[12:13], 0xd0
	;; [unrolled: 1-line block ×3, first 2 shown]
	v_rcp_iflag_f32_e32 v3, v3
	s_add_i32 s28, s26, -3
	s_mul_i32 s25, s25, s24
	s_ashr_i32 s29, s28, 31
	v_cmp_gt_i64_e64 s1, s[26:27], 2
	s_lshl_b64 s[26:27], s[28:29], 3
	s_lshl_b32 s33, s25, 1
	s_add_u32 s24, s34, s26
	s_addc_u32 s25, s35, s27
	s_add_u32 s26, s30, s26
	s_waitcnt_depctr 0xfff
	v_mul_f32_e32 v3, 0x4f7ffffe, v3
	s_addc_u32 s27, s31, s27
	s_add_u32 s28, s28, 1
	s_addc_u32 s29, s29, 0
	s_ashr_i32 s30, s3, 31
	v_cvt_u32_f32_e32 v18, v3
	s_branch .LBB27_3
.LBB27_2:                               ;   in Loop: Header=BB27_3 Depth=1
	s_or_b32 exec_lo, exec_lo, s0
	v_add_co_u32 v0, vcc_lo, v0, s33
	v_add_co_ci_u32_e32 v1, vcc_lo, 0, v1, vcc_lo
	s_delay_alu instid0(VALU_DEP_1) | instskip(SKIP_1) | instid1(SALU_CYCLE_1)
	v_cmp_le_i64_e32 vcc_lo, s[6:7], v[0:1]
	s_or_b32 s46, vcc_lo, s46
	s_and_not1_b32 exec_lo, exec_lo, s46
	s_cbranch_execz .LBB27_26
.LBB27_3:                               ; =>This Loop Header: Depth=1
                                        ;     Child Loop BB27_22 Depth 2
	v_or_b32_e32 v3, s3, v1
                                        ; implicit-def: $vgpr8_vgpr9
	s_mov_b32 s0, exec_lo
	s_delay_alu instid0(VALU_DEP_1)
	v_cmpx_ne_u64_e32 0, v[2:3]
	s_xor_b32 s36, exec_lo, s0
	s_cbranch_execz .LBB27_5
; %bb.4:                                ;   in Loop: Header=BB27_3 Depth=1
	s_add_u32 s34, s2, s30
	s_mov_b32 s31, s30
	s_addc_u32 s35, s3, s30
	s_delay_alu instid0(SALU_CYCLE_1) | instskip(NEXT) | instid1(SALU_CYCLE_1)
	s_xor_b64 s[34:35], s[34:35], s[30:31]
	v_cvt_f32_u32_e32 v3, s34
	v_cvt_f32_u32_e32 v4, s35
	s_sub_u32 s0, 0, s34
	s_subb_u32 s31, 0, s35
	s_delay_alu instid0(VALU_DEP_1) | instskip(NEXT) | instid1(VALU_DEP_1)
	v_fmac_f32_e32 v3, 0x4f800000, v4
	v_rcp_f32_e32 v3, v3
	s_waitcnt_depctr 0xfff
	v_mul_f32_e32 v3, 0x5f7ffffc, v3
	s_delay_alu instid0(VALU_DEP_1) | instskip(NEXT) | instid1(VALU_DEP_1)
	v_mul_f32_e32 v4, 0x2f800000, v3
	v_trunc_f32_e32 v4, v4
	s_delay_alu instid0(VALU_DEP_1) | instskip(SKIP_1) | instid1(VALU_DEP_2)
	v_fmac_f32_e32 v3, 0xcf800000, v4
	v_cvt_u32_f32_e32 v4, v4
	v_cvt_u32_f32_e32 v3, v3
	s_delay_alu instid0(VALU_DEP_2) | instskip(NEXT) | instid1(VALU_DEP_2)
	v_mul_lo_u32 v5, s0, v4
	v_mul_hi_u32 v6, s0, v3
	v_mul_lo_u32 v7, s31, v3
	s_delay_alu instid0(VALU_DEP_2) | instskip(SKIP_1) | instid1(VALU_DEP_2)
	v_add_nc_u32_e32 v5, v6, v5
	v_mul_lo_u32 v6, s0, v3
	v_add_nc_u32_e32 v5, v5, v7
	s_delay_alu instid0(VALU_DEP_2) | instskip(NEXT) | instid1(VALU_DEP_2)
	v_mul_hi_u32 v7, v3, v6
	v_mul_lo_u32 v8, v3, v5
	v_mul_hi_u32 v9, v3, v5
	v_mul_hi_u32 v10, v4, v6
	v_mul_lo_u32 v6, v4, v6
	v_mul_hi_u32 v11, v4, v5
	v_mul_lo_u32 v5, v4, v5
	v_add_co_u32 v7, vcc_lo, v7, v8
	v_add_co_ci_u32_e32 v8, vcc_lo, 0, v9, vcc_lo
	s_delay_alu instid0(VALU_DEP_2) | instskip(NEXT) | instid1(VALU_DEP_2)
	v_add_co_u32 v6, vcc_lo, v7, v6
	v_add_co_ci_u32_e32 v6, vcc_lo, v8, v10, vcc_lo
	v_add_co_ci_u32_e32 v7, vcc_lo, 0, v11, vcc_lo
	v_ashrrev_i32_e32 v10, 31, v1
	s_delay_alu instid0(VALU_DEP_3) | instskip(NEXT) | instid1(VALU_DEP_3)
	v_add_co_u32 v5, vcc_lo, v6, v5
	v_add_co_ci_u32_e32 v6, vcc_lo, 0, v7, vcc_lo
	s_delay_alu instid0(VALU_DEP_2) | instskip(NEXT) | instid1(VALU_DEP_2)
	v_add_co_u32 v3, vcc_lo, v3, v5
	v_add_co_ci_u32_e32 v4, vcc_lo, v4, v6, vcc_lo
	s_delay_alu instid0(VALU_DEP_2) | instskip(SKIP_1) | instid1(VALU_DEP_3)
	v_mul_hi_u32 v5, s0, v3
	v_mul_lo_u32 v7, s31, v3
	v_mul_lo_u32 v6, s0, v4
	s_delay_alu instid0(VALU_DEP_1) | instskip(SKIP_1) | instid1(VALU_DEP_2)
	v_add_nc_u32_e32 v5, v5, v6
	v_mul_lo_u32 v6, s0, v3
	v_add_nc_u32_e32 v5, v5, v7
	s_delay_alu instid0(VALU_DEP_2) | instskip(NEXT) | instid1(VALU_DEP_2)
	v_mul_hi_u32 v7, v3, v6
	v_mul_lo_u32 v8, v3, v5
	v_mul_hi_u32 v9, v3, v5
	v_mul_hi_u32 v11, v4, v6
	v_mul_lo_u32 v6, v4, v6
	v_mul_hi_u32 v12, v4, v5
	v_mul_lo_u32 v5, v4, v5
	v_add_co_u32 v7, vcc_lo, v7, v8
	v_add_co_ci_u32_e32 v8, vcc_lo, 0, v9, vcc_lo
	s_delay_alu instid0(VALU_DEP_2) | instskip(NEXT) | instid1(VALU_DEP_2)
	v_add_co_u32 v6, vcc_lo, v7, v6
	v_add_co_ci_u32_e32 v6, vcc_lo, v8, v11, vcc_lo
	v_add_co_ci_u32_e32 v7, vcc_lo, 0, v12, vcc_lo
	v_add_co_u32 v8, vcc_lo, v0, v10
	v_add_co_ci_u32_e32 v9, vcc_lo, v1, v10, vcc_lo
	s_delay_alu instid0(VALU_DEP_4) | instskip(NEXT) | instid1(VALU_DEP_4)
	v_add_co_u32 v5, vcc_lo, v6, v5
	v_add_co_ci_u32_e32 v6, vcc_lo, 0, v7, vcc_lo
	s_delay_alu instid0(VALU_DEP_4) | instskip(NEXT) | instid1(VALU_DEP_3)
	v_xor_b32_e32 v11, v8, v10
	v_add_co_u32 v7, vcc_lo, v3, v5
	s_delay_alu instid0(VALU_DEP_3) | instskip(SKIP_1) | instid1(VALU_DEP_3)
	v_add_co_ci_u32_e32 v12, vcc_lo, v4, v6, vcc_lo
	v_xor_b32_e32 v9, v9, v10
	v_mul_hi_u32 v13, v11, v7
	s_delay_alu instid0(VALU_DEP_3) | instskip(NEXT) | instid1(VALU_DEP_3)
	v_mad_u64_u32 v[3:4], null, v11, v12, 0
	v_mad_u64_u32 v[5:6], null, v9, v7, 0
	;; [unrolled: 1-line block ×3, first 2 shown]
	s_delay_alu instid0(VALU_DEP_3) | instskip(NEXT) | instid1(VALU_DEP_4)
	v_add_co_u32 v3, vcc_lo, v13, v3
	v_add_co_ci_u32_e32 v4, vcc_lo, 0, v4, vcc_lo
	s_delay_alu instid0(VALU_DEP_2) | instskip(NEXT) | instid1(VALU_DEP_2)
	v_add_co_u32 v3, vcc_lo, v3, v5
	v_add_co_ci_u32_e32 v3, vcc_lo, v4, v6, vcc_lo
	v_add_co_ci_u32_e32 v4, vcc_lo, 0, v8, vcc_lo
	s_delay_alu instid0(VALU_DEP_2) | instskip(NEXT) | instid1(VALU_DEP_2)
	v_add_co_u32 v5, vcc_lo, v3, v7
	v_add_co_ci_u32_e32 v6, vcc_lo, 0, v4, vcc_lo
	s_delay_alu instid0(VALU_DEP_2) | instskip(SKIP_1) | instid1(VALU_DEP_3)
	v_mul_lo_u32 v7, s35, v5
	v_mad_u64_u32 v[3:4], null, s34, v5, 0
	v_mul_lo_u32 v8, s34, v6
	s_delay_alu instid0(VALU_DEP_2) | instskip(NEXT) | instid1(VALU_DEP_2)
	v_sub_co_u32 v3, vcc_lo, v11, v3
	v_add3_u32 v4, v4, v8, v7
	s_delay_alu instid0(VALU_DEP_1) | instskip(NEXT) | instid1(VALU_DEP_1)
	v_sub_nc_u32_e32 v7, v9, v4
	v_subrev_co_ci_u32_e64 v7, s0, s35, v7, vcc_lo
	v_add_co_u32 v8, s0, v5, 2
	s_delay_alu instid0(VALU_DEP_1) | instskip(SKIP_3) | instid1(VALU_DEP_3)
	v_add_co_ci_u32_e64 v11, s0, 0, v6, s0
	v_sub_co_u32 v12, s0, v3, s34
	v_sub_co_ci_u32_e32 v4, vcc_lo, v9, v4, vcc_lo
	v_subrev_co_ci_u32_e64 v7, s0, 0, v7, s0
	v_cmp_le_u32_e32 vcc_lo, s34, v12
	s_delay_alu instid0(VALU_DEP_3) | instskip(SKIP_1) | instid1(VALU_DEP_4)
	v_cmp_eq_u32_e64 s0, s35, v4
	v_cndmask_b32_e64 v9, 0, -1, vcc_lo
	v_cmp_le_u32_e32 vcc_lo, s35, v7
	v_cndmask_b32_e64 v12, 0, -1, vcc_lo
	v_cmp_le_u32_e32 vcc_lo, s34, v3
	;; [unrolled: 2-line block ×3, first 2 shown]
	v_cndmask_b32_e64 v13, 0, -1, vcc_lo
	v_cmp_eq_u32_e32 vcc_lo, s35, v7
	s_delay_alu instid0(VALU_DEP_2) | instskip(SKIP_3) | instid1(VALU_DEP_3)
	v_cndmask_b32_e64 v3, v13, v3, s0
	v_cndmask_b32_e32 v7, v12, v9, vcc_lo
	v_add_co_u32 v9, vcc_lo, v5, 1
	v_add_co_ci_u32_e32 v12, vcc_lo, 0, v6, vcc_lo
	v_cmp_ne_u32_e32 vcc_lo, 0, v7
	s_delay_alu instid0(VALU_DEP_2) | instskip(SKIP_2) | instid1(VALU_DEP_3)
	v_dual_cndmask_b32 v4, v12, v11 :: v_dual_cndmask_b32 v7, v9, v8
	v_cmp_ne_u32_e32 vcc_lo, 0, v3
	v_xor_b32_e32 v3, s30, v10
	v_dual_cndmask_b32 v5, v5, v7 :: v_dual_cndmask_b32 v4, v6, v4
	s_delay_alu instid0(VALU_DEP_1) | instskip(NEXT) | instid1(VALU_DEP_2)
	v_xor_b32_e32 v5, v5, v3
	v_xor_b32_e32 v4, v4, v3
	s_delay_alu instid0(VALU_DEP_2) | instskip(NEXT) | instid1(VALU_DEP_2)
	v_sub_co_u32 v8, vcc_lo, v5, v3
	v_sub_co_ci_u32_e32 v9, vcc_lo, v4, v3, vcc_lo
.LBB27_5:                               ;   in Loop: Header=BB27_3 Depth=1
	s_and_not1_saveexec_b32 s0, s36
	s_cbranch_execz .LBB27_7
; %bb.6:                                ;   in Loop: Header=BB27_3 Depth=1
	s_sub_i32 s31, 0, s2
	v_mov_b32_e32 v9, v2
	v_mul_lo_u32 v3, s31, v18
	s_delay_alu instid0(VALU_DEP_1) | instskip(NEXT) | instid1(VALU_DEP_1)
	v_mul_hi_u32 v3, v18, v3
	v_add_nc_u32_e32 v3, v18, v3
	s_delay_alu instid0(VALU_DEP_1) | instskip(NEXT) | instid1(VALU_DEP_1)
	v_mul_hi_u32 v3, v0, v3
	v_mul_lo_u32 v4, v3, s2
	v_add_nc_u32_e32 v5, 1, v3
	s_delay_alu instid0(VALU_DEP_2) | instskip(NEXT) | instid1(VALU_DEP_1)
	v_sub_nc_u32_e32 v4, v0, v4
	v_subrev_nc_u32_e32 v6, s2, v4
	v_cmp_le_u32_e32 vcc_lo, s2, v4
	s_delay_alu instid0(VALU_DEP_2) | instskip(NEXT) | instid1(VALU_DEP_1)
	v_dual_cndmask_b32 v4, v4, v6 :: v_dual_cndmask_b32 v3, v3, v5
	v_cmp_le_u32_e32 vcc_lo, s2, v4
	s_delay_alu instid0(VALU_DEP_2) | instskip(NEXT) | instid1(VALU_DEP_1)
	v_add_nc_u32_e32 v5, 1, v3
	v_cndmask_b32_e32 v8, v3, v5, vcc_lo
.LBB27_7:                               ;   in Loop: Header=BB27_3 Depth=1
	s_or_b32 exec_lo, exec_lo, s0
	s_waitcnt lgkmcnt(0)
	v_or_b32_e32 v3, s9, v9
                                        ; implicit-def: $vgpr6_vgpr7
	s_mov_b32 s0, exec_lo
	s_delay_alu instid0(VALU_DEP_1)
	v_cmpx_ne_u64_e32 0, v[2:3]
	s_xor_b32 s31, exec_lo, s0
	s_cbranch_execz .LBB27_9
; %bb.8:                                ;   in Loop: Header=BB27_3 Depth=1
	s_ashr_i32 s34, s9, 31
	s_delay_alu instid0(SALU_CYCLE_1) | instskip(SKIP_2) | instid1(SALU_CYCLE_1)
	s_add_u32 s36, s8, s34
	s_mov_b32 s35, s34
	s_addc_u32 s37, s9, s34
	s_xor_b64 s[36:37], s[36:37], s[34:35]
	s_delay_alu instid0(SALU_CYCLE_1) | instskip(SKIP_3) | instid1(VALU_DEP_1)
	v_cvt_f32_u32_e32 v3, s36
	v_cvt_f32_u32_e32 v4, s37
	s_sub_u32 s0, 0, s36
	s_subb_u32 s35, 0, s37
	v_fmac_f32_e32 v3, 0x4f800000, v4
	s_delay_alu instid0(VALU_DEP_1) | instskip(SKIP_2) | instid1(VALU_DEP_1)
	v_rcp_f32_e32 v3, v3
	s_waitcnt_depctr 0xfff
	v_mul_f32_e32 v3, 0x5f7ffffc, v3
	v_mul_f32_e32 v4, 0x2f800000, v3
	s_delay_alu instid0(VALU_DEP_1) | instskip(NEXT) | instid1(VALU_DEP_1)
	v_trunc_f32_e32 v4, v4
	v_fmac_f32_e32 v3, 0xcf800000, v4
	v_cvt_u32_f32_e32 v4, v4
	s_delay_alu instid0(VALU_DEP_2) | instskip(NEXT) | instid1(VALU_DEP_2)
	v_cvt_u32_f32_e32 v3, v3
	v_mul_lo_u32 v5, s0, v4
	s_delay_alu instid0(VALU_DEP_2) | instskip(SKIP_1) | instid1(VALU_DEP_2)
	v_mul_hi_u32 v6, s0, v3
	v_mul_lo_u32 v7, s35, v3
	v_add_nc_u32_e32 v5, v6, v5
	v_mul_lo_u32 v6, s0, v3
	s_delay_alu instid0(VALU_DEP_2) | instskip(NEXT) | instid1(VALU_DEP_2)
	v_add_nc_u32_e32 v5, v5, v7
	v_mul_hi_u32 v7, v3, v6
	s_delay_alu instid0(VALU_DEP_2)
	v_mul_lo_u32 v10, v3, v5
	v_mul_hi_u32 v11, v3, v5
	v_mul_hi_u32 v12, v4, v6
	v_mul_lo_u32 v6, v4, v6
	v_mul_hi_u32 v13, v4, v5
	v_mul_lo_u32 v5, v4, v5
	v_add_co_u32 v7, vcc_lo, v7, v10
	v_add_co_ci_u32_e32 v10, vcc_lo, 0, v11, vcc_lo
	s_delay_alu instid0(VALU_DEP_2) | instskip(NEXT) | instid1(VALU_DEP_2)
	v_add_co_u32 v6, vcc_lo, v7, v6
	v_add_co_ci_u32_e32 v6, vcc_lo, v10, v12, vcc_lo
	v_add_co_ci_u32_e32 v7, vcc_lo, 0, v13, vcc_lo
	v_ashrrev_i32_e32 v12, 31, v9
	s_delay_alu instid0(VALU_DEP_3) | instskip(NEXT) | instid1(VALU_DEP_3)
	v_add_co_u32 v5, vcc_lo, v6, v5
	v_add_co_ci_u32_e32 v6, vcc_lo, 0, v7, vcc_lo
	s_delay_alu instid0(VALU_DEP_2) | instskip(NEXT) | instid1(VALU_DEP_2)
	v_add_co_u32 v3, vcc_lo, v3, v5
	v_add_co_ci_u32_e32 v4, vcc_lo, v4, v6, vcc_lo
	s_delay_alu instid0(VALU_DEP_2) | instskip(SKIP_1) | instid1(VALU_DEP_3)
	v_mul_hi_u32 v5, s0, v3
	v_mul_lo_u32 v7, s35, v3
	v_mul_lo_u32 v6, s0, v4
	s_delay_alu instid0(VALU_DEP_1) | instskip(SKIP_1) | instid1(VALU_DEP_2)
	v_add_nc_u32_e32 v5, v5, v6
	v_mul_lo_u32 v6, s0, v3
	v_add_nc_u32_e32 v5, v5, v7
	s_delay_alu instid0(VALU_DEP_2) | instskip(NEXT) | instid1(VALU_DEP_2)
	v_mul_hi_u32 v7, v3, v6
	v_mul_lo_u32 v10, v3, v5
	v_mul_hi_u32 v11, v3, v5
	v_mul_hi_u32 v13, v4, v6
	v_mul_lo_u32 v6, v4, v6
	v_mul_hi_u32 v14, v4, v5
	v_mul_lo_u32 v5, v4, v5
	v_add_co_u32 v7, vcc_lo, v7, v10
	v_add_co_ci_u32_e32 v10, vcc_lo, 0, v11, vcc_lo
	s_delay_alu instid0(VALU_DEP_2) | instskip(NEXT) | instid1(VALU_DEP_2)
	v_add_co_u32 v6, vcc_lo, v7, v6
	v_add_co_ci_u32_e32 v6, vcc_lo, v10, v13, vcc_lo
	v_add_co_ci_u32_e32 v7, vcc_lo, 0, v14, vcc_lo
	v_add_co_u32 v10, vcc_lo, v8, v12
	v_add_co_ci_u32_e32 v11, vcc_lo, v9, v12, vcc_lo
	s_delay_alu instid0(VALU_DEP_4) | instskip(NEXT) | instid1(VALU_DEP_4)
	v_add_co_u32 v5, vcc_lo, v6, v5
	v_add_co_ci_u32_e32 v6, vcc_lo, 0, v7, vcc_lo
	s_delay_alu instid0(VALU_DEP_4) | instskip(NEXT) | instid1(VALU_DEP_3)
	v_xor_b32_e32 v7, v10, v12
	v_add_co_u32 v10, vcc_lo, v3, v5
	s_delay_alu instid0(VALU_DEP_3) | instskip(SKIP_1) | instid1(VALU_DEP_3)
	v_add_co_ci_u32_e32 v13, vcc_lo, v4, v6, vcc_lo
	v_xor_b32_e32 v14, v11, v12
	v_mul_hi_u32 v15, v7, v10
	s_delay_alu instid0(VALU_DEP_3) | instskip(NEXT) | instid1(VALU_DEP_3)
	v_mad_u64_u32 v[3:4], null, v7, v13, 0
	v_mad_u64_u32 v[5:6], null, v14, v10, 0
	;; [unrolled: 1-line block ×3, first 2 shown]
	s_delay_alu instid0(VALU_DEP_3) | instskip(NEXT) | instid1(VALU_DEP_4)
	v_add_co_u32 v3, vcc_lo, v15, v3
	v_add_co_ci_u32_e32 v4, vcc_lo, 0, v4, vcc_lo
	s_delay_alu instid0(VALU_DEP_2) | instskip(NEXT) | instid1(VALU_DEP_2)
	v_add_co_u32 v3, vcc_lo, v3, v5
	v_add_co_ci_u32_e32 v3, vcc_lo, v4, v6, vcc_lo
	v_add_co_ci_u32_e32 v4, vcc_lo, 0, v11, vcc_lo
	s_delay_alu instid0(VALU_DEP_2) | instskip(NEXT) | instid1(VALU_DEP_2)
	v_add_co_u32 v5, vcc_lo, v3, v10
	v_add_co_ci_u32_e32 v6, vcc_lo, 0, v4, vcc_lo
	s_delay_alu instid0(VALU_DEP_2) | instskip(SKIP_1) | instid1(VALU_DEP_3)
	v_mul_lo_u32 v10, s37, v5
	v_mad_u64_u32 v[3:4], null, s36, v5, 0
	v_mul_lo_u32 v11, s36, v6
	s_delay_alu instid0(VALU_DEP_2) | instskip(NEXT) | instid1(VALU_DEP_2)
	v_sub_co_u32 v3, vcc_lo, v7, v3
	v_add3_u32 v4, v4, v11, v10
	s_delay_alu instid0(VALU_DEP_1) | instskip(NEXT) | instid1(VALU_DEP_1)
	v_sub_nc_u32_e32 v10, v14, v4
	v_subrev_co_ci_u32_e64 v7, s0, s37, v10, vcc_lo
	v_add_co_u32 v10, s0, v5, 2
	s_delay_alu instid0(VALU_DEP_1) | instskip(SKIP_3) | instid1(VALU_DEP_3)
	v_add_co_ci_u32_e64 v11, s0, 0, v6, s0
	v_sub_co_u32 v13, s0, v3, s36
	v_sub_co_ci_u32_e32 v4, vcc_lo, v14, v4, vcc_lo
	v_subrev_co_ci_u32_e64 v7, s0, 0, v7, s0
	v_cmp_le_u32_e32 vcc_lo, s36, v13
	s_delay_alu instid0(VALU_DEP_3) | instskip(SKIP_1) | instid1(VALU_DEP_4)
	v_cmp_eq_u32_e64 s0, s37, v4
	v_cndmask_b32_e64 v13, 0, -1, vcc_lo
	v_cmp_le_u32_e32 vcc_lo, s37, v7
	v_cndmask_b32_e64 v14, 0, -1, vcc_lo
	v_cmp_le_u32_e32 vcc_lo, s36, v3
	;; [unrolled: 2-line block ×3, first 2 shown]
	v_cndmask_b32_e64 v15, 0, -1, vcc_lo
	v_cmp_eq_u32_e32 vcc_lo, s37, v7
	s_delay_alu instid0(VALU_DEP_2) | instskip(SKIP_3) | instid1(VALU_DEP_3)
	v_cndmask_b32_e64 v3, v15, v3, s0
	v_cndmask_b32_e32 v7, v14, v13, vcc_lo
	v_add_co_u32 v13, vcc_lo, v5, 1
	v_add_co_ci_u32_e32 v14, vcc_lo, 0, v6, vcc_lo
	v_cmp_ne_u32_e32 vcc_lo, 0, v7
	s_delay_alu instid0(VALU_DEP_2) | instskip(SKIP_2) | instid1(VALU_DEP_3)
	v_dual_cndmask_b32 v4, v14, v11 :: v_dual_cndmask_b32 v7, v13, v10
	v_cmp_ne_u32_e32 vcc_lo, 0, v3
	v_xor_b32_e32 v3, s34, v12
	v_dual_cndmask_b32 v5, v5, v7 :: v_dual_cndmask_b32 v4, v6, v4
	s_delay_alu instid0(VALU_DEP_1) | instskip(NEXT) | instid1(VALU_DEP_2)
	v_xor_b32_e32 v5, v5, v3
	v_xor_b32_e32 v4, v4, v3
	s_delay_alu instid0(VALU_DEP_2) | instskip(NEXT) | instid1(VALU_DEP_2)
	v_sub_co_u32 v6, vcc_lo, v5, v3
	v_sub_co_ci_u32_e32 v7, vcc_lo, v4, v3, vcc_lo
.LBB27_9:                               ;   in Loop: Header=BB27_3 Depth=1
	s_and_not1_saveexec_b32 s0, s31
	s_cbranch_execz .LBB27_11
; %bb.10:                               ;   in Loop: Header=BB27_3 Depth=1
	v_cvt_f32_u32_e32 v3, s8
	s_sub_i32 s31, 0, s8
	v_mov_b32_e32 v7, v2
	s_delay_alu instid0(VALU_DEP_2) | instskip(SKIP_2) | instid1(VALU_DEP_1)
	v_rcp_iflag_f32_e32 v3, v3
	s_waitcnt_depctr 0xfff
	v_mul_f32_e32 v3, 0x4f7ffffe, v3
	v_cvt_u32_f32_e32 v3, v3
	s_delay_alu instid0(VALU_DEP_1) | instskip(NEXT) | instid1(VALU_DEP_1)
	v_mul_lo_u32 v4, s31, v3
	v_mul_hi_u32 v4, v3, v4
	s_delay_alu instid0(VALU_DEP_1) | instskip(NEXT) | instid1(VALU_DEP_1)
	v_add_nc_u32_e32 v3, v3, v4
	v_mul_hi_u32 v3, v8, v3
	s_delay_alu instid0(VALU_DEP_1) | instskip(SKIP_1) | instid1(VALU_DEP_2)
	v_mul_lo_u32 v4, v3, s8
	v_add_nc_u32_e32 v5, 1, v3
	v_sub_nc_u32_e32 v4, v8, v4
	s_delay_alu instid0(VALU_DEP_1) | instskip(SKIP_1) | instid1(VALU_DEP_2)
	v_subrev_nc_u32_e32 v6, s8, v4
	v_cmp_le_u32_e32 vcc_lo, s8, v4
	v_dual_cndmask_b32 v4, v4, v6 :: v_dual_cndmask_b32 v3, v3, v5
	s_delay_alu instid0(VALU_DEP_1) | instskip(NEXT) | instid1(VALU_DEP_2)
	v_cmp_le_u32_e32 vcc_lo, s8, v4
	v_add_nc_u32_e32 v5, 1, v3
	s_delay_alu instid0(VALU_DEP_1)
	v_cndmask_b32_e32 v6, v3, v5, vcc_lo
.LBB27_11:                              ;   in Loop: Header=BB27_3 Depth=1
	s_or_b32 exec_lo, exec_lo, s0
	v_mul_lo_u32 v5, v9, s2
	v_mul_lo_u32 v12, v8, s3
	v_mad_u64_u32 v[3:4], null, v8, s2, 0
	v_mul_lo_u32 v13, v7, s8
	v_mul_lo_u32 v14, v6, s9
	v_mad_u64_u32 v[10:11], null, v6, s8, 0
	s_mov_b64 s[34:35], s[28:29]
	s_mov_b64 s[36:37], s[26:27]
	s_delay_alu instid0(VALU_DEP_4) | instskip(SKIP_2) | instid1(VALU_DEP_3)
	v_add3_u32 v5, v4, v12, v5
	v_sub_co_u32 v4, vcc_lo, v0, v3
	s_mov_b64 s[38:39], s[24:25]
	v_add3_u32 v3, v11, v14, v13
	s_delay_alu instid0(VALU_DEP_3) | instskip(NEXT) | instid1(VALU_DEP_3)
	v_sub_co_ci_u32_e32 v5, vcc_lo, v1, v5, vcc_lo
	v_mul_lo_u32 v11, s15, v4
	v_mul_lo_u32 v12, s19, v4
	v_mad_u64_u32 v[14:15], null, s18, v4, 0
	s_delay_alu instid0(VALU_DEP_4)
	v_mul_lo_u32 v13, s14, v5
	v_mul_lo_u32 v16, s18, v5
	v_mad_u64_u32 v[21:22], null, s14, v4, 0
	v_sub_co_u32 v19, vcc_lo, v8, v10
	v_sub_co_ci_u32_e32 v20, vcc_lo, v9, v3, vcc_lo
	s_and_b32 vcc_lo, exec_lo, s1
	s_delay_alu instid0(VALU_DEP_4) | instskip(NEXT) | instid1(VALU_DEP_4)
	v_add3_u32 v15, v15, v16, v12
	v_add3_u32 v22, v22, v13, v11
	v_mul_lo_u32 v3, s13, v19
	v_mul_lo_u32 v8, s12, v20
	;; [unrolled: 1-line block ×3, first 2 shown]
	v_mad_u64_u32 v[12:13], null, s16, v19, v[14:15]
	v_mul_lo_u32 v10, s17, v19
	v_mad_u64_u32 v[16:17], null, s12, v19, v[21:22]
	s_delay_alu instid0(VALU_DEP_2) | instskip(NEXT) | instid1(VALU_DEP_2)
	v_add3_u32 v13, v10, v13, v9
	v_add3_u32 v17, v3, v17, v8
	v_mov_b32_e32 v8, v12
	s_delay_alu instid0(VALU_DEP_3) | instskip(NEXT) | instid1(VALU_DEP_3)
	v_dual_mov_b32 v10, v16 :: v_dual_mov_b32 v9, v13
	v_mov_b32_e32 v11, v17
	s_cbranch_vccnz .LBB27_22
.LBB27_12:                              ;   in Loop: Header=BB27_3 Depth=1
	v_sub_co_u32 v6, vcc_lo, v4, v19
	v_sub_co_ci_u32_e32 v7, vcc_lo, v5, v20, vcc_lo
	v_mov_b32_e32 v8, 0
	v_mov_b32_e32 v10, 0
	s_mov_b32 s0, exec_lo
	s_delay_alu instid0(VALU_DEP_3)
	v_cmpx_ge_i64_e64 s[4:5], v[6:7]
	s_cbranch_execz .LBB27_18
; %bb.13:                               ;   in Loop: Header=BB27_3 Depth=1
	v_dual_mov_b32 v10, 0 :: v_dual_mov_b32 v3, 0
	s_mov_b32 s31, exec_lo
	v_cmpx_gt_i64_e64 s[10:11], v[4:5]
	s_cbranch_execz .LBB27_17
; %bb.14:                               ;   in Loop: Header=BB27_3 Depth=1
	v_lshlrev_b64 v[8:9], 2, v[16:17]
	v_mov_b32_e32 v3, 0
	s_mov_b32 s34, exec_lo
	s_delay_alu instid0(VALU_DEP_2) | instskip(NEXT) | instid1(VALU_DEP_3)
	v_add_co_u32 v8, vcc_lo, s20, v8
	v_add_co_ci_u32_e32 v9, vcc_lo, s21, v9, vcc_lo
	v_add_co_u32 v14, vcc_lo, v4, 1
	v_add_co_ci_u32_e32 v15, vcc_lo, 0, v5, vcc_lo
	global_load_b32 v10, v[8:9], off
	v_cmpx_gt_i64_e64 s[10:11], v[14:15]
	s_xor_b32 s34, exec_lo, s34
	s_cbranch_execz .LBB27_16
; %bb.15:                               ;   in Loop: Header=BB27_3 Depth=1
	s_lshl_b64 s[36:37], s[14:15], 2
	s_delay_alu instid0(SALU_CYCLE_1)
	v_add_co_u32 v8, vcc_lo, v8, s36
	v_add_co_ci_u32_e32 v9, vcc_lo, s37, v9, vcc_lo
	global_load_b32 v3, v[8:9], off
.LBB27_16:                              ;   in Loop: Header=BB27_3 Depth=1
	s_or_b32 exec_lo, exec_lo, s34
.LBB27_17:                              ;   in Loop: Header=BB27_3 Depth=1
	s_delay_alu instid0(SALU_CYCLE_1) | instskip(SKIP_2) | instid1(VALU_DEP_1)
	s_or_b32 exec_lo, exec_lo, s31
	v_add_co_u32 v6, vcc_lo, v6, 1
	v_add_co_ci_u32_e32 v7, vcc_lo, 0, v7, vcc_lo
	v_cmp_ge_i64_e32 vcc_lo, s[4:5], v[6:7]
	s_waitcnt vmcnt(0)
	v_cndmask_b32_e32 v8, 0, v3, vcc_lo
.LBB27_18:                              ;   in Loop: Header=BB27_3 Depth=1
	s_or_b32 exec_lo, exec_lo, s0
	s_delay_alu instid0(SALU_CYCLE_1)
	s_mov_b32 s0, exec_lo
	v_cmpx_gt_i64_e64 s[10:11], v[4:5]
	s_cbranch_execz .LBB27_2
; %bb.19:                               ;   in Loop: Header=BB27_3 Depth=1
	v_lshlrev_b64 v[6:7], 2, v[12:13]
	v_add_co_u32 v11, vcc_lo, v4, 1
	v_add_co_ci_u32_e32 v12, vcc_lo, 0, v5, vcc_lo
	s_mov_b32 s31, exec_lo
	s_delay_alu instid0(VALU_DEP_3) | instskip(NEXT) | instid1(VALU_DEP_4)
	v_add_co_u32 v3, vcc_lo, s22, v6
	v_add_co_ci_u32_e32 v4, vcc_lo, s23, v7, vcc_lo
	global_store_b32 v[3:4], v10, off
	v_cmpx_gt_i64_e64 s[10:11], v[11:12]
	s_xor_b32 s31, exec_lo, s31
	s_cbranch_execz .LBB27_2
; %bb.20:                               ;   in Loop: Header=BB27_3 Depth=1
	s_lshl_b64 s[34:35], s[18:19], 2
	s_delay_alu instid0(SALU_CYCLE_1)
	v_add_co_u32 v3, vcc_lo, v3, s34
	v_add_co_ci_u32_e32 v4, vcc_lo, s35, v4, vcc_lo
	global_store_b32 v[3:4], v8, off
	s_branch .LBB27_2
.LBB27_21:                              ;   in Loop: Header=BB27_22 Depth=2
	s_or_b32 exec_lo, exec_lo, s0
	s_delay_alu instid0(VALU_DEP_1) | instskip(NEXT) | instid1(VALU_DEP_2)
	v_mul_lo_u32 v3, v15, s40
	v_mul_lo_u32 v16, v14, s41
	s_load_b64 s[42:43], s[36:37], 0xc8
	v_mad_u64_u32 v[12:13], null, v14, s40, 0
	s_load_b64 s[40:41], s[38:39], 0x0
	s_add_u32 s38, s38, -8
	s_addc_u32 s39, s39, -1
	s_add_u32 s36, s36, -8
	s_addc_u32 s37, s37, -1
	s_add_u32 s34, s34, -1
	s_delay_alu instid0(VALU_DEP_1) | instskip(SKIP_2) | instid1(VALU_DEP_2)
	v_add3_u32 v3, v13, v16, v3
	v_sub_co_u32 v6, vcc_lo, v6, v12
	s_addc_u32 s35, s35, -1
	v_sub_co_ci_u32_e32 v3, vcc_lo, v7, v3, vcc_lo
	v_cmp_lt_i64_e64 s0, s[34:35], 1
	s_waitcnt lgkmcnt(0)
	s_delay_alu instid0(VALU_DEP_2)
	v_mul_lo_u32 v7, s42, v3
	v_mul_lo_u32 v21, s43, v6
	v_mad_u64_u32 v[16:17], null, s42, v6, v[10:11]
	v_mul_lo_u32 v3, s40, v3
	v_mul_lo_u32 v10, s41, v6
	v_mad_u64_u32 v[12:13], null, s40, v6, v[8:9]
	s_and_b32 vcc_lo, exec_lo, s0
	s_delay_alu instid0(VALU_DEP_4) | instskip(SKIP_1) | instid1(VALU_DEP_3)
	v_add3_u32 v17, v21, v17, v7
	v_dual_mov_b32 v6, v14 :: v_dual_mov_b32 v7, v15
	v_add3_u32 v13, v10, v13, v3
	s_delay_alu instid0(VALU_DEP_4) | instskip(NEXT) | instid1(VALU_DEP_4)
	v_mov_b32_e32 v8, v12
	v_dual_mov_b32 v10, v16 :: v_dual_mov_b32 v11, v17
	s_delay_alu instid0(VALU_DEP_3)
	v_mov_b32_e32 v9, v13
	s_cbranch_vccnz .LBB27_12
.LBB27_22:                              ;   Parent Loop BB27_3 Depth=1
                                        ; =>  This Inner Loop Header: Depth=2
	s_load_b64 s[40:41], s[36:37], 0x0
                                        ; implicit-def: $vgpr14_vgpr15
	s_mov_b32 s0, exec_lo
	s_waitcnt lgkmcnt(0)
	v_or_b32_e32 v3, s41, v7
	s_delay_alu instid0(VALU_DEP_1)
	v_cmpx_ne_u64_e32 0, v[2:3]
	s_xor_b32 s31, exec_lo, s0
	s_cbranch_execz .LBB27_24
; %bb.23:                               ;   in Loop: Header=BB27_22 Depth=2
	s_ashr_i32 s42, s41, 31
	s_delay_alu instid0(SALU_CYCLE_1) | instskip(SKIP_2) | instid1(SALU_CYCLE_1)
	s_add_u32 s44, s40, s42
	s_mov_b32 s43, s42
	s_addc_u32 s45, s41, s42
	s_xor_b64 s[44:45], s[44:45], s[42:43]
	s_delay_alu instid0(SALU_CYCLE_1) | instskip(SKIP_3) | instid1(VALU_DEP_1)
	v_cvt_f32_u32_e32 v3, s44
	v_cvt_f32_u32_e32 v12, s45
	s_sub_u32 s0, 0, s44
	s_subb_u32 s43, 0, s45
	v_fmac_f32_e32 v3, 0x4f800000, v12
	s_delay_alu instid0(VALU_DEP_1) | instskip(SKIP_2) | instid1(VALU_DEP_1)
	v_rcp_f32_e32 v3, v3
	s_waitcnt_depctr 0xfff
	v_mul_f32_e32 v3, 0x5f7ffffc, v3
	v_mul_f32_e32 v12, 0x2f800000, v3
	s_delay_alu instid0(VALU_DEP_1) | instskip(NEXT) | instid1(VALU_DEP_1)
	v_trunc_f32_e32 v12, v12
	v_fmac_f32_e32 v3, 0xcf800000, v12
	v_cvt_u32_f32_e32 v12, v12
	s_delay_alu instid0(VALU_DEP_2) | instskip(NEXT) | instid1(VALU_DEP_2)
	v_cvt_u32_f32_e32 v3, v3
	v_mul_lo_u32 v13, s0, v12
	s_delay_alu instid0(VALU_DEP_2) | instskip(SKIP_1) | instid1(VALU_DEP_2)
	v_mul_hi_u32 v14, s0, v3
	v_mul_lo_u32 v15, s43, v3
	v_add_nc_u32_e32 v13, v14, v13
	v_mul_lo_u32 v14, s0, v3
	s_delay_alu instid0(VALU_DEP_2) | instskip(NEXT) | instid1(VALU_DEP_2)
	v_add_nc_u32_e32 v13, v13, v15
	v_mul_hi_u32 v15, v3, v14
	s_delay_alu instid0(VALU_DEP_2)
	v_mul_lo_u32 v16, v3, v13
	v_mul_hi_u32 v17, v3, v13
	v_mul_hi_u32 v21, v12, v14
	v_mul_lo_u32 v14, v12, v14
	v_mul_hi_u32 v22, v12, v13
	v_mul_lo_u32 v13, v12, v13
	v_add_co_u32 v15, vcc_lo, v15, v16
	v_add_co_ci_u32_e32 v16, vcc_lo, 0, v17, vcc_lo
	s_delay_alu instid0(VALU_DEP_2) | instskip(NEXT) | instid1(VALU_DEP_2)
	v_add_co_u32 v14, vcc_lo, v15, v14
	v_add_co_ci_u32_e32 v14, vcc_lo, v16, v21, vcc_lo
	v_add_co_ci_u32_e32 v15, vcc_lo, 0, v22, vcc_lo
	v_ashrrev_i32_e32 v21, 31, v7
	s_delay_alu instid0(VALU_DEP_3) | instskip(NEXT) | instid1(VALU_DEP_3)
	v_add_co_u32 v13, vcc_lo, v14, v13
	v_add_co_ci_u32_e32 v14, vcc_lo, 0, v15, vcc_lo
	s_delay_alu instid0(VALU_DEP_2) | instskip(NEXT) | instid1(VALU_DEP_2)
	v_add_co_u32 v3, vcc_lo, v3, v13
	v_add_co_ci_u32_e32 v12, vcc_lo, v12, v14, vcc_lo
	s_delay_alu instid0(VALU_DEP_2) | instskip(SKIP_1) | instid1(VALU_DEP_3)
	v_mul_hi_u32 v13, s0, v3
	v_mul_lo_u32 v15, s43, v3
	v_mul_lo_u32 v14, s0, v12
	s_delay_alu instid0(VALU_DEP_1) | instskip(SKIP_1) | instid1(VALU_DEP_2)
	v_add_nc_u32_e32 v13, v13, v14
	v_mul_lo_u32 v14, s0, v3
	v_add_nc_u32_e32 v13, v13, v15
	s_delay_alu instid0(VALU_DEP_2) | instskip(NEXT) | instid1(VALU_DEP_2)
	v_mul_hi_u32 v15, v3, v14
	v_mul_lo_u32 v16, v3, v13
	v_mul_hi_u32 v17, v3, v13
	v_mul_hi_u32 v22, v12, v14
	v_mul_lo_u32 v14, v12, v14
	v_mul_hi_u32 v23, v12, v13
	v_mul_lo_u32 v13, v12, v13
	v_add_co_u32 v15, vcc_lo, v15, v16
	v_add_co_ci_u32_e32 v16, vcc_lo, 0, v17, vcc_lo
	s_delay_alu instid0(VALU_DEP_2) | instskip(NEXT) | instid1(VALU_DEP_2)
	v_add_co_u32 v14, vcc_lo, v15, v14
	v_add_co_ci_u32_e32 v14, vcc_lo, v16, v22, vcc_lo
	v_add_co_ci_u32_e32 v15, vcc_lo, 0, v23, vcc_lo
	v_add_co_u32 v16, vcc_lo, v6, v21
	v_add_co_ci_u32_e32 v17, vcc_lo, v7, v21, vcc_lo
	s_delay_alu instid0(VALU_DEP_4) | instskip(NEXT) | instid1(VALU_DEP_4)
	v_add_co_u32 v13, vcc_lo, v14, v13
	v_add_co_ci_u32_e32 v14, vcc_lo, 0, v15, vcc_lo
	s_delay_alu instid0(VALU_DEP_4) | instskip(NEXT) | instid1(VALU_DEP_3)
	v_xor_b32_e32 v22, v16, v21
	v_add_co_u32 v3, vcc_lo, v3, v13
	s_delay_alu instid0(VALU_DEP_3) | instskip(SKIP_1) | instid1(VALU_DEP_3)
	v_add_co_ci_u32_e32 v23, vcc_lo, v12, v14, vcc_lo
	v_xor_b32_e32 v24, v17, v21
	v_mul_hi_u32 v25, v22, v3
	s_delay_alu instid0(VALU_DEP_3) | instskip(NEXT) | instid1(VALU_DEP_3)
	v_mad_u64_u32 v[12:13], null, v22, v23, 0
	v_mad_u64_u32 v[14:15], null, v24, v3, 0
	;; [unrolled: 1-line block ×3, first 2 shown]
	s_delay_alu instid0(VALU_DEP_3) | instskip(NEXT) | instid1(VALU_DEP_4)
	v_add_co_u32 v3, vcc_lo, v25, v12
	v_add_co_ci_u32_e32 v12, vcc_lo, 0, v13, vcc_lo
	s_delay_alu instid0(VALU_DEP_2) | instskip(NEXT) | instid1(VALU_DEP_2)
	v_add_co_u32 v3, vcc_lo, v3, v14
	v_add_co_ci_u32_e32 v3, vcc_lo, v12, v15, vcc_lo
	v_add_co_ci_u32_e32 v12, vcc_lo, 0, v17, vcc_lo
	s_delay_alu instid0(VALU_DEP_2) | instskip(NEXT) | instid1(VALU_DEP_2)
	v_add_co_u32 v3, vcc_lo, v3, v16
	v_add_co_ci_u32_e32 v14, vcc_lo, 0, v12, vcc_lo
	s_delay_alu instid0(VALU_DEP_2) | instskip(SKIP_1) | instid1(VALU_DEP_3)
	v_mul_lo_u32 v15, s45, v3
	v_mad_u64_u32 v[12:13], null, s44, v3, 0
	v_mul_lo_u32 v16, s44, v14
	s_delay_alu instid0(VALU_DEP_2) | instskip(NEXT) | instid1(VALU_DEP_2)
	v_sub_co_u32 v12, vcc_lo, v22, v12
	v_add3_u32 v13, v13, v16, v15
	s_delay_alu instid0(VALU_DEP_1) | instskip(NEXT) | instid1(VALU_DEP_1)
	v_sub_nc_u32_e32 v15, v24, v13
	v_subrev_co_ci_u32_e64 v15, s0, s45, v15, vcc_lo
	v_add_co_u32 v16, s0, v3, 2
	s_delay_alu instid0(VALU_DEP_1) | instskip(SKIP_3) | instid1(VALU_DEP_3)
	v_add_co_ci_u32_e64 v17, s0, 0, v14, s0
	v_sub_co_u32 v22, s0, v12, s44
	v_sub_co_ci_u32_e32 v13, vcc_lo, v24, v13, vcc_lo
	v_subrev_co_ci_u32_e64 v15, s0, 0, v15, s0
	v_cmp_le_u32_e32 vcc_lo, s44, v22
	s_delay_alu instid0(VALU_DEP_3) | instskip(SKIP_1) | instid1(VALU_DEP_4)
	v_cmp_eq_u32_e64 s0, s45, v13
	v_cndmask_b32_e64 v22, 0, -1, vcc_lo
	v_cmp_le_u32_e32 vcc_lo, s45, v15
	v_cndmask_b32_e64 v23, 0, -1, vcc_lo
	v_cmp_le_u32_e32 vcc_lo, s44, v12
	;; [unrolled: 2-line block ×3, first 2 shown]
	v_cndmask_b32_e64 v24, 0, -1, vcc_lo
	v_cmp_eq_u32_e32 vcc_lo, s45, v15
	s_delay_alu instid0(VALU_DEP_2) | instskip(SKIP_3) | instid1(VALU_DEP_3)
	v_cndmask_b32_e64 v12, v24, v12, s0
	v_cndmask_b32_e32 v15, v23, v22, vcc_lo
	v_add_co_u32 v22, vcc_lo, v3, 1
	v_add_co_ci_u32_e32 v23, vcc_lo, 0, v14, vcc_lo
	v_cmp_ne_u32_e32 vcc_lo, 0, v15
	s_delay_alu instid0(VALU_DEP_2) | instskip(NEXT) | instid1(VALU_DEP_4)
	v_cndmask_b32_e32 v13, v23, v17, vcc_lo
	v_cndmask_b32_e32 v15, v22, v16, vcc_lo
	v_cmp_ne_u32_e32 vcc_lo, 0, v12
	v_xor_b32_e32 v12, s42, v21
	s_delay_alu instid0(VALU_DEP_3) | instskip(SKIP_1) | instid1(VALU_DEP_2)
	v_cndmask_b32_e32 v3, v3, v15, vcc_lo
	v_cndmask_b32_e32 v13, v14, v13, vcc_lo
	v_xor_b32_e32 v3, v3, v12
	s_delay_alu instid0(VALU_DEP_2) | instskip(NEXT) | instid1(VALU_DEP_2)
	v_xor_b32_e32 v13, v13, v12
	v_sub_co_u32 v14, vcc_lo, v3, v12
	s_delay_alu instid0(VALU_DEP_2)
	v_sub_co_ci_u32_e32 v15, vcc_lo, v13, v12, vcc_lo
.LBB27_24:                              ;   in Loop: Header=BB27_22 Depth=2
	s_and_not1_saveexec_b32 s0, s31
	s_cbranch_execz .LBB27_21
; %bb.25:                               ;   in Loop: Header=BB27_22 Depth=2
	v_cvt_f32_u32_e32 v3, s40
	s_sub_i32 s31, 0, s40
	v_mov_b32_e32 v15, v2
	s_delay_alu instid0(VALU_DEP_2) | instskip(SKIP_2) | instid1(VALU_DEP_1)
	v_rcp_iflag_f32_e32 v3, v3
	s_waitcnt_depctr 0xfff
	v_mul_f32_e32 v3, 0x4f7ffffe, v3
	v_cvt_u32_f32_e32 v3, v3
	s_delay_alu instid0(VALU_DEP_1) | instskip(NEXT) | instid1(VALU_DEP_1)
	v_mul_lo_u32 v12, s31, v3
	v_mul_hi_u32 v12, v3, v12
	s_delay_alu instid0(VALU_DEP_1) | instskip(NEXT) | instid1(VALU_DEP_1)
	v_add_nc_u32_e32 v3, v3, v12
	v_mul_hi_u32 v3, v6, v3
	s_delay_alu instid0(VALU_DEP_1) | instskip(SKIP_1) | instid1(VALU_DEP_2)
	v_mul_lo_u32 v12, v3, s40
	v_add_nc_u32_e32 v13, 1, v3
	v_sub_nc_u32_e32 v12, v6, v12
	s_delay_alu instid0(VALU_DEP_1) | instskip(SKIP_1) | instid1(VALU_DEP_2)
	v_subrev_nc_u32_e32 v14, s40, v12
	v_cmp_le_u32_e32 vcc_lo, s40, v12
	v_dual_cndmask_b32 v12, v12, v14 :: v_dual_cndmask_b32 v3, v3, v13
	s_delay_alu instid0(VALU_DEP_1) | instskip(NEXT) | instid1(VALU_DEP_2)
	v_cmp_le_u32_e32 vcc_lo, s40, v12
	v_add_nc_u32_e32 v13, 1, v3
	s_delay_alu instid0(VALU_DEP_1)
	v_cndmask_b32_e32 v14, v3, v13, vcc_lo
	s_branch .LBB27_21
.LBB27_26:
	s_nop 0
	s_sendmsg sendmsg(MSG_DEALLOC_VGPRS)
	s_endpgm
	.section	.rodata,"a",@progbits
	.p2align	6, 0x0
	.amdhsa_kernel _ZN2at6native16triu_tril_kernelIflLb0ELi2ELb0EEEvNS_4cuda6detail10TensorInfoIT_T0_EENS4_IKS5_S6_EEllS6_
		.amdhsa_group_segment_fixed_size 0
		.amdhsa_private_segment_fixed_size 0
		.amdhsa_kernarg_size 1112
		.amdhsa_user_sgpr_count 15
		.amdhsa_user_sgpr_dispatch_ptr 0
		.amdhsa_user_sgpr_queue_ptr 0
		.amdhsa_user_sgpr_kernarg_segment_ptr 1
		.amdhsa_user_sgpr_dispatch_id 0
		.amdhsa_user_sgpr_private_segment_size 0
		.amdhsa_wavefront_size32 1
		.amdhsa_uses_dynamic_stack 0
		.amdhsa_enable_private_segment 0
		.amdhsa_system_sgpr_workgroup_id_x 1
		.amdhsa_system_sgpr_workgroup_id_y 0
		.amdhsa_system_sgpr_workgroup_id_z 0
		.amdhsa_system_sgpr_workgroup_info 0
		.amdhsa_system_vgpr_workitem_id 0
		.amdhsa_next_free_vgpr 26
		.amdhsa_next_free_sgpr 47
		.amdhsa_reserve_vcc 1
		.amdhsa_float_round_mode_32 0
		.amdhsa_float_round_mode_16_64 0
		.amdhsa_float_denorm_mode_32 3
		.amdhsa_float_denorm_mode_16_64 3
		.amdhsa_dx10_clamp 1
		.amdhsa_ieee_mode 1
		.amdhsa_fp16_overflow 0
		.amdhsa_workgroup_processor_mode 1
		.amdhsa_memory_ordered 1
		.amdhsa_forward_progress 0
		.amdhsa_shared_vgpr_count 0
		.amdhsa_exception_fp_ieee_invalid_op 0
		.amdhsa_exception_fp_denorm_src 0
		.amdhsa_exception_fp_ieee_div_zero 0
		.amdhsa_exception_fp_ieee_overflow 0
		.amdhsa_exception_fp_ieee_underflow 0
		.amdhsa_exception_fp_ieee_inexact 0
		.amdhsa_exception_int_div_zero 0
	.end_amdhsa_kernel
	.section	.text._ZN2at6native16triu_tril_kernelIflLb0ELi2ELb0EEEvNS_4cuda6detail10TensorInfoIT_T0_EENS4_IKS5_S6_EEllS6_,"axG",@progbits,_ZN2at6native16triu_tril_kernelIflLb0ELi2ELb0EEEvNS_4cuda6detail10TensorInfoIT_T0_EENS4_IKS5_S6_EEllS6_,comdat
.Lfunc_end27:
	.size	_ZN2at6native16triu_tril_kernelIflLb0ELi2ELb0EEEvNS_4cuda6detail10TensorInfoIT_T0_EENS4_IKS5_S6_EEllS6_, .Lfunc_end27-_ZN2at6native16triu_tril_kernelIflLb0ELi2ELb0EEEvNS_4cuda6detail10TensorInfoIT_T0_EENS4_IKS5_S6_EEllS6_
                                        ; -- End function
	.section	.AMDGPU.csdata,"",@progbits
; Kernel info:
; codeLenInByte = 4152
; NumSgprs: 49
; NumVgprs: 26
; ScratchSize: 0
; MemoryBound: 0
; FloatMode: 240
; IeeeMode: 1
; LDSByteSize: 0 bytes/workgroup (compile time only)
; SGPRBlocks: 6
; VGPRBlocks: 3
; NumSGPRsForWavesPerEU: 49
; NumVGPRsForWavesPerEU: 26
; Occupancy: 16
; WaveLimiterHint : 0
; COMPUTE_PGM_RSRC2:SCRATCH_EN: 0
; COMPUTE_PGM_RSRC2:USER_SGPR: 15
; COMPUTE_PGM_RSRC2:TRAP_HANDLER: 0
; COMPUTE_PGM_RSRC2:TGID_X_EN: 1
; COMPUTE_PGM_RSRC2:TGID_Y_EN: 0
; COMPUTE_PGM_RSRC2:TGID_Z_EN: 0
; COMPUTE_PGM_RSRC2:TIDIG_COMP_CNT: 0
	.section	.text._ZN2at6native16triu_tril_kernelIN3c107complexIdEEiLb0ELi1ELb1EEEvNS_4cuda6detail10TensorInfoIT_T0_EENS7_IKS8_S9_EEllS9_,"axG",@progbits,_ZN2at6native16triu_tril_kernelIN3c107complexIdEEiLb0ELi1ELb1EEEvNS_4cuda6detail10TensorInfoIT_T0_EENS7_IKS8_S9_EEllS9_,comdat
	.protected	_ZN2at6native16triu_tril_kernelIN3c107complexIdEEiLb0ELi1ELb1EEEvNS_4cuda6detail10TensorInfoIT_T0_EENS7_IKS8_S9_EEllS9_ ; -- Begin function _ZN2at6native16triu_tril_kernelIN3c107complexIdEEiLb0ELi1ELb1EEEvNS_4cuda6detail10TensorInfoIT_T0_EENS7_IKS8_S9_EEllS9_
	.globl	_ZN2at6native16triu_tril_kernelIN3c107complexIdEEiLb0ELi1ELb1EEEvNS_4cuda6detail10TensorInfoIT_T0_EENS7_IKS8_S9_EEllS9_
	.p2align	8
	.type	_ZN2at6native16triu_tril_kernelIN3c107complexIdEEiLb0ELi1ELb1EEEvNS_4cuda6detail10TensorInfoIT_T0_EENS7_IKS8_S9_EEllS9_,@function
_ZN2at6native16triu_tril_kernelIN3c107complexIdEEiLb0ELi1ELb1EEEvNS_4cuda6detail10TensorInfoIT_T0_EENS7_IKS8_S9_EEllS9_: ; @_ZN2at6native16triu_tril_kernelIN3c107complexIdEEiLb0ELi1ELb1EEEvNS_4cuda6detail10TensorInfoIT_T0_EENS7_IKS8_S9_EEllS9_
; %bb.0:
	s_clause 0x1
	s_load_b32 s2, s[0:1], 0x1d4
	s_load_b128 s[4:7], s[0:1], 0x1b0
	v_mov_b32_e32 v2, 0
	s_add_u32 s16, s0, 0x1c8
	s_addc_u32 s17, s1, 0
	s_delay_alu instid0(VALU_DEP_1) | instskip(SKIP_3) | instid1(VALU_DEP_1)
	v_mov_b32_e32 v1, v2
	s_waitcnt lgkmcnt(0)
	s_and_b32 s14, s2, 0xffff
	s_mov_b32 s2, exec_lo
	v_mad_u64_u32 v[6:7], null, s14, s15, v[0:1]
	s_delay_alu instid0(VALU_DEP_1)
	v_cmpx_gt_i64_e64 s[6:7], v[6:7]
	s_cbranch_execz .LBB28_61
; %bb.1:
	s_clause 0x2
	s_load_b32 s24, s[0:1], 0x1c0
	s_load_b32 s18, s[0:1], 0x1a8
	s_load_b64 s[2:3], s[0:1], 0x0
	s_mov_b32 s38, 0
	s_waitcnt lgkmcnt(0)
	s_ashr_i32 s25, s24, 31
	s_ashr_i32 s19, s18, 31
	s_add_u32 s26, s0, 0xe0
	s_addc_u32 s27, s1, 0
	s_lshl_b64 s[8:9], s[18:19], 2
	v_cvt_f32_u32_e32 v0, s24
	s_add_u32 s12, s8, -8
	s_addc_u32 s13, s9, -1
	s_add_u32 s10, s26, s12
	s_addc_u32 s11, s27, s13
	v_rcp_iflag_f32_e32 v0, v0
	s_load_b32 s28, s[10:11], 0x0
	v_cmp_gt_i64_e64 s36, s[18:19], 2
	s_waitcnt_depctr 0xfff
	v_mul_f32_e32 v0, 0x4f7ffffe, v0
	s_delay_alu instid0(VALU_DEP_1)
	v_cvt_u32_f32_e32 v0, v0
	s_waitcnt lgkmcnt(0)
	s_ashr_i32 s29, s28, 31
	s_add_u32 s15, s8, -4
	s_addc_u32 s20, s9, -1
	s_add_u32 s30, s0, 0x6c
	s_addc_u32 s1, s1, 0
	s_add_u32 s8, s30, s15
	s_addc_u32 s9, s1, s20
	;; [unrolled: 2-line block ×3, first 2 shown]
	s_add_i32 s31, s18, -3
	s_add_u32 s12, s26, s15
	s_addc_u32 s13, s27, s20
	s_add_i32 s0, s18, 6
	s_delay_alu instid0(SALU_CYCLE_1)
	s_and_b32 s33, s0, 7
	s_load_b32 s0, s[16:17], 0x0
	s_cmp_lg_u32 s33, 0
	s_cselect_b32 s34, -1, 0
	s_cmp_gt_u32 s31, 6
	s_cselect_b32 s35, -1, 0
	s_sub_i32 s15, 0, s24
	s_delay_alu instid0(SALU_CYCLE_1) | instskip(SKIP_1) | instid1(VALU_DEP_1)
	v_mul_lo_u32 v1, s15, v0
	s_mov_b32 s15, 0
	v_mul_hi_u32 v1, v0, v1
	s_waitcnt lgkmcnt(0)
	s_mul_i32 s37, s0, s14
	s_delay_alu instid0(VALU_DEP_1)
	v_add_nc_u32_e32 v26, v0, v1
	s_branch .LBB28_3
.LBB28_2:                               ;   in Loop: Header=BB28_3 Depth=1
	s_or_b32 exec_lo, exec_lo, s39
	v_add_co_u32 v6, vcc_lo, v6, s37
	v_add_co_ci_u32_e32 v7, vcc_lo, 0, v7, vcc_lo
	s_delay_alu instid0(VALU_DEP_1) | instskip(SKIP_1) | instid1(SALU_CYCLE_1)
	v_cmp_le_i64_e32 vcc_lo, s[6:7], v[6:7]
	s_or_b32 s38, vcc_lo, s38
	s_and_not1_b32 exec_lo, exec_lo, s38
	s_cbranch_execz .LBB28_61
.LBB28_3:                               ; =>This Loop Header: Depth=1
                                        ;     Child Loop BB28_15 Depth 2
                                        ;     Child Loop BB28_24 Depth 2
	v_or_b32_e32 v3, s25, v7
                                        ; implicit-def: $vgpr0_vgpr1
	s_mov_b32 s0, exec_lo
	s_delay_alu instid0(VALU_DEP_1)
	v_cmpx_ne_u64_e32 0, v[2:3]
	s_xor_b32 s14, exec_lo, s0
	s_cbranch_execz .LBB28_5
; %bb.4:                                ;   in Loop: Header=BB28_3 Depth=1
	s_add_u32 s18, s24, s25
	s_mov_b32 s16, s25
	s_mov_b32 s17, s25
	s_addc_u32 s19, s25, s25
	s_delay_alu instid0(SALU_CYCLE_1) | instskip(NEXT) | instid1(SALU_CYCLE_1)
	s_xor_b64 s[18:19], s[18:19], s[16:17]
	v_cvt_f32_u32_e32 v0, s18
	v_cvt_f32_u32_e32 v1, s19
	s_sub_u32 s0, 0, s18
	s_subb_u32 s20, 0, s19
	s_delay_alu instid0(VALU_DEP_1) | instskip(NEXT) | instid1(VALU_DEP_1)
	v_fmac_f32_e32 v0, 0x4f800000, v1
	v_rcp_f32_e32 v0, v0
	s_waitcnt_depctr 0xfff
	v_mul_f32_e32 v0, 0x5f7ffffc, v0
	s_delay_alu instid0(VALU_DEP_1) | instskip(NEXT) | instid1(VALU_DEP_1)
	v_mul_f32_e32 v1, 0x2f800000, v0
	v_trunc_f32_e32 v1, v1
	s_delay_alu instid0(VALU_DEP_1) | instskip(SKIP_1) | instid1(VALU_DEP_2)
	v_fmac_f32_e32 v0, 0xcf800000, v1
	v_cvt_u32_f32_e32 v1, v1
	v_cvt_u32_f32_e32 v0, v0
	s_delay_alu instid0(VALU_DEP_2) | instskip(NEXT) | instid1(VALU_DEP_2)
	v_mul_lo_u32 v3, s0, v1
	v_mul_hi_u32 v4, s0, v0
	v_mul_lo_u32 v5, s20, v0
	s_delay_alu instid0(VALU_DEP_2) | instskip(SKIP_1) | instid1(VALU_DEP_2)
	v_add_nc_u32_e32 v3, v4, v3
	v_mul_lo_u32 v4, s0, v0
	v_add_nc_u32_e32 v3, v3, v5
	s_delay_alu instid0(VALU_DEP_2) | instskip(NEXT) | instid1(VALU_DEP_2)
	v_mul_hi_u32 v5, v0, v4
	v_mul_lo_u32 v8, v0, v3
	v_mul_hi_u32 v9, v0, v3
	v_mul_hi_u32 v10, v1, v4
	v_mul_lo_u32 v4, v1, v4
	v_mul_hi_u32 v11, v1, v3
	v_mul_lo_u32 v3, v1, v3
	v_add_co_u32 v5, vcc_lo, v5, v8
	v_add_co_ci_u32_e32 v8, vcc_lo, 0, v9, vcc_lo
	s_delay_alu instid0(VALU_DEP_2) | instskip(NEXT) | instid1(VALU_DEP_2)
	v_add_co_u32 v4, vcc_lo, v5, v4
	v_add_co_ci_u32_e32 v4, vcc_lo, v8, v10, vcc_lo
	v_add_co_ci_u32_e32 v5, vcc_lo, 0, v11, vcc_lo
	v_ashrrev_i32_e32 v10, 31, v7
	s_delay_alu instid0(VALU_DEP_3) | instskip(NEXT) | instid1(VALU_DEP_3)
	v_add_co_u32 v3, vcc_lo, v4, v3
	v_add_co_ci_u32_e32 v4, vcc_lo, 0, v5, vcc_lo
	s_delay_alu instid0(VALU_DEP_2) | instskip(NEXT) | instid1(VALU_DEP_2)
	v_add_co_u32 v0, vcc_lo, v0, v3
	v_add_co_ci_u32_e32 v1, vcc_lo, v1, v4, vcc_lo
	s_delay_alu instid0(VALU_DEP_2) | instskip(SKIP_1) | instid1(VALU_DEP_3)
	v_mul_hi_u32 v3, s0, v0
	v_mul_lo_u32 v5, s20, v0
	v_mul_lo_u32 v4, s0, v1
	s_delay_alu instid0(VALU_DEP_1) | instskip(SKIP_1) | instid1(VALU_DEP_2)
	v_add_nc_u32_e32 v3, v3, v4
	v_mul_lo_u32 v4, s0, v0
	v_add_nc_u32_e32 v3, v3, v5
	s_delay_alu instid0(VALU_DEP_2) | instskip(NEXT) | instid1(VALU_DEP_2)
	v_mul_hi_u32 v5, v0, v4
	v_mul_lo_u32 v8, v0, v3
	v_mul_hi_u32 v9, v0, v3
	v_mul_hi_u32 v11, v1, v4
	v_mul_lo_u32 v4, v1, v4
	v_mul_hi_u32 v12, v1, v3
	v_mul_lo_u32 v3, v1, v3
	v_add_co_u32 v5, vcc_lo, v5, v8
	v_add_co_ci_u32_e32 v8, vcc_lo, 0, v9, vcc_lo
	s_delay_alu instid0(VALU_DEP_2) | instskip(NEXT) | instid1(VALU_DEP_2)
	v_add_co_u32 v4, vcc_lo, v5, v4
	v_add_co_ci_u32_e32 v4, vcc_lo, v8, v11, vcc_lo
	v_add_co_ci_u32_e32 v5, vcc_lo, 0, v12, vcc_lo
	v_add_co_u32 v8, vcc_lo, v6, v10
	v_add_co_ci_u32_e32 v9, vcc_lo, v7, v10, vcc_lo
	s_delay_alu instid0(VALU_DEP_4) | instskip(NEXT) | instid1(VALU_DEP_4)
	v_add_co_u32 v3, vcc_lo, v4, v3
	v_add_co_ci_u32_e32 v4, vcc_lo, 0, v5, vcc_lo
	s_delay_alu instid0(VALU_DEP_4) | instskip(NEXT) | instid1(VALU_DEP_3)
	v_xor_b32_e32 v5, v8, v10
	v_add_co_u32 v8, vcc_lo, v0, v3
	s_delay_alu instid0(VALU_DEP_3) | instskip(SKIP_1) | instid1(VALU_DEP_3)
	v_add_co_ci_u32_e32 v11, vcc_lo, v1, v4, vcc_lo
	v_xor_b32_e32 v12, v9, v10
	v_mul_hi_u32 v13, v5, v8
	s_delay_alu instid0(VALU_DEP_3) | instskip(NEXT) | instid1(VALU_DEP_3)
	v_mad_u64_u32 v[0:1], null, v5, v11, 0
	v_mad_u64_u32 v[3:4], null, v12, v8, 0
	;; [unrolled: 1-line block ×3, first 2 shown]
	s_delay_alu instid0(VALU_DEP_3) | instskip(NEXT) | instid1(VALU_DEP_4)
	v_add_co_u32 v0, vcc_lo, v13, v0
	v_add_co_ci_u32_e32 v1, vcc_lo, 0, v1, vcc_lo
	s_delay_alu instid0(VALU_DEP_2) | instskip(NEXT) | instid1(VALU_DEP_2)
	v_add_co_u32 v0, vcc_lo, v0, v3
	v_add_co_ci_u32_e32 v0, vcc_lo, v1, v4, vcc_lo
	v_add_co_ci_u32_e32 v1, vcc_lo, 0, v9, vcc_lo
	s_delay_alu instid0(VALU_DEP_2) | instskip(NEXT) | instid1(VALU_DEP_2)
	v_add_co_u32 v3, vcc_lo, v0, v8
	v_add_co_ci_u32_e32 v4, vcc_lo, 0, v1, vcc_lo
	s_delay_alu instid0(VALU_DEP_2) | instskip(SKIP_1) | instid1(VALU_DEP_3)
	v_mul_lo_u32 v8, s19, v3
	v_mad_u64_u32 v[0:1], null, s18, v3, 0
	v_mul_lo_u32 v9, s18, v4
	s_delay_alu instid0(VALU_DEP_2) | instskip(NEXT) | instid1(VALU_DEP_2)
	v_sub_co_u32 v0, vcc_lo, v5, v0
	v_add3_u32 v1, v1, v9, v8
	s_delay_alu instid0(VALU_DEP_1) | instskip(NEXT) | instid1(VALU_DEP_1)
	v_sub_nc_u32_e32 v8, v12, v1
	v_subrev_co_ci_u32_e64 v5, s0, s19, v8, vcc_lo
	v_add_co_u32 v8, s0, v3, 2
	s_delay_alu instid0(VALU_DEP_1) | instskip(SKIP_3) | instid1(VALU_DEP_3)
	v_add_co_ci_u32_e64 v9, s0, 0, v4, s0
	v_sub_co_u32 v11, s0, v0, s18
	v_sub_co_ci_u32_e32 v1, vcc_lo, v12, v1, vcc_lo
	v_subrev_co_ci_u32_e64 v5, s0, 0, v5, s0
	v_cmp_le_u32_e32 vcc_lo, s18, v11
	s_delay_alu instid0(VALU_DEP_3) | instskip(SKIP_1) | instid1(VALU_DEP_4)
	v_cmp_eq_u32_e64 s0, s19, v1
	v_cndmask_b32_e64 v11, 0, -1, vcc_lo
	v_cmp_le_u32_e32 vcc_lo, s19, v5
	v_cndmask_b32_e64 v12, 0, -1, vcc_lo
	v_cmp_le_u32_e32 vcc_lo, s18, v0
	;; [unrolled: 2-line block ×3, first 2 shown]
	v_cndmask_b32_e64 v13, 0, -1, vcc_lo
	v_cmp_eq_u32_e32 vcc_lo, s19, v5
	s_delay_alu instid0(VALU_DEP_2) | instskip(SKIP_3) | instid1(VALU_DEP_3)
	v_cndmask_b32_e64 v0, v13, v0, s0
	v_cndmask_b32_e32 v5, v12, v11, vcc_lo
	v_add_co_u32 v11, vcc_lo, v3, 1
	v_add_co_ci_u32_e32 v12, vcc_lo, 0, v4, vcc_lo
	v_cmp_ne_u32_e32 vcc_lo, 0, v5
	s_delay_alu instid0(VALU_DEP_2) | instskip(NEXT) | instid1(VALU_DEP_4)
	v_cndmask_b32_e32 v1, v12, v9, vcc_lo
	v_cndmask_b32_e32 v5, v11, v8, vcc_lo
	v_cmp_ne_u32_e32 vcc_lo, 0, v0
	v_xor_b32_e32 v0, s16, v10
	s_delay_alu instid0(VALU_DEP_3) | instskip(SKIP_2) | instid1(VALU_DEP_3)
	v_cndmask_b32_e32 v3, v3, v5, vcc_lo
	v_cndmask_b32_e32 v1, v4, v1, vcc_lo
	v_xor_b32_e32 v4, s17, v10
	v_xor_b32_e32 v3, v3, v0
	s_delay_alu instid0(VALU_DEP_2) | instskip(NEXT) | instid1(VALU_DEP_2)
	v_xor_b32_e32 v1, v1, v4
	v_sub_co_u32 v0, vcc_lo, v3, v0
	s_delay_alu instid0(VALU_DEP_2)
	v_sub_co_ci_u32_e32 v1, vcc_lo, v1, v4, vcc_lo
.LBB28_5:                               ;   in Loop: Header=BB28_3 Depth=1
	s_and_not1_saveexec_b32 s0, s14
; %bb.6:                                ;   in Loop: Header=BB28_3 Depth=1
	v_mul_hi_u32 v0, v6, v26
	s_delay_alu instid0(VALU_DEP_1) | instskip(SKIP_1) | instid1(VALU_DEP_2)
	v_mul_lo_u32 v1, v0, s24
	v_add_nc_u32_e32 v3, 1, v0
	v_sub_nc_u32_e32 v1, v6, v1
	s_delay_alu instid0(VALU_DEP_1) | instskip(SKIP_1) | instid1(VALU_DEP_2)
	v_subrev_nc_u32_e32 v4, s24, v1
	v_cmp_le_u32_e32 vcc_lo, s24, v1
	v_dual_cndmask_b32 v1, v1, v4 :: v_dual_cndmask_b32 v0, v0, v3
	s_delay_alu instid0(VALU_DEP_1) | instskip(NEXT) | instid1(VALU_DEP_2)
	v_cmp_le_u32_e32 vcc_lo, s24, v1
	v_add_nc_u32_e32 v3, 1, v0
	s_delay_alu instid0(VALU_DEP_1)
	v_dual_mov_b32 v1, v2 :: v_dual_cndmask_b32 v0, v0, v3
; %bb.7:                                ;   in Loop: Header=BB28_3 Depth=1
	s_or_b32 exec_lo, exec_lo, s0
	s_delay_alu instid0(VALU_DEP_1) | instskip(SKIP_1) | instid1(VALU_DEP_1)
	v_or_b32_e32 v3, s29, v1
                                        ; implicit-def: $vgpr8_vgpr9
	s_mov_b32 s0, exec_lo
	v_cmpx_ne_u64_e32 0, v[2:3]
	s_xor_b32 s14, exec_lo, s0
	s_cbranch_execz .LBB28_9
; %bb.8:                                ;   in Loop: Header=BB28_3 Depth=1
	s_add_u32 s18, s28, s29
	s_mov_b32 s16, s29
	s_mov_b32 s17, s29
	s_addc_u32 s19, s29, s29
	s_delay_alu instid0(SALU_CYCLE_1) | instskip(NEXT) | instid1(SALU_CYCLE_1)
	s_xor_b64 s[18:19], s[18:19], s[16:17]
	v_cvt_f32_u32_e32 v3, s18
	v_cvt_f32_u32_e32 v4, s19
	s_sub_u32 s0, 0, s18
	s_subb_u32 s20, 0, s19
	s_delay_alu instid0(VALU_DEP_1) | instskip(NEXT) | instid1(VALU_DEP_1)
	v_fmac_f32_e32 v3, 0x4f800000, v4
	v_rcp_f32_e32 v3, v3
	s_waitcnt_depctr 0xfff
	v_mul_f32_e32 v3, 0x5f7ffffc, v3
	s_delay_alu instid0(VALU_DEP_1) | instskip(NEXT) | instid1(VALU_DEP_1)
	v_mul_f32_e32 v4, 0x2f800000, v3
	v_trunc_f32_e32 v4, v4
	s_delay_alu instid0(VALU_DEP_1) | instskip(SKIP_1) | instid1(VALU_DEP_2)
	v_fmac_f32_e32 v3, 0xcf800000, v4
	v_cvt_u32_f32_e32 v4, v4
	v_cvt_u32_f32_e32 v3, v3
	s_delay_alu instid0(VALU_DEP_2) | instskip(NEXT) | instid1(VALU_DEP_2)
	v_mul_lo_u32 v5, s0, v4
	v_mul_hi_u32 v8, s0, v3
	v_mul_lo_u32 v9, s20, v3
	s_delay_alu instid0(VALU_DEP_2) | instskip(SKIP_1) | instid1(VALU_DEP_2)
	v_add_nc_u32_e32 v5, v8, v5
	v_mul_lo_u32 v8, s0, v3
	v_add_nc_u32_e32 v5, v5, v9
	s_delay_alu instid0(VALU_DEP_2) | instskip(NEXT) | instid1(VALU_DEP_2)
	v_mul_hi_u32 v9, v3, v8
	v_mul_lo_u32 v10, v3, v5
	v_mul_hi_u32 v11, v3, v5
	v_mul_hi_u32 v12, v4, v8
	v_mul_lo_u32 v8, v4, v8
	v_mul_hi_u32 v13, v4, v5
	v_mul_lo_u32 v5, v4, v5
	v_add_co_u32 v9, vcc_lo, v9, v10
	v_add_co_ci_u32_e32 v10, vcc_lo, 0, v11, vcc_lo
	s_delay_alu instid0(VALU_DEP_2) | instskip(NEXT) | instid1(VALU_DEP_2)
	v_add_co_u32 v8, vcc_lo, v9, v8
	v_add_co_ci_u32_e32 v8, vcc_lo, v10, v12, vcc_lo
	v_add_co_ci_u32_e32 v9, vcc_lo, 0, v13, vcc_lo
	v_ashrrev_i32_e32 v12, 31, v1
	s_delay_alu instid0(VALU_DEP_3) | instskip(NEXT) | instid1(VALU_DEP_3)
	v_add_co_u32 v5, vcc_lo, v8, v5
	v_add_co_ci_u32_e32 v8, vcc_lo, 0, v9, vcc_lo
	s_delay_alu instid0(VALU_DEP_2) | instskip(NEXT) | instid1(VALU_DEP_2)
	v_add_co_u32 v3, vcc_lo, v3, v5
	v_add_co_ci_u32_e32 v4, vcc_lo, v4, v8, vcc_lo
	s_delay_alu instid0(VALU_DEP_2) | instskip(SKIP_1) | instid1(VALU_DEP_3)
	v_mul_hi_u32 v5, s0, v3
	v_mul_lo_u32 v9, s20, v3
	v_mul_lo_u32 v8, s0, v4
	s_delay_alu instid0(VALU_DEP_1) | instskip(SKIP_1) | instid1(VALU_DEP_2)
	v_add_nc_u32_e32 v5, v5, v8
	v_mul_lo_u32 v8, s0, v3
	v_add_nc_u32_e32 v5, v5, v9
	s_delay_alu instid0(VALU_DEP_2) | instskip(NEXT) | instid1(VALU_DEP_2)
	v_mul_hi_u32 v9, v3, v8
	v_mul_lo_u32 v10, v3, v5
	v_mul_hi_u32 v11, v3, v5
	v_mul_hi_u32 v13, v4, v8
	v_mul_lo_u32 v8, v4, v8
	v_mul_hi_u32 v14, v4, v5
	v_mul_lo_u32 v5, v4, v5
	v_add_co_u32 v9, vcc_lo, v9, v10
	v_add_co_ci_u32_e32 v10, vcc_lo, 0, v11, vcc_lo
	s_delay_alu instid0(VALU_DEP_2) | instskip(NEXT) | instid1(VALU_DEP_2)
	v_add_co_u32 v8, vcc_lo, v9, v8
	v_add_co_ci_u32_e32 v8, vcc_lo, v10, v13, vcc_lo
	v_add_co_ci_u32_e32 v9, vcc_lo, 0, v14, vcc_lo
	v_add_co_u32 v10, vcc_lo, v0, v12
	v_add_co_ci_u32_e32 v1, vcc_lo, v1, v12, vcc_lo
	s_delay_alu instid0(VALU_DEP_4) | instskip(NEXT) | instid1(VALU_DEP_4)
	v_add_co_u32 v5, vcc_lo, v8, v5
	v_add_co_ci_u32_e32 v8, vcc_lo, 0, v9, vcc_lo
	s_delay_alu instid0(VALU_DEP_4) | instskip(NEXT) | instid1(VALU_DEP_3)
	v_xor_b32_e32 v13, v10, v12
	v_add_co_u32 v5, vcc_lo, v3, v5
	s_delay_alu instid0(VALU_DEP_3) | instskip(SKIP_1) | instid1(VALU_DEP_3)
	v_add_co_ci_u32_e32 v14, vcc_lo, v4, v8, vcc_lo
	v_xor_b32_e32 v1, v1, v12
	v_mul_hi_u32 v15, v13, v5
	s_delay_alu instid0(VALU_DEP_3) | instskip(NEXT) | instid1(VALU_DEP_3)
	v_mad_u64_u32 v[3:4], null, v13, v14, 0
	v_mad_u64_u32 v[8:9], null, v1, v5, 0
	;; [unrolled: 1-line block ×3, first 2 shown]
	s_delay_alu instid0(VALU_DEP_3) | instskip(NEXT) | instid1(VALU_DEP_4)
	v_add_co_u32 v3, vcc_lo, v15, v3
	v_add_co_ci_u32_e32 v4, vcc_lo, 0, v4, vcc_lo
	s_delay_alu instid0(VALU_DEP_2) | instskip(NEXT) | instid1(VALU_DEP_2)
	v_add_co_u32 v3, vcc_lo, v3, v8
	v_add_co_ci_u32_e32 v3, vcc_lo, v4, v9, vcc_lo
	v_add_co_ci_u32_e32 v4, vcc_lo, 0, v11, vcc_lo
	s_delay_alu instid0(VALU_DEP_2) | instskip(NEXT) | instid1(VALU_DEP_2)
	v_add_co_u32 v5, vcc_lo, v3, v10
	v_add_co_ci_u32_e32 v8, vcc_lo, 0, v4, vcc_lo
	s_delay_alu instid0(VALU_DEP_2) | instskip(SKIP_1) | instid1(VALU_DEP_3)
	v_mul_lo_u32 v9, s19, v5
	v_mad_u64_u32 v[3:4], null, s18, v5, 0
	v_mul_lo_u32 v10, s18, v8
	s_delay_alu instid0(VALU_DEP_2) | instskip(NEXT) | instid1(VALU_DEP_2)
	v_sub_co_u32 v3, vcc_lo, v13, v3
	v_add3_u32 v4, v4, v10, v9
	s_delay_alu instid0(VALU_DEP_1) | instskip(NEXT) | instid1(VALU_DEP_1)
	v_sub_nc_u32_e32 v9, v1, v4
	v_subrev_co_ci_u32_e64 v9, s0, s19, v9, vcc_lo
	v_add_co_u32 v10, s0, v5, 2
	s_delay_alu instid0(VALU_DEP_1) | instskip(SKIP_3) | instid1(VALU_DEP_3)
	v_add_co_ci_u32_e64 v11, s0, 0, v8, s0
	v_sub_co_u32 v13, s0, v3, s18
	v_sub_co_ci_u32_e32 v1, vcc_lo, v1, v4, vcc_lo
	v_subrev_co_ci_u32_e64 v9, s0, 0, v9, s0
	v_cmp_le_u32_e32 vcc_lo, s18, v13
	s_delay_alu instid0(VALU_DEP_3) | instskip(SKIP_1) | instid1(VALU_DEP_4)
	v_cmp_eq_u32_e64 s0, s19, v1
	v_cndmask_b32_e64 v4, 0, -1, vcc_lo
	v_cmp_le_u32_e32 vcc_lo, s19, v9
	v_cndmask_b32_e64 v13, 0, -1, vcc_lo
	v_cmp_le_u32_e32 vcc_lo, s18, v3
	;; [unrolled: 2-line block ×3, first 2 shown]
	v_cndmask_b32_e64 v14, 0, -1, vcc_lo
	v_cmp_eq_u32_e32 vcc_lo, s19, v9
	s_delay_alu instid0(VALU_DEP_2) | instskip(SKIP_3) | instid1(VALU_DEP_3)
	v_cndmask_b32_e64 v1, v14, v3, s0
	v_cndmask_b32_e32 v4, v13, v4, vcc_lo
	v_add_co_u32 v9, vcc_lo, v5, 1
	v_add_co_ci_u32_e32 v13, vcc_lo, 0, v8, vcc_lo
	v_cmp_ne_u32_e32 vcc_lo, 0, v4
	s_delay_alu instid0(VALU_DEP_2) | instskip(NEXT) | instid1(VALU_DEP_4)
	v_cndmask_b32_e32 v3, v13, v11, vcc_lo
	v_cndmask_b32_e32 v4, v9, v10, vcc_lo
	v_cmp_ne_u32_e32 vcc_lo, 0, v1
	v_xor_b32_e32 v1, s16, v12
	s_delay_alu instid0(VALU_DEP_3) | instskip(SKIP_1) | instid1(VALU_DEP_2)
	v_dual_cndmask_b32 v3, v8, v3 :: v_dual_cndmask_b32 v4, v5, v4
	v_xor_b32_e32 v5, s17, v12
	v_xor_b32_e32 v4, v4, v1
	s_delay_alu instid0(VALU_DEP_2) | instskip(NEXT) | instid1(VALU_DEP_2)
	v_xor_b32_e32 v3, v3, v5
	v_sub_co_u32 v8, vcc_lo, v4, v1
	s_delay_alu instid0(VALU_DEP_2)
	v_sub_co_ci_u32_e32 v9, vcc_lo, v3, v5, vcc_lo
.LBB28_9:                               ;   in Loop: Header=BB28_3 Depth=1
	s_and_not1_saveexec_b32 s0, s14
	s_cbranch_execz .LBB28_11
; %bb.10:                               ;   in Loop: Header=BB28_3 Depth=1
	v_cvt_f32_u32_e32 v1, s28
	s_sub_i32 s14, 0, s28
	v_mov_b32_e32 v9, v2
	s_delay_alu instid0(VALU_DEP_2) | instskip(SKIP_2) | instid1(VALU_DEP_1)
	v_rcp_iflag_f32_e32 v1, v1
	s_waitcnt_depctr 0xfff
	v_mul_f32_e32 v1, 0x4f7ffffe, v1
	v_cvt_u32_f32_e32 v1, v1
	s_delay_alu instid0(VALU_DEP_1) | instskip(NEXT) | instid1(VALU_DEP_1)
	v_mul_lo_u32 v3, s14, v1
	v_mul_hi_u32 v3, v1, v3
	s_delay_alu instid0(VALU_DEP_1) | instskip(NEXT) | instid1(VALU_DEP_1)
	v_add_nc_u32_e32 v1, v1, v3
	v_mul_hi_u32 v1, v0, v1
	s_delay_alu instid0(VALU_DEP_1) | instskip(SKIP_1) | instid1(VALU_DEP_2)
	v_mul_lo_u32 v3, v1, s28
	v_add_nc_u32_e32 v4, 1, v1
	v_sub_nc_u32_e32 v3, v0, v3
	s_delay_alu instid0(VALU_DEP_1) | instskip(SKIP_1) | instid1(VALU_DEP_4)
	v_cmp_le_u32_e32 vcc_lo, s28, v3
	v_subrev_nc_u32_e32 v5, s28, v3
	v_cndmask_b32_e32 v1, v1, v4, vcc_lo
	s_delay_alu instid0(VALU_DEP_1) | instskip(NEXT) | instid1(VALU_DEP_3)
	v_add_nc_u32_e32 v4, 1, v1
	v_cndmask_b32_e32 v3, v3, v5, vcc_lo
	s_delay_alu instid0(VALU_DEP_1) | instskip(NEXT) | instid1(VALU_DEP_3)
	v_cmp_le_u32_e32 vcc_lo, s28, v3
	v_cndmask_b32_e32 v8, v1, v4, vcc_lo
.LBB28_11:                              ;   in Loop: Header=BB28_3 Depth=1
	s_or_b32 exec_lo, exec_lo, s0
	v_mad_u64_u32 v[3:4], null, v0, s24, 0
	s_delay_alu instid0(VALU_DEP_2) | instskip(SKIP_1) | instid1(VALU_DEP_2)
	v_mad_u64_u32 v[4:5], null, v8, s28, 0
	s_mov_b32 s39, exec_lo
	v_sub_co_u32 v1, null, v6, v3
	s_delay_alu instid0(VALU_DEP_2) | instskip(NEXT) | instid1(VALU_DEP_1)
	v_sub_co_u32 v3, null, v0, v4
	v_sub_nc_u32_e32 v0, v1, v3
	s_delay_alu instid0(VALU_DEP_1) | instskip(NEXT) | instid1(VALU_DEP_1)
	v_add_nc_u32_e32 v4, 1, v0
	v_ashrrev_i32_e32 v5, 31, v4
	s_delay_alu instid0(VALU_DEP_1)
	v_cmpx_lt_i64_e64 s[4:5], v[4:5]
	s_cbranch_execz .LBB28_2
; %bb.12:                               ;   in Loop: Header=BB28_3 Depth=1
	s_clause 0x1
	s_load_b32 s0, s[8:9], 0x0
	s_load_b32 s14, s[10:11], 0x0
	s_and_not1_b32 vcc_lo, exec_lo, s36
	s_waitcnt lgkmcnt(0)
	v_mul_lo_u32 v10, s0, v1
	s_delay_alu instid0(VALU_DEP_1)
	v_mad_u64_u32 v[4:5], null, s14, v3, v[10:11]
	s_cbranch_vccnz .LBB28_58
; %bb.13:                               ;   in Loop: Header=BB28_3 Depth=1
	s_and_not1_b32 vcc_lo, exec_lo, s34
	s_cbranch_vccnz .LBB28_21
; %bb.14:                               ;   in Loop: Header=BB28_3 Depth=1
	v_dual_mov_b32 v11, v9 :: v_dual_mov_b32 v10, v8
	s_mov_b32 s22, s33
	s_mov_b32 s14, s31
.LBB28_15:                              ;   Parent Loop BB28_3 Depth=1
                                        ; =>  This Inner Loop Header: Depth=2
	s_delay_alu instid0(SALU_CYCLE_1) | instskip(NEXT) | instid1(SALU_CYCLE_1)
	s_lshl_b64 s[16:17], s[14:15], 2
                                        ; implicit-def: $vgpr8_vgpr9
	s_add_u32 s18, s26, s16
	s_addc_u32 s19, s27, s17
	s_load_b32 s23, s[18:19], 0x0
	s_mov_b32 s18, exec_lo
	s_waitcnt lgkmcnt(0)
	s_ashr_i32 s0, s23, 31
	s_delay_alu instid0(SALU_CYCLE_1) | instskip(NEXT) | instid1(VALU_DEP_1)
	v_or_b32_e32 v3, s0, v11
	v_cmpx_ne_u64_e32 0, v[2:3]
	s_xor_b32 s40, exec_lo, s18
	s_cbranch_execz .LBB28_17
; %bb.16:                               ;   in Loop: Header=BB28_15 Depth=2
	s_add_u32 s20, s23, s0
	s_mov_b32 s18, s0
	s_mov_b32 s19, s0
	s_addc_u32 s21, s0, s0
	s_delay_alu instid0(SALU_CYCLE_1) | instskip(NEXT) | instid1(SALU_CYCLE_1)
	s_xor_b64 s[20:21], s[20:21], s[18:19]
	v_cvt_f32_u32_e32 v3, s20
	v_cvt_f32_u32_e32 v5, s21
	s_sub_u32 s0, 0, s20
	s_subb_u32 s41, 0, s21
	s_delay_alu instid0(VALU_DEP_1) | instskip(NEXT) | instid1(VALU_DEP_1)
	v_fmac_f32_e32 v3, 0x4f800000, v5
	v_rcp_f32_e32 v3, v3
	s_waitcnt_depctr 0xfff
	v_mul_f32_e32 v3, 0x5f7ffffc, v3
	s_delay_alu instid0(VALU_DEP_1) | instskip(NEXT) | instid1(VALU_DEP_1)
	v_mul_f32_e32 v5, 0x2f800000, v3
	v_trunc_f32_e32 v5, v5
	s_delay_alu instid0(VALU_DEP_1) | instskip(SKIP_1) | instid1(VALU_DEP_2)
	v_fmac_f32_e32 v3, 0xcf800000, v5
	v_cvt_u32_f32_e32 v5, v5
	v_cvt_u32_f32_e32 v3, v3
	s_delay_alu instid0(VALU_DEP_2) | instskip(NEXT) | instid1(VALU_DEP_2)
	v_mul_lo_u32 v8, s0, v5
	v_mul_hi_u32 v9, s0, v3
	v_mul_lo_u32 v12, s41, v3
	s_delay_alu instid0(VALU_DEP_2) | instskip(SKIP_1) | instid1(VALU_DEP_2)
	v_add_nc_u32_e32 v8, v9, v8
	v_mul_lo_u32 v9, s0, v3
	v_add_nc_u32_e32 v8, v8, v12
	s_delay_alu instid0(VALU_DEP_2) | instskip(NEXT) | instid1(VALU_DEP_2)
	v_mul_hi_u32 v12, v3, v9
	v_mul_lo_u32 v13, v3, v8
	v_mul_hi_u32 v14, v3, v8
	v_mul_hi_u32 v15, v5, v9
	v_mul_lo_u32 v9, v5, v9
	v_mul_hi_u32 v16, v5, v8
	v_mul_lo_u32 v8, v5, v8
	v_add_co_u32 v12, vcc_lo, v12, v13
	v_add_co_ci_u32_e32 v13, vcc_lo, 0, v14, vcc_lo
	s_delay_alu instid0(VALU_DEP_2) | instskip(NEXT) | instid1(VALU_DEP_2)
	v_add_co_u32 v9, vcc_lo, v12, v9
	v_add_co_ci_u32_e32 v9, vcc_lo, v13, v15, vcc_lo
	v_add_co_ci_u32_e32 v12, vcc_lo, 0, v16, vcc_lo
	v_ashrrev_i32_e32 v15, 31, v11
	s_delay_alu instid0(VALU_DEP_3) | instskip(NEXT) | instid1(VALU_DEP_3)
	v_add_co_u32 v8, vcc_lo, v9, v8
	v_add_co_ci_u32_e32 v9, vcc_lo, 0, v12, vcc_lo
	s_delay_alu instid0(VALU_DEP_2) | instskip(NEXT) | instid1(VALU_DEP_2)
	v_add_co_u32 v3, vcc_lo, v3, v8
	v_add_co_ci_u32_e32 v5, vcc_lo, v5, v9, vcc_lo
	s_delay_alu instid0(VALU_DEP_2) | instskip(SKIP_1) | instid1(VALU_DEP_3)
	v_mul_hi_u32 v8, s0, v3
	v_mul_lo_u32 v12, s41, v3
	v_mul_lo_u32 v9, s0, v5
	s_delay_alu instid0(VALU_DEP_1) | instskip(SKIP_1) | instid1(VALU_DEP_2)
	v_add_nc_u32_e32 v8, v8, v9
	v_mul_lo_u32 v9, s0, v3
	v_add_nc_u32_e32 v8, v8, v12
	s_delay_alu instid0(VALU_DEP_2) | instskip(NEXT) | instid1(VALU_DEP_2)
	v_mul_hi_u32 v12, v3, v9
	v_mul_lo_u32 v13, v3, v8
	v_mul_hi_u32 v14, v3, v8
	v_mul_hi_u32 v16, v5, v9
	v_mul_lo_u32 v9, v5, v9
	v_mul_hi_u32 v17, v5, v8
	v_mul_lo_u32 v8, v5, v8
	v_add_co_u32 v12, vcc_lo, v12, v13
	v_add_co_ci_u32_e32 v13, vcc_lo, 0, v14, vcc_lo
	s_delay_alu instid0(VALU_DEP_2) | instskip(NEXT) | instid1(VALU_DEP_2)
	v_add_co_u32 v9, vcc_lo, v12, v9
	v_add_co_ci_u32_e32 v9, vcc_lo, v13, v16, vcc_lo
	v_add_co_ci_u32_e32 v12, vcc_lo, 0, v17, vcc_lo
	v_add_co_u32 v13, vcc_lo, v10, v15
	v_add_co_ci_u32_e32 v11, vcc_lo, v11, v15, vcc_lo
	s_delay_alu instid0(VALU_DEP_4) | instskip(NEXT) | instid1(VALU_DEP_4)
	v_add_co_u32 v8, vcc_lo, v9, v8
	v_add_co_ci_u32_e32 v9, vcc_lo, 0, v12, vcc_lo
	s_delay_alu instid0(VALU_DEP_4) | instskip(NEXT) | instid1(VALU_DEP_3)
	v_xor_b32_e32 v16, v13, v15
	v_add_co_u32 v3, vcc_lo, v3, v8
	s_delay_alu instid0(VALU_DEP_3) | instskip(SKIP_1) | instid1(VALU_DEP_3)
	v_add_co_ci_u32_e32 v5, vcc_lo, v5, v9, vcc_lo
	v_xor_b32_e32 v17, v11, v15
	v_mul_hi_u32 v18, v16, v3
	s_delay_alu instid0(VALU_DEP_3) | instskip(NEXT) | instid1(VALU_DEP_3)
	v_mad_u64_u32 v[8:9], null, v16, v5, 0
	v_mad_u64_u32 v[11:12], null, v17, v3, 0
	;; [unrolled: 1-line block ×3, first 2 shown]
	s_delay_alu instid0(VALU_DEP_3) | instskip(NEXT) | instid1(VALU_DEP_4)
	v_add_co_u32 v3, vcc_lo, v18, v8
	v_add_co_ci_u32_e32 v5, vcc_lo, 0, v9, vcc_lo
	s_delay_alu instid0(VALU_DEP_2) | instskip(NEXT) | instid1(VALU_DEP_2)
	v_add_co_u32 v3, vcc_lo, v3, v11
	v_add_co_ci_u32_e32 v3, vcc_lo, v5, v12, vcc_lo
	v_add_co_ci_u32_e32 v5, vcc_lo, 0, v14, vcc_lo
	s_delay_alu instid0(VALU_DEP_2) | instskip(NEXT) | instid1(VALU_DEP_2)
	v_add_co_u32 v3, vcc_lo, v3, v13
	v_add_co_ci_u32_e32 v5, vcc_lo, 0, v5, vcc_lo
	s_delay_alu instid0(VALU_DEP_2) | instskip(SKIP_1) | instid1(VALU_DEP_3)
	v_mul_lo_u32 v11, s21, v3
	v_mad_u64_u32 v[8:9], null, s20, v3, 0
	v_mul_lo_u32 v12, s20, v5
	s_delay_alu instid0(VALU_DEP_2) | instskip(NEXT) | instid1(VALU_DEP_2)
	v_sub_co_u32 v8, vcc_lo, v16, v8
	v_add3_u32 v9, v9, v12, v11
	s_delay_alu instid0(VALU_DEP_1) | instskip(NEXT) | instid1(VALU_DEP_1)
	v_sub_nc_u32_e32 v11, v17, v9
	v_subrev_co_ci_u32_e64 v11, s0, s21, v11, vcc_lo
	v_add_co_u32 v12, s0, v3, 2
	s_delay_alu instid0(VALU_DEP_1) | instskip(SKIP_3) | instid1(VALU_DEP_3)
	v_add_co_ci_u32_e64 v13, s0, 0, v5, s0
	v_sub_co_u32 v14, s0, v8, s20
	v_sub_co_ci_u32_e32 v9, vcc_lo, v17, v9, vcc_lo
	v_subrev_co_ci_u32_e64 v11, s0, 0, v11, s0
	v_cmp_le_u32_e32 vcc_lo, s20, v14
	s_delay_alu instid0(VALU_DEP_3) | instskip(SKIP_1) | instid1(VALU_DEP_4)
	v_cmp_eq_u32_e64 s0, s21, v9
	v_cndmask_b32_e64 v14, 0, -1, vcc_lo
	v_cmp_le_u32_e32 vcc_lo, s21, v11
	v_cndmask_b32_e64 v16, 0, -1, vcc_lo
	v_cmp_le_u32_e32 vcc_lo, s20, v8
	v_cndmask_b32_e64 v8, 0, -1, vcc_lo
	v_cmp_le_u32_e32 vcc_lo, s21, v9
	v_cndmask_b32_e64 v17, 0, -1, vcc_lo
	v_cmp_eq_u32_e32 vcc_lo, s21, v11
	s_delay_alu instid0(VALU_DEP_2) | instskip(SKIP_3) | instid1(VALU_DEP_3)
	v_cndmask_b32_e64 v8, v17, v8, s0
	v_cndmask_b32_e32 v11, v16, v14, vcc_lo
	v_add_co_u32 v14, vcc_lo, v3, 1
	v_add_co_ci_u32_e32 v16, vcc_lo, 0, v5, vcc_lo
	v_cmp_ne_u32_e32 vcc_lo, 0, v11
	s_delay_alu instid0(VALU_DEP_2) | instskip(NEXT) | instid1(VALU_DEP_4)
	v_cndmask_b32_e32 v9, v16, v13, vcc_lo
	v_cndmask_b32_e32 v11, v14, v12, vcc_lo
	v_cmp_ne_u32_e32 vcc_lo, 0, v8
	v_xor_b32_e32 v8, s18, v15
	s_delay_alu instid0(VALU_DEP_3) | instskip(SKIP_2) | instid1(VALU_DEP_3)
	v_cndmask_b32_e32 v3, v3, v11, vcc_lo
	v_cndmask_b32_e32 v5, v5, v9, vcc_lo
	v_xor_b32_e32 v9, s19, v15
	v_xor_b32_e32 v3, v3, v8
	s_delay_alu instid0(VALU_DEP_2) | instskip(NEXT) | instid1(VALU_DEP_2)
	v_xor_b32_e32 v5, v5, v9
	v_sub_co_u32 v8, vcc_lo, v3, v8
	s_delay_alu instid0(VALU_DEP_2)
	v_sub_co_ci_u32_e32 v9, vcc_lo, v5, v9, vcc_lo
.LBB28_17:                              ;   in Loop: Header=BB28_15 Depth=2
	s_and_not1_saveexec_b32 s0, s40
	s_cbranch_execz .LBB28_19
; %bb.18:                               ;   in Loop: Header=BB28_15 Depth=2
	v_cvt_f32_u32_e32 v3, s23
	s_sub_i32 s18, 0, s23
	s_delay_alu instid0(VALU_DEP_1) | instskip(SKIP_2) | instid1(VALU_DEP_1)
	v_rcp_iflag_f32_e32 v3, v3
	s_waitcnt_depctr 0xfff
	v_mul_f32_e32 v3, 0x4f7ffffe, v3
	v_cvt_u32_f32_e32 v3, v3
	s_delay_alu instid0(VALU_DEP_1) | instskip(NEXT) | instid1(VALU_DEP_1)
	v_mul_lo_u32 v5, s18, v3
	v_mul_hi_u32 v5, v3, v5
	s_delay_alu instid0(VALU_DEP_1) | instskip(NEXT) | instid1(VALU_DEP_1)
	v_add_nc_u32_e32 v3, v3, v5
	v_mul_hi_u32 v3, v10, v3
	s_delay_alu instid0(VALU_DEP_1) | instskip(NEXT) | instid1(VALU_DEP_1)
	v_mul_lo_u32 v5, v3, s23
	v_sub_nc_u32_e32 v5, v10, v5
	s_delay_alu instid0(VALU_DEP_1) | instskip(SKIP_1) | instid1(VALU_DEP_2)
	v_subrev_nc_u32_e32 v9, s23, v5
	v_cmp_le_u32_e32 vcc_lo, s23, v5
	v_dual_cndmask_b32 v5, v5, v9 :: v_dual_add_nc_u32 v8, 1, v3
	s_delay_alu instid0(VALU_DEP_1) | instskip(SKIP_1) | instid1(VALU_DEP_3)
	v_cndmask_b32_e32 v3, v3, v8, vcc_lo
	v_mov_b32_e32 v9, v2
	v_cmp_le_u32_e32 vcc_lo, s23, v5
	s_delay_alu instid0(VALU_DEP_3) | instskip(NEXT) | instid1(VALU_DEP_1)
	v_add_nc_u32_e32 v8, 1, v3
	v_cndmask_b32_e32 v8, v3, v8, vcc_lo
.LBB28_19:                              ;   in Loop: Header=BB28_15 Depth=2
	s_or_b32 exec_lo, exec_lo, s0
	s_add_u32 s16, s30, s16
	s_addc_u32 s17, s1, s17
	s_delay_alu instid0(VALU_DEP_1) | instskip(SKIP_4) | instid1(VALU_DEP_1)
	v_mul_lo_u32 v3, v8, s23
	s_load_b32 s0, s[16:17], 0x0
	s_add_i32 s22, s22, -1
	s_add_i32 s14, s14, -1
	s_cmp_lg_u32 s22, 0
	v_sub_nc_u32_e32 v3, v10, v3
	s_waitcnt lgkmcnt(0)
	s_delay_alu instid0(VALU_DEP_1) | instskip(NEXT) | instid1(VALU_DEP_1)
	v_mad_u64_u32 v[10:11], null, s0, v3, v[4:5]
	v_mov_b32_e32 v4, v10
	s_cbranch_scc0 .LBB28_22
; %bb.20:                               ;   in Loop: Header=BB28_15 Depth=2
	v_dual_mov_b32 v11, v9 :: v_dual_mov_b32 v10, v8
	s_branch .LBB28_15
.LBB28_21:                              ;   in Loop: Header=BB28_3 Depth=1
	s_mov_b32 s14, s31
.LBB28_22:                              ;   in Loop: Header=BB28_3 Depth=1
	s_and_not1_b32 vcc_lo, exec_lo, s35
	s_cbranch_vccnz .LBB28_58
; %bb.23:                               ;   in Loop: Header=BB28_3 Depth=1
	s_add_i32 s16, s14, -7
.LBB28_24:                              ;   Parent Loop BB28_3 Depth=1
                                        ; =>  This Inner Loop Header: Depth=2
	s_delay_alu instid0(SALU_CYCLE_1) | instskip(NEXT) | instid1(SALU_CYCLE_1)
	s_add_i32 s14, s16, 7
                                        ; implicit-def: $vgpr10_vgpr11
	s_lshl_b64 s[18:19], s[14:15], 2
	s_mov_b32 s14, exec_lo
	s_add_u32 s20, s26, s18
	s_addc_u32 s21, s27, s19
	s_load_b32 s40, s[20:21], 0x0
	s_waitcnt lgkmcnt(0)
	s_ashr_i32 s0, s40, 31
	s_delay_alu instid0(SALU_CYCLE_1) | instskip(NEXT) | instid1(VALU_DEP_1)
	v_or_b32_e32 v3, s0, v9
	v_cmpx_ne_u64_e32 0, v[2:3]
	s_xor_b32 s14, exec_lo, s14
	s_cbranch_execz .LBB28_26
; %bb.25:                               ;   in Loop: Header=BB28_24 Depth=2
	s_add_u32 s22, s40, s0
	s_mov_b32 s20, s0
	s_mov_b32 s21, s0
	s_addc_u32 s23, s0, s0
	s_delay_alu instid0(SALU_CYCLE_1) | instskip(NEXT) | instid1(SALU_CYCLE_1)
	s_xor_b64 s[22:23], s[22:23], s[20:21]
	v_cvt_f32_u32_e32 v3, s22
	v_cvt_f32_u32_e32 v5, s23
	s_sub_u32 s0, 0, s22
	s_subb_u32 s17, 0, s23
	s_delay_alu instid0(VALU_DEP_1) | instskip(NEXT) | instid1(VALU_DEP_1)
	v_fmac_f32_e32 v3, 0x4f800000, v5
	v_rcp_f32_e32 v3, v3
	s_waitcnt_depctr 0xfff
	v_mul_f32_e32 v3, 0x5f7ffffc, v3
	s_delay_alu instid0(VALU_DEP_1) | instskip(NEXT) | instid1(VALU_DEP_1)
	v_mul_f32_e32 v5, 0x2f800000, v3
	v_trunc_f32_e32 v5, v5
	s_delay_alu instid0(VALU_DEP_1) | instskip(SKIP_1) | instid1(VALU_DEP_2)
	v_fmac_f32_e32 v3, 0xcf800000, v5
	v_cvt_u32_f32_e32 v5, v5
	v_cvt_u32_f32_e32 v3, v3
	s_delay_alu instid0(VALU_DEP_2) | instskip(NEXT) | instid1(VALU_DEP_2)
	v_mul_lo_u32 v10, s0, v5
	v_mul_hi_u32 v11, s0, v3
	v_mul_lo_u32 v12, s17, v3
	s_delay_alu instid0(VALU_DEP_2) | instskip(SKIP_1) | instid1(VALU_DEP_2)
	v_add_nc_u32_e32 v10, v11, v10
	v_mul_lo_u32 v11, s0, v3
	v_add_nc_u32_e32 v10, v10, v12
	s_delay_alu instid0(VALU_DEP_2) | instskip(NEXT) | instid1(VALU_DEP_2)
	v_mul_hi_u32 v12, v3, v11
	v_mul_lo_u32 v13, v3, v10
	v_mul_hi_u32 v14, v3, v10
	v_mul_hi_u32 v15, v5, v11
	v_mul_lo_u32 v11, v5, v11
	v_mul_hi_u32 v16, v5, v10
	v_mul_lo_u32 v10, v5, v10
	v_add_co_u32 v12, vcc_lo, v12, v13
	v_add_co_ci_u32_e32 v13, vcc_lo, 0, v14, vcc_lo
	s_delay_alu instid0(VALU_DEP_2) | instskip(NEXT) | instid1(VALU_DEP_2)
	v_add_co_u32 v11, vcc_lo, v12, v11
	v_add_co_ci_u32_e32 v11, vcc_lo, v13, v15, vcc_lo
	v_add_co_ci_u32_e32 v12, vcc_lo, 0, v16, vcc_lo
	v_ashrrev_i32_e32 v15, 31, v9
	s_delay_alu instid0(VALU_DEP_3) | instskip(NEXT) | instid1(VALU_DEP_3)
	v_add_co_u32 v10, vcc_lo, v11, v10
	v_add_co_ci_u32_e32 v11, vcc_lo, 0, v12, vcc_lo
	s_delay_alu instid0(VALU_DEP_2) | instskip(NEXT) | instid1(VALU_DEP_2)
	v_add_co_u32 v3, vcc_lo, v3, v10
	v_add_co_ci_u32_e32 v5, vcc_lo, v5, v11, vcc_lo
	s_delay_alu instid0(VALU_DEP_2) | instskip(SKIP_1) | instid1(VALU_DEP_3)
	v_mul_hi_u32 v10, s0, v3
	v_mul_lo_u32 v12, s17, v3
	v_mul_lo_u32 v11, s0, v5
	s_delay_alu instid0(VALU_DEP_1) | instskip(SKIP_1) | instid1(VALU_DEP_2)
	v_add_nc_u32_e32 v10, v10, v11
	v_mul_lo_u32 v11, s0, v3
	v_add_nc_u32_e32 v10, v10, v12
	s_delay_alu instid0(VALU_DEP_2) | instskip(NEXT) | instid1(VALU_DEP_2)
	v_mul_hi_u32 v12, v3, v11
	v_mul_lo_u32 v13, v3, v10
	v_mul_hi_u32 v14, v3, v10
	v_mul_hi_u32 v16, v5, v11
	v_mul_lo_u32 v11, v5, v11
	v_mul_hi_u32 v17, v5, v10
	v_mul_lo_u32 v10, v5, v10
	v_add_co_u32 v12, vcc_lo, v12, v13
	v_add_co_ci_u32_e32 v13, vcc_lo, 0, v14, vcc_lo
	s_delay_alu instid0(VALU_DEP_2) | instskip(NEXT) | instid1(VALU_DEP_2)
	v_add_co_u32 v11, vcc_lo, v12, v11
	v_add_co_ci_u32_e32 v11, vcc_lo, v13, v16, vcc_lo
	v_add_co_ci_u32_e32 v12, vcc_lo, 0, v17, vcc_lo
	v_add_co_u32 v13, vcc_lo, v8, v15
	v_add_co_ci_u32_e32 v9, vcc_lo, v9, v15, vcc_lo
	s_delay_alu instid0(VALU_DEP_4) | instskip(NEXT) | instid1(VALU_DEP_4)
	v_add_co_u32 v10, vcc_lo, v11, v10
	v_add_co_ci_u32_e32 v11, vcc_lo, 0, v12, vcc_lo
	s_delay_alu instid0(VALU_DEP_4) | instskip(NEXT) | instid1(VALU_DEP_3)
	v_xor_b32_e32 v16, v13, v15
	v_add_co_u32 v3, vcc_lo, v3, v10
	s_delay_alu instid0(VALU_DEP_3) | instskip(SKIP_1) | instid1(VALU_DEP_3)
	v_add_co_ci_u32_e32 v5, vcc_lo, v5, v11, vcc_lo
	v_xor_b32_e32 v17, v9, v15
	v_mul_hi_u32 v18, v16, v3
	s_delay_alu instid0(VALU_DEP_3) | instskip(NEXT) | instid1(VALU_DEP_3)
	v_mad_u64_u32 v[9:10], null, v16, v5, 0
	v_mad_u64_u32 v[11:12], null, v17, v3, 0
	;; [unrolled: 1-line block ×3, first 2 shown]
	s_delay_alu instid0(VALU_DEP_3) | instskip(NEXT) | instid1(VALU_DEP_4)
	v_add_co_u32 v3, vcc_lo, v18, v9
	v_add_co_ci_u32_e32 v5, vcc_lo, 0, v10, vcc_lo
	s_delay_alu instid0(VALU_DEP_2) | instskip(NEXT) | instid1(VALU_DEP_2)
	v_add_co_u32 v3, vcc_lo, v3, v11
	v_add_co_ci_u32_e32 v3, vcc_lo, v5, v12, vcc_lo
	v_add_co_ci_u32_e32 v5, vcc_lo, 0, v14, vcc_lo
	s_delay_alu instid0(VALU_DEP_2) | instskip(NEXT) | instid1(VALU_DEP_2)
	v_add_co_u32 v3, vcc_lo, v3, v13
	v_add_co_ci_u32_e32 v5, vcc_lo, 0, v5, vcc_lo
	s_delay_alu instid0(VALU_DEP_2) | instskip(SKIP_1) | instid1(VALU_DEP_3)
	v_mul_lo_u32 v11, s23, v3
	v_mad_u64_u32 v[9:10], null, s22, v3, 0
	v_mul_lo_u32 v12, s22, v5
	s_delay_alu instid0(VALU_DEP_2) | instskip(NEXT) | instid1(VALU_DEP_2)
	v_sub_co_u32 v9, vcc_lo, v16, v9
	v_add3_u32 v10, v10, v12, v11
	s_delay_alu instid0(VALU_DEP_1) | instskip(NEXT) | instid1(VALU_DEP_1)
	v_sub_nc_u32_e32 v11, v17, v10
	v_subrev_co_ci_u32_e64 v11, s0, s23, v11, vcc_lo
	v_add_co_u32 v12, s0, v3, 2
	s_delay_alu instid0(VALU_DEP_1) | instskip(SKIP_3) | instid1(VALU_DEP_3)
	v_add_co_ci_u32_e64 v13, s0, 0, v5, s0
	v_sub_co_u32 v14, s0, v9, s22
	v_sub_co_ci_u32_e32 v10, vcc_lo, v17, v10, vcc_lo
	v_subrev_co_ci_u32_e64 v11, s0, 0, v11, s0
	v_cmp_le_u32_e32 vcc_lo, s22, v14
	s_delay_alu instid0(VALU_DEP_3) | instskip(SKIP_1) | instid1(VALU_DEP_4)
	v_cmp_eq_u32_e64 s0, s23, v10
	v_cndmask_b32_e64 v14, 0, -1, vcc_lo
	v_cmp_le_u32_e32 vcc_lo, s23, v11
	v_cndmask_b32_e64 v16, 0, -1, vcc_lo
	v_cmp_le_u32_e32 vcc_lo, s22, v9
	;; [unrolled: 2-line block ×3, first 2 shown]
	v_cndmask_b32_e64 v17, 0, -1, vcc_lo
	v_cmp_eq_u32_e32 vcc_lo, s23, v11
	s_delay_alu instid0(VALU_DEP_2) | instskip(SKIP_3) | instid1(VALU_DEP_3)
	v_cndmask_b32_e64 v9, v17, v9, s0
	v_cndmask_b32_e32 v11, v16, v14, vcc_lo
	v_add_co_u32 v14, vcc_lo, v3, 1
	v_add_co_ci_u32_e32 v16, vcc_lo, 0, v5, vcc_lo
	v_cmp_ne_u32_e32 vcc_lo, 0, v11
	s_delay_alu instid0(VALU_DEP_2) | instskip(SKIP_2) | instid1(VALU_DEP_3)
	v_dual_cndmask_b32 v10, v16, v13 :: v_dual_cndmask_b32 v11, v14, v12
	v_cmp_ne_u32_e32 vcc_lo, 0, v9
	v_xor_b32_e32 v9, s20, v15
	v_cndmask_b32_e32 v3, v3, v11, vcc_lo
	s_delay_alu instid0(VALU_DEP_4) | instskip(SKIP_1) | instid1(VALU_DEP_3)
	v_cndmask_b32_e32 v5, v5, v10, vcc_lo
	v_xor_b32_e32 v11, s21, v15
	v_xor_b32_e32 v3, v3, v9
	s_delay_alu instid0(VALU_DEP_2) | instskip(NEXT) | instid1(VALU_DEP_2)
	v_xor_b32_e32 v5, v5, v11
	v_sub_co_u32 v10, vcc_lo, v3, v9
	s_delay_alu instid0(VALU_DEP_2)
	v_sub_co_ci_u32_e32 v11, vcc_lo, v5, v11, vcc_lo
.LBB28_26:                              ;   in Loop: Header=BB28_24 Depth=2
	s_and_not1_saveexec_b32 s0, s14
	s_cbranch_execz .LBB28_28
; %bb.27:                               ;   in Loop: Header=BB28_24 Depth=2
	v_cvt_f32_u32_e32 v3, s40
	s_sub_i32 s14, 0, s40
	v_mov_b32_e32 v11, v2
	s_delay_alu instid0(VALU_DEP_2) | instskip(SKIP_2) | instid1(VALU_DEP_1)
	v_rcp_iflag_f32_e32 v3, v3
	s_waitcnt_depctr 0xfff
	v_mul_f32_e32 v3, 0x4f7ffffe, v3
	v_cvt_u32_f32_e32 v3, v3
	s_delay_alu instid0(VALU_DEP_1) | instskip(NEXT) | instid1(VALU_DEP_1)
	v_mul_lo_u32 v5, s14, v3
	v_mul_hi_u32 v5, v3, v5
	s_delay_alu instid0(VALU_DEP_1) | instskip(NEXT) | instid1(VALU_DEP_1)
	v_add_nc_u32_e32 v3, v3, v5
	v_mul_hi_u32 v3, v8, v3
	s_delay_alu instid0(VALU_DEP_1) | instskip(SKIP_1) | instid1(VALU_DEP_2)
	v_mul_lo_u32 v5, v3, s40
	v_add_nc_u32_e32 v9, 1, v3
	v_sub_nc_u32_e32 v5, v8, v5
	s_delay_alu instid0(VALU_DEP_1) | instskip(SKIP_1) | instid1(VALU_DEP_4)
	v_cmp_le_u32_e32 vcc_lo, s40, v5
	v_subrev_nc_u32_e32 v10, s40, v5
	v_cndmask_b32_e32 v3, v3, v9, vcc_lo
	s_delay_alu instid0(VALU_DEP_1) | instskip(NEXT) | instid1(VALU_DEP_3)
	v_add_nc_u32_e32 v9, 1, v3
	v_cndmask_b32_e32 v5, v5, v10, vcc_lo
	s_delay_alu instid0(VALU_DEP_1) | instskip(NEXT) | instid1(VALU_DEP_3)
	v_cmp_le_u32_e32 vcc_lo, s40, v5
	v_cndmask_b32_e32 v10, v3, v9, vcc_lo
.LBB28_28:                              ;   in Loop: Header=BB28_24 Depth=2
	s_or_b32 exec_lo, exec_lo, s0
	s_add_u32 s20, s30, s18
	s_addc_u32 s21, s1, s19
	s_add_i32 s14, s16, 6
                                        ; implicit-def: $vgpr12_vgpr13
	s_delay_alu instid0(SALU_CYCLE_1)
	s_lshl_b64 s[18:19], s[14:15], 2
	s_mov_b32 s14, exec_lo
	s_add_u32 s22, s26, s18
	s_addc_u32 s23, s27, s19
	s_clause 0x1
	s_load_b32 s42, s[22:23], 0x0
	s_load_b32 s41, s[20:21], 0x0
	s_waitcnt lgkmcnt(0)
	s_ashr_i32 s0, s42, 31
	s_delay_alu instid0(SALU_CYCLE_1) | instskip(NEXT) | instid1(VALU_DEP_1)
	v_or_b32_e32 v3, s0, v11
	v_cmpx_ne_u64_e32 0, v[2:3]
	s_xor_b32 s14, exec_lo, s14
	s_cbranch_execz .LBB28_30
; %bb.29:                               ;   in Loop: Header=BB28_24 Depth=2
	s_add_u32 s22, s42, s0
	s_mov_b32 s20, s0
	s_mov_b32 s21, s0
	s_addc_u32 s23, s0, s0
	s_delay_alu instid0(SALU_CYCLE_1) | instskip(NEXT) | instid1(SALU_CYCLE_1)
	s_xor_b64 s[22:23], s[22:23], s[20:21]
	v_cvt_f32_u32_e32 v3, s22
	v_cvt_f32_u32_e32 v5, s23
	s_sub_u32 s0, 0, s22
	s_subb_u32 s17, 0, s23
	s_delay_alu instid0(VALU_DEP_1) | instskip(NEXT) | instid1(VALU_DEP_1)
	v_fmac_f32_e32 v3, 0x4f800000, v5
	v_rcp_f32_e32 v3, v3
	s_waitcnt_depctr 0xfff
	v_mul_f32_e32 v3, 0x5f7ffffc, v3
	s_delay_alu instid0(VALU_DEP_1) | instskip(NEXT) | instid1(VALU_DEP_1)
	v_mul_f32_e32 v5, 0x2f800000, v3
	v_trunc_f32_e32 v5, v5
	s_delay_alu instid0(VALU_DEP_1) | instskip(SKIP_1) | instid1(VALU_DEP_2)
	v_fmac_f32_e32 v3, 0xcf800000, v5
	v_cvt_u32_f32_e32 v5, v5
	v_cvt_u32_f32_e32 v3, v3
	s_delay_alu instid0(VALU_DEP_2) | instskip(NEXT) | instid1(VALU_DEP_2)
	v_mul_lo_u32 v9, s0, v5
	v_mul_hi_u32 v12, s0, v3
	v_mul_lo_u32 v13, s17, v3
	s_delay_alu instid0(VALU_DEP_2) | instskip(SKIP_1) | instid1(VALU_DEP_2)
	v_add_nc_u32_e32 v9, v12, v9
	v_mul_lo_u32 v12, s0, v3
	v_add_nc_u32_e32 v9, v9, v13
	s_delay_alu instid0(VALU_DEP_2) | instskip(NEXT) | instid1(VALU_DEP_2)
	v_mul_hi_u32 v13, v3, v12
	v_mul_lo_u32 v14, v3, v9
	v_mul_hi_u32 v15, v3, v9
	v_mul_hi_u32 v16, v5, v12
	v_mul_lo_u32 v12, v5, v12
	v_mul_hi_u32 v17, v5, v9
	v_mul_lo_u32 v9, v5, v9
	v_add_co_u32 v13, vcc_lo, v13, v14
	v_add_co_ci_u32_e32 v14, vcc_lo, 0, v15, vcc_lo
	s_delay_alu instid0(VALU_DEP_2) | instskip(NEXT) | instid1(VALU_DEP_2)
	v_add_co_u32 v12, vcc_lo, v13, v12
	v_add_co_ci_u32_e32 v12, vcc_lo, v14, v16, vcc_lo
	v_add_co_ci_u32_e32 v13, vcc_lo, 0, v17, vcc_lo
	v_ashrrev_i32_e32 v17, 31, v11
	s_delay_alu instid0(VALU_DEP_3) | instskip(NEXT) | instid1(VALU_DEP_3)
	v_add_co_u32 v9, vcc_lo, v12, v9
	v_add_co_ci_u32_e32 v12, vcc_lo, 0, v13, vcc_lo
	s_delay_alu instid0(VALU_DEP_2) | instskip(NEXT) | instid1(VALU_DEP_2)
	v_add_co_u32 v3, vcc_lo, v3, v9
	v_add_co_ci_u32_e32 v5, vcc_lo, v5, v12, vcc_lo
	s_delay_alu instid0(VALU_DEP_2) | instskip(SKIP_1) | instid1(VALU_DEP_3)
	v_mul_hi_u32 v9, s0, v3
	v_mul_lo_u32 v13, s17, v3
	v_mul_lo_u32 v12, s0, v5
	s_delay_alu instid0(VALU_DEP_1) | instskip(SKIP_1) | instid1(VALU_DEP_2)
	v_add_nc_u32_e32 v9, v9, v12
	v_mul_lo_u32 v12, s0, v3
	v_add_nc_u32_e32 v9, v9, v13
	s_delay_alu instid0(VALU_DEP_2) | instskip(NEXT) | instid1(VALU_DEP_2)
	v_mul_hi_u32 v13, v3, v12
	v_mul_lo_u32 v14, v3, v9
	v_mul_hi_u32 v15, v3, v9
	v_mul_hi_u32 v16, v5, v12
	v_mul_lo_u32 v12, v5, v12
	v_mul_hi_u32 v18, v5, v9
	v_mul_lo_u32 v9, v5, v9
	v_add_co_u32 v13, vcc_lo, v13, v14
	v_add_co_ci_u32_e32 v14, vcc_lo, 0, v15, vcc_lo
	s_delay_alu instid0(VALU_DEP_2) | instskip(NEXT) | instid1(VALU_DEP_2)
	v_add_co_u32 v12, vcc_lo, v13, v12
	v_add_co_ci_u32_e32 v12, vcc_lo, v14, v16, vcc_lo
	v_add_co_ci_u32_e32 v13, vcc_lo, 0, v18, vcc_lo
	v_add_co_u32 v14, vcc_lo, v10, v17
	v_add_co_ci_u32_e32 v11, vcc_lo, v11, v17, vcc_lo
	s_delay_alu instid0(VALU_DEP_4) | instskip(NEXT) | instid1(VALU_DEP_4)
	v_add_co_u32 v9, vcc_lo, v12, v9
	v_add_co_ci_u32_e32 v12, vcc_lo, 0, v13, vcc_lo
	s_delay_alu instid0(VALU_DEP_4) | instskip(NEXT) | instid1(VALU_DEP_3)
	v_xor_b32_e32 v18, v14, v17
	v_add_co_u32 v3, vcc_lo, v3, v9
	s_delay_alu instid0(VALU_DEP_3) | instskip(SKIP_1) | instid1(VALU_DEP_3)
	v_add_co_ci_u32_e32 v5, vcc_lo, v5, v12, vcc_lo
	v_xor_b32_e32 v9, v11, v17
	v_mul_hi_u32 v19, v18, v3
	s_delay_alu instid0(VALU_DEP_3) | instskip(NEXT) | instid1(VALU_DEP_3)
	v_mad_u64_u32 v[11:12], null, v18, v5, 0
	v_mad_u64_u32 v[13:14], null, v9, v3, 0
	;; [unrolled: 1-line block ×3, first 2 shown]
	s_delay_alu instid0(VALU_DEP_3) | instskip(NEXT) | instid1(VALU_DEP_4)
	v_add_co_u32 v3, vcc_lo, v19, v11
	v_add_co_ci_u32_e32 v5, vcc_lo, 0, v12, vcc_lo
	s_delay_alu instid0(VALU_DEP_2) | instskip(NEXT) | instid1(VALU_DEP_2)
	v_add_co_u32 v3, vcc_lo, v3, v13
	v_add_co_ci_u32_e32 v3, vcc_lo, v5, v14, vcc_lo
	v_add_co_ci_u32_e32 v5, vcc_lo, 0, v16, vcc_lo
	s_delay_alu instid0(VALU_DEP_2) | instskip(NEXT) | instid1(VALU_DEP_2)
	v_add_co_u32 v3, vcc_lo, v3, v15
	v_add_co_ci_u32_e32 v5, vcc_lo, 0, v5, vcc_lo
	s_delay_alu instid0(VALU_DEP_2) | instskip(SKIP_1) | instid1(VALU_DEP_3)
	v_mul_lo_u32 v13, s23, v3
	v_mad_u64_u32 v[11:12], null, s22, v3, 0
	v_mul_lo_u32 v14, s22, v5
	s_delay_alu instid0(VALU_DEP_2) | instskip(NEXT) | instid1(VALU_DEP_2)
	v_sub_co_u32 v11, vcc_lo, v18, v11
	v_add3_u32 v12, v12, v14, v13
	s_delay_alu instid0(VALU_DEP_1) | instskip(NEXT) | instid1(VALU_DEP_1)
	v_sub_nc_u32_e32 v13, v9, v12
	v_subrev_co_ci_u32_e64 v13, s0, s23, v13, vcc_lo
	v_add_co_u32 v14, s0, v3, 2
	s_delay_alu instid0(VALU_DEP_1) | instskip(SKIP_3) | instid1(VALU_DEP_3)
	v_add_co_ci_u32_e64 v15, s0, 0, v5, s0
	v_sub_co_u32 v16, s0, v11, s22
	v_sub_co_ci_u32_e32 v9, vcc_lo, v9, v12, vcc_lo
	v_subrev_co_ci_u32_e64 v13, s0, 0, v13, s0
	v_cmp_le_u32_e32 vcc_lo, s22, v16
	s_delay_alu instid0(VALU_DEP_3) | instskip(SKIP_1) | instid1(VALU_DEP_4)
	v_cmp_eq_u32_e64 s0, s23, v9
	v_cndmask_b32_e64 v12, 0, -1, vcc_lo
	v_cmp_le_u32_e32 vcc_lo, s23, v13
	v_cndmask_b32_e64 v16, 0, -1, vcc_lo
	v_cmp_le_u32_e32 vcc_lo, s22, v11
	;; [unrolled: 2-line block ×3, first 2 shown]
	v_cndmask_b32_e64 v18, 0, -1, vcc_lo
	v_cmp_eq_u32_e32 vcc_lo, s23, v13
	s_delay_alu instid0(VALU_DEP_2) | instskip(SKIP_3) | instid1(VALU_DEP_3)
	v_cndmask_b32_e64 v9, v18, v11, s0
	v_cndmask_b32_e32 v12, v16, v12, vcc_lo
	v_add_co_u32 v13, vcc_lo, v3, 1
	v_add_co_ci_u32_e32 v16, vcc_lo, 0, v5, vcc_lo
	v_cmp_ne_u32_e32 vcc_lo, 0, v12
	s_delay_alu instid0(VALU_DEP_2) | instskip(SKIP_2) | instid1(VALU_DEP_3)
	v_dual_cndmask_b32 v12, v13, v14 :: v_dual_cndmask_b32 v11, v16, v15
	v_cmp_ne_u32_e32 vcc_lo, 0, v9
	v_xor_b32_e32 v9, s20, v17
	v_cndmask_b32_e32 v3, v3, v12, vcc_lo
	s_delay_alu instid0(VALU_DEP_4) | instskip(SKIP_1) | instid1(VALU_DEP_3)
	v_cndmask_b32_e32 v5, v5, v11, vcc_lo
	v_xor_b32_e32 v11, s21, v17
	v_xor_b32_e32 v3, v3, v9
	s_delay_alu instid0(VALU_DEP_2) | instskip(NEXT) | instid1(VALU_DEP_2)
	v_xor_b32_e32 v5, v5, v11
	v_sub_co_u32 v12, vcc_lo, v3, v9
	s_delay_alu instid0(VALU_DEP_2)
	v_sub_co_ci_u32_e32 v13, vcc_lo, v5, v11, vcc_lo
.LBB28_30:                              ;   in Loop: Header=BB28_24 Depth=2
	s_and_not1_saveexec_b32 s0, s14
	s_cbranch_execz .LBB28_32
; %bb.31:                               ;   in Loop: Header=BB28_24 Depth=2
	v_cvt_f32_u32_e32 v3, s42
	s_sub_i32 s14, 0, s42
	v_mov_b32_e32 v13, v2
	s_delay_alu instid0(VALU_DEP_2) | instskip(SKIP_2) | instid1(VALU_DEP_1)
	v_rcp_iflag_f32_e32 v3, v3
	s_waitcnt_depctr 0xfff
	v_mul_f32_e32 v3, 0x4f7ffffe, v3
	v_cvt_u32_f32_e32 v3, v3
	s_delay_alu instid0(VALU_DEP_1) | instskip(NEXT) | instid1(VALU_DEP_1)
	v_mul_lo_u32 v5, s14, v3
	v_mul_hi_u32 v5, v3, v5
	s_delay_alu instid0(VALU_DEP_1) | instskip(NEXT) | instid1(VALU_DEP_1)
	v_add_nc_u32_e32 v3, v3, v5
	v_mul_hi_u32 v3, v10, v3
	s_delay_alu instid0(VALU_DEP_1) | instskip(SKIP_1) | instid1(VALU_DEP_2)
	v_mul_lo_u32 v5, v3, s42
	v_add_nc_u32_e32 v9, 1, v3
	v_sub_nc_u32_e32 v5, v10, v5
	s_delay_alu instid0(VALU_DEP_1) | instskip(SKIP_1) | instid1(VALU_DEP_4)
	v_cmp_le_u32_e32 vcc_lo, s42, v5
	v_subrev_nc_u32_e32 v11, s42, v5
	v_cndmask_b32_e32 v3, v3, v9, vcc_lo
	s_delay_alu instid0(VALU_DEP_1) | instskip(NEXT) | instid1(VALU_DEP_3)
	v_add_nc_u32_e32 v9, 1, v3
	v_cndmask_b32_e32 v5, v5, v11, vcc_lo
	s_delay_alu instid0(VALU_DEP_1) | instskip(NEXT) | instid1(VALU_DEP_3)
	v_cmp_le_u32_e32 vcc_lo, s42, v5
	v_cndmask_b32_e32 v12, v3, v9, vcc_lo
.LBB28_32:                              ;   in Loop: Header=BB28_24 Depth=2
	s_or_b32 exec_lo, exec_lo, s0
	s_add_u32 s20, s30, s18
	s_addc_u32 s21, s1, s19
	s_add_i32 s14, s16, 5
                                        ; implicit-def: $vgpr14_vgpr15
	s_delay_alu instid0(SALU_CYCLE_1)
	s_lshl_b64 s[18:19], s[14:15], 2
	s_mov_b32 s14, exec_lo
	s_add_u32 s22, s26, s18
	s_addc_u32 s23, s27, s19
	s_clause 0x1
	s_load_b32 s44, s[22:23], 0x0
	s_load_b32 s43, s[20:21], 0x0
	s_waitcnt lgkmcnt(0)
	s_ashr_i32 s0, s44, 31
	s_delay_alu instid0(SALU_CYCLE_1) | instskip(NEXT) | instid1(VALU_DEP_1)
	v_or_b32_e32 v3, s0, v13
	v_cmpx_ne_u64_e32 0, v[2:3]
	s_xor_b32 s14, exec_lo, s14
	s_cbranch_execz .LBB28_34
; %bb.33:                               ;   in Loop: Header=BB28_24 Depth=2
	s_add_u32 s22, s44, s0
	s_mov_b32 s20, s0
	s_mov_b32 s21, s0
	s_addc_u32 s23, s0, s0
	v_ashrrev_i32_e32 v19, 31, v13
	s_xor_b64 s[22:23], s[22:23], s[20:21]
	s_delay_alu instid0(SALU_CYCLE_1) | instskip(SKIP_3) | instid1(VALU_DEP_1)
	v_cvt_f32_u32_e32 v3, s22
	v_cvt_f32_u32_e32 v5, s23
	s_sub_u32 s0, 0, s22
	s_subb_u32 s17, 0, s23
	v_fmac_f32_e32 v3, 0x4f800000, v5
	s_delay_alu instid0(VALU_DEP_1) | instskip(SKIP_2) | instid1(VALU_DEP_1)
	v_rcp_f32_e32 v3, v3
	s_waitcnt_depctr 0xfff
	v_mul_f32_e32 v3, 0x5f7ffffc, v3
	v_mul_f32_e32 v5, 0x2f800000, v3
	s_delay_alu instid0(VALU_DEP_1) | instskip(NEXT) | instid1(VALU_DEP_1)
	v_trunc_f32_e32 v5, v5
	v_fmac_f32_e32 v3, 0xcf800000, v5
	v_cvt_u32_f32_e32 v5, v5
	s_delay_alu instid0(VALU_DEP_2) | instskip(NEXT) | instid1(VALU_DEP_2)
	v_cvt_u32_f32_e32 v3, v3
	v_mul_lo_u32 v9, s0, v5
	s_delay_alu instid0(VALU_DEP_2) | instskip(SKIP_1) | instid1(VALU_DEP_2)
	v_mul_hi_u32 v11, s0, v3
	v_mul_lo_u32 v14, s17, v3
	v_add_nc_u32_e32 v9, v11, v9
	v_mul_lo_u32 v11, s0, v3
	s_delay_alu instid0(VALU_DEP_2) | instskip(NEXT) | instid1(VALU_DEP_2)
	v_add_nc_u32_e32 v9, v9, v14
	v_mul_hi_u32 v14, v3, v11
	s_delay_alu instid0(VALU_DEP_2)
	v_mul_lo_u32 v15, v3, v9
	v_mul_hi_u32 v16, v3, v9
	v_mul_hi_u32 v17, v5, v11
	v_mul_lo_u32 v11, v5, v11
	v_mul_hi_u32 v18, v5, v9
	v_mul_lo_u32 v9, v5, v9
	v_add_co_u32 v14, vcc_lo, v14, v15
	v_add_co_ci_u32_e32 v15, vcc_lo, 0, v16, vcc_lo
	s_delay_alu instid0(VALU_DEP_2) | instskip(NEXT) | instid1(VALU_DEP_2)
	v_add_co_u32 v11, vcc_lo, v14, v11
	v_add_co_ci_u32_e32 v11, vcc_lo, v15, v17, vcc_lo
	v_add_co_ci_u32_e32 v14, vcc_lo, 0, v18, vcc_lo
	s_delay_alu instid0(VALU_DEP_2) | instskip(NEXT) | instid1(VALU_DEP_2)
	v_add_co_u32 v9, vcc_lo, v11, v9
	v_add_co_ci_u32_e32 v11, vcc_lo, 0, v14, vcc_lo
	s_delay_alu instid0(VALU_DEP_2) | instskip(NEXT) | instid1(VALU_DEP_2)
	v_add_co_u32 v3, vcc_lo, v3, v9
	v_add_co_ci_u32_e32 v5, vcc_lo, v5, v11, vcc_lo
	s_delay_alu instid0(VALU_DEP_2) | instskip(SKIP_1) | instid1(VALU_DEP_3)
	v_mul_hi_u32 v9, s0, v3
	v_mul_lo_u32 v14, s17, v3
	v_mul_lo_u32 v11, s0, v5
	s_delay_alu instid0(VALU_DEP_1) | instskip(SKIP_1) | instid1(VALU_DEP_2)
	v_add_nc_u32_e32 v9, v9, v11
	v_mul_lo_u32 v11, s0, v3
	v_add_nc_u32_e32 v9, v9, v14
	s_delay_alu instid0(VALU_DEP_2) | instskip(NEXT) | instid1(VALU_DEP_2)
	v_mul_hi_u32 v14, v3, v11
	v_mul_lo_u32 v15, v3, v9
	v_mul_hi_u32 v16, v3, v9
	v_mul_hi_u32 v17, v5, v11
	v_mul_lo_u32 v11, v5, v11
	v_mul_hi_u32 v18, v5, v9
	v_mul_lo_u32 v9, v5, v9
	v_add_co_u32 v14, vcc_lo, v14, v15
	v_add_co_ci_u32_e32 v15, vcc_lo, 0, v16, vcc_lo
	s_delay_alu instid0(VALU_DEP_2) | instskip(NEXT) | instid1(VALU_DEP_2)
	v_add_co_u32 v11, vcc_lo, v14, v11
	v_add_co_ci_u32_e32 v11, vcc_lo, v15, v17, vcc_lo
	v_add_co_ci_u32_e32 v14, vcc_lo, 0, v18, vcc_lo
	v_add_co_u32 v15, vcc_lo, v12, v19
	v_add_co_ci_u32_e32 v13, vcc_lo, v13, v19, vcc_lo
	s_delay_alu instid0(VALU_DEP_4) | instskip(NEXT) | instid1(VALU_DEP_4)
	v_add_co_u32 v9, vcc_lo, v11, v9
	v_add_co_ci_u32_e32 v11, vcc_lo, 0, v14, vcc_lo
	s_delay_alu instid0(VALU_DEP_4) | instskip(NEXT) | instid1(VALU_DEP_3)
	v_xor_b32_e32 v20, v15, v19
	v_add_co_u32 v3, vcc_lo, v3, v9
	s_delay_alu instid0(VALU_DEP_3) | instskip(SKIP_1) | instid1(VALU_DEP_3)
	v_add_co_ci_u32_e32 v5, vcc_lo, v5, v11, vcc_lo
	v_xor_b32_e32 v9, v13, v19
	v_mul_hi_u32 v11, v20, v3
	s_delay_alu instid0(VALU_DEP_3) | instskip(NEXT) | instid1(VALU_DEP_3)
	v_mad_u64_u32 v[13:14], null, v20, v5, 0
	v_mad_u64_u32 v[15:16], null, v9, v3, 0
	;; [unrolled: 1-line block ×3, first 2 shown]
	s_delay_alu instid0(VALU_DEP_3) | instskip(NEXT) | instid1(VALU_DEP_4)
	v_add_co_u32 v3, vcc_lo, v11, v13
	v_add_co_ci_u32_e32 v5, vcc_lo, 0, v14, vcc_lo
	s_delay_alu instid0(VALU_DEP_2) | instskip(NEXT) | instid1(VALU_DEP_2)
	v_add_co_u32 v3, vcc_lo, v3, v15
	v_add_co_ci_u32_e32 v3, vcc_lo, v5, v16, vcc_lo
	v_add_co_ci_u32_e32 v5, vcc_lo, 0, v18, vcc_lo
	s_delay_alu instid0(VALU_DEP_2) | instskip(NEXT) | instid1(VALU_DEP_2)
	v_add_co_u32 v3, vcc_lo, v3, v17
	v_add_co_ci_u32_e32 v5, vcc_lo, 0, v5, vcc_lo
	s_delay_alu instid0(VALU_DEP_2) | instskip(SKIP_1) | instid1(VALU_DEP_3)
	v_mul_lo_u32 v11, s23, v3
	v_mad_u64_u32 v[13:14], null, s22, v3, 0
	v_mul_lo_u32 v15, s22, v5
	s_delay_alu instid0(VALU_DEP_2) | instskip(NEXT) | instid1(VALU_DEP_2)
	v_sub_co_u32 v13, vcc_lo, v20, v13
	v_add3_u32 v11, v14, v15, v11
	s_delay_alu instid0(VALU_DEP_1) | instskip(NEXT) | instid1(VALU_DEP_1)
	v_sub_nc_u32_e32 v14, v9, v11
	v_subrev_co_ci_u32_e64 v14, s0, s23, v14, vcc_lo
	v_add_co_u32 v15, s0, v3, 2
	s_delay_alu instid0(VALU_DEP_1) | instskip(SKIP_3) | instid1(VALU_DEP_3)
	v_add_co_ci_u32_e64 v16, s0, 0, v5, s0
	v_sub_co_u32 v17, s0, v13, s22
	v_sub_co_ci_u32_e32 v9, vcc_lo, v9, v11, vcc_lo
	v_subrev_co_ci_u32_e64 v14, s0, 0, v14, s0
	v_cmp_le_u32_e32 vcc_lo, s22, v17
	s_delay_alu instid0(VALU_DEP_3) | instskip(SKIP_1) | instid1(VALU_DEP_4)
	v_cmp_eq_u32_e64 s0, s23, v9
	v_cndmask_b32_e64 v11, 0, -1, vcc_lo
	v_cmp_le_u32_e32 vcc_lo, s23, v14
	v_cndmask_b32_e64 v17, 0, -1, vcc_lo
	v_cmp_le_u32_e32 vcc_lo, s22, v13
	;; [unrolled: 2-line block ×3, first 2 shown]
	v_cndmask_b32_e64 v18, 0, -1, vcc_lo
	v_cmp_eq_u32_e32 vcc_lo, s23, v14
	s_delay_alu instid0(VALU_DEP_2) | instskip(SKIP_3) | instid1(VALU_DEP_3)
	v_cndmask_b32_e64 v9, v18, v13, s0
	v_cndmask_b32_e32 v11, v17, v11, vcc_lo
	v_add_co_u32 v14, vcc_lo, v3, 1
	v_add_co_ci_u32_e32 v17, vcc_lo, 0, v5, vcc_lo
	v_cmp_ne_u32_e32 vcc_lo, 0, v11
	s_delay_alu instid0(VALU_DEP_2) | instskip(NEXT) | instid1(VALU_DEP_4)
	v_cndmask_b32_e32 v11, v17, v16, vcc_lo
	v_cndmask_b32_e32 v13, v14, v15, vcc_lo
	v_cmp_ne_u32_e32 vcc_lo, 0, v9
	v_xor_b32_e32 v9, s20, v19
	s_delay_alu instid0(VALU_DEP_3) | instskip(SKIP_2) | instid1(VALU_DEP_3)
	v_cndmask_b32_e32 v3, v3, v13, vcc_lo
	v_cndmask_b32_e32 v5, v5, v11, vcc_lo
	v_xor_b32_e32 v11, s21, v19
	v_xor_b32_e32 v3, v3, v9
	s_delay_alu instid0(VALU_DEP_2) | instskip(NEXT) | instid1(VALU_DEP_2)
	v_xor_b32_e32 v5, v5, v11
	v_sub_co_u32 v14, vcc_lo, v3, v9
	s_delay_alu instid0(VALU_DEP_2)
	v_sub_co_ci_u32_e32 v15, vcc_lo, v5, v11, vcc_lo
.LBB28_34:                              ;   in Loop: Header=BB28_24 Depth=2
	s_and_not1_saveexec_b32 s0, s14
	s_cbranch_execz .LBB28_36
; %bb.35:                               ;   in Loop: Header=BB28_24 Depth=2
	v_cvt_f32_u32_e32 v3, s44
	s_sub_i32 s14, 0, s44
	v_mov_b32_e32 v15, v2
	s_delay_alu instid0(VALU_DEP_2) | instskip(SKIP_2) | instid1(VALU_DEP_1)
	v_rcp_iflag_f32_e32 v3, v3
	s_waitcnt_depctr 0xfff
	v_mul_f32_e32 v3, 0x4f7ffffe, v3
	v_cvt_u32_f32_e32 v3, v3
	s_delay_alu instid0(VALU_DEP_1) | instskip(NEXT) | instid1(VALU_DEP_1)
	v_mul_lo_u32 v5, s14, v3
	v_mul_hi_u32 v5, v3, v5
	s_delay_alu instid0(VALU_DEP_1) | instskip(NEXT) | instid1(VALU_DEP_1)
	v_add_nc_u32_e32 v3, v3, v5
	v_mul_hi_u32 v3, v12, v3
	s_delay_alu instid0(VALU_DEP_1) | instskip(SKIP_1) | instid1(VALU_DEP_2)
	v_mul_lo_u32 v5, v3, s44
	v_add_nc_u32_e32 v9, 1, v3
	v_sub_nc_u32_e32 v5, v12, v5
	s_delay_alu instid0(VALU_DEP_1) | instskip(SKIP_1) | instid1(VALU_DEP_4)
	v_cmp_le_u32_e32 vcc_lo, s44, v5
	v_subrev_nc_u32_e32 v11, s44, v5
	v_cndmask_b32_e32 v3, v3, v9, vcc_lo
	s_delay_alu instid0(VALU_DEP_1) | instskip(NEXT) | instid1(VALU_DEP_3)
	v_add_nc_u32_e32 v9, 1, v3
	v_cndmask_b32_e32 v5, v5, v11, vcc_lo
	s_delay_alu instid0(VALU_DEP_1) | instskip(NEXT) | instid1(VALU_DEP_3)
	v_cmp_le_u32_e32 vcc_lo, s44, v5
	v_cndmask_b32_e32 v14, v3, v9, vcc_lo
.LBB28_36:                              ;   in Loop: Header=BB28_24 Depth=2
	s_or_b32 exec_lo, exec_lo, s0
	s_add_u32 s20, s30, s18
	s_addc_u32 s21, s1, s19
	s_add_i32 s14, s16, 4
                                        ; implicit-def: $vgpr16_vgpr17
	s_delay_alu instid0(SALU_CYCLE_1)
	s_lshl_b64 s[18:19], s[14:15], 2
	s_mov_b32 s14, exec_lo
	s_add_u32 s22, s26, s18
	s_addc_u32 s23, s27, s19
	s_clause 0x1
	s_load_b32 s46, s[22:23], 0x0
	s_load_b32 s45, s[20:21], 0x0
	s_waitcnt lgkmcnt(0)
	s_ashr_i32 s0, s46, 31
	s_delay_alu instid0(SALU_CYCLE_1) | instskip(NEXT) | instid1(VALU_DEP_1)
	v_or_b32_e32 v3, s0, v15
	v_cmpx_ne_u64_e32 0, v[2:3]
	s_xor_b32 s14, exec_lo, s14
	s_cbranch_execz .LBB28_38
; %bb.37:                               ;   in Loop: Header=BB28_24 Depth=2
	s_add_u32 s22, s46, s0
	s_mov_b32 s20, s0
	s_mov_b32 s21, s0
	s_addc_u32 s23, s0, s0
	v_ashrrev_i32_e32 v21, 31, v15
	s_xor_b64 s[22:23], s[22:23], s[20:21]
	s_delay_alu instid0(SALU_CYCLE_1) | instskip(SKIP_3) | instid1(VALU_DEP_1)
	v_cvt_f32_u32_e32 v3, s22
	v_cvt_f32_u32_e32 v5, s23
	s_sub_u32 s0, 0, s22
	s_subb_u32 s17, 0, s23
	v_fmac_f32_e32 v3, 0x4f800000, v5
	s_delay_alu instid0(VALU_DEP_1) | instskip(SKIP_2) | instid1(VALU_DEP_1)
	v_rcp_f32_e32 v3, v3
	s_waitcnt_depctr 0xfff
	v_mul_f32_e32 v3, 0x5f7ffffc, v3
	v_mul_f32_e32 v5, 0x2f800000, v3
	s_delay_alu instid0(VALU_DEP_1) | instskip(NEXT) | instid1(VALU_DEP_1)
	v_trunc_f32_e32 v5, v5
	v_fmac_f32_e32 v3, 0xcf800000, v5
	v_cvt_u32_f32_e32 v5, v5
	s_delay_alu instid0(VALU_DEP_2) | instskip(NEXT) | instid1(VALU_DEP_2)
	v_cvt_u32_f32_e32 v3, v3
	v_mul_lo_u32 v9, s0, v5
	s_delay_alu instid0(VALU_DEP_2) | instskip(SKIP_1) | instid1(VALU_DEP_2)
	v_mul_hi_u32 v11, s0, v3
	v_mul_lo_u32 v13, s17, v3
	v_add_nc_u32_e32 v9, v11, v9
	v_mul_lo_u32 v11, s0, v3
	s_delay_alu instid0(VALU_DEP_2) | instskip(NEXT) | instid1(VALU_DEP_2)
	v_add_nc_u32_e32 v9, v9, v13
	v_mul_hi_u32 v13, v3, v11
	s_delay_alu instid0(VALU_DEP_2)
	v_mul_lo_u32 v16, v3, v9
	v_mul_hi_u32 v17, v3, v9
	v_mul_hi_u32 v18, v5, v11
	v_mul_lo_u32 v11, v5, v11
	v_mul_hi_u32 v19, v5, v9
	v_mul_lo_u32 v9, v5, v9
	v_add_co_u32 v13, vcc_lo, v13, v16
	v_add_co_ci_u32_e32 v16, vcc_lo, 0, v17, vcc_lo
	s_delay_alu instid0(VALU_DEP_2) | instskip(NEXT) | instid1(VALU_DEP_2)
	v_add_co_u32 v11, vcc_lo, v13, v11
	v_add_co_ci_u32_e32 v11, vcc_lo, v16, v18, vcc_lo
	v_add_co_ci_u32_e32 v13, vcc_lo, 0, v19, vcc_lo
	s_delay_alu instid0(VALU_DEP_2) | instskip(NEXT) | instid1(VALU_DEP_2)
	v_add_co_u32 v9, vcc_lo, v11, v9
	v_add_co_ci_u32_e32 v11, vcc_lo, 0, v13, vcc_lo
	s_delay_alu instid0(VALU_DEP_2) | instskip(NEXT) | instid1(VALU_DEP_2)
	v_add_co_u32 v3, vcc_lo, v3, v9
	v_add_co_ci_u32_e32 v5, vcc_lo, v5, v11, vcc_lo
	s_delay_alu instid0(VALU_DEP_2) | instskip(SKIP_1) | instid1(VALU_DEP_3)
	v_mul_hi_u32 v9, s0, v3
	v_mul_lo_u32 v13, s17, v3
	v_mul_lo_u32 v11, s0, v5
	s_delay_alu instid0(VALU_DEP_1) | instskip(SKIP_1) | instid1(VALU_DEP_2)
	v_add_nc_u32_e32 v9, v9, v11
	v_mul_lo_u32 v11, s0, v3
	v_add_nc_u32_e32 v9, v9, v13
	s_delay_alu instid0(VALU_DEP_2) | instskip(NEXT) | instid1(VALU_DEP_2)
	v_mul_hi_u32 v13, v3, v11
	v_mul_lo_u32 v16, v3, v9
	v_mul_hi_u32 v17, v3, v9
	v_mul_hi_u32 v18, v5, v11
	v_mul_lo_u32 v11, v5, v11
	v_mul_hi_u32 v19, v5, v9
	v_mul_lo_u32 v9, v5, v9
	v_add_co_u32 v13, vcc_lo, v13, v16
	v_add_co_ci_u32_e32 v16, vcc_lo, 0, v17, vcc_lo
	s_delay_alu instid0(VALU_DEP_2) | instskip(NEXT) | instid1(VALU_DEP_2)
	v_add_co_u32 v11, vcc_lo, v13, v11
	v_add_co_ci_u32_e32 v11, vcc_lo, v16, v18, vcc_lo
	v_add_co_ci_u32_e32 v13, vcc_lo, 0, v19, vcc_lo
	v_add_co_u32 v16, vcc_lo, v14, v21
	v_add_co_ci_u32_e32 v15, vcc_lo, v15, v21, vcc_lo
	s_delay_alu instid0(VALU_DEP_4) | instskip(NEXT) | instid1(VALU_DEP_4)
	v_add_co_u32 v9, vcc_lo, v11, v9
	v_add_co_ci_u32_e32 v11, vcc_lo, 0, v13, vcc_lo
	s_delay_alu instid0(VALU_DEP_4) | instskip(NEXT) | instid1(VALU_DEP_3)
	v_xor_b32_e32 v13, v16, v21
	v_add_co_u32 v3, vcc_lo, v3, v9
	s_delay_alu instid0(VALU_DEP_3) | instskip(SKIP_1) | instid1(VALU_DEP_3)
	v_add_co_ci_u32_e32 v5, vcc_lo, v5, v11, vcc_lo
	v_xor_b32_e32 v9, v15, v21
	v_mul_hi_u32 v11, v13, v3
	s_delay_alu instid0(VALU_DEP_3) | instskip(NEXT) | instid1(VALU_DEP_3)
	v_mad_u64_u32 v[15:16], null, v13, v5, 0
	v_mad_u64_u32 v[17:18], null, v9, v3, 0
	;; [unrolled: 1-line block ×3, first 2 shown]
	s_delay_alu instid0(VALU_DEP_3) | instskip(NEXT) | instid1(VALU_DEP_4)
	v_add_co_u32 v3, vcc_lo, v11, v15
	v_add_co_ci_u32_e32 v5, vcc_lo, 0, v16, vcc_lo
	s_delay_alu instid0(VALU_DEP_2) | instskip(NEXT) | instid1(VALU_DEP_2)
	v_add_co_u32 v3, vcc_lo, v3, v17
	v_add_co_ci_u32_e32 v3, vcc_lo, v5, v18, vcc_lo
	v_add_co_ci_u32_e32 v5, vcc_lo, 0, v20, vcc_lo
	s_delay_alu instid0(VALU_DEP_2) | instskip(NEXT) | instid1(VALU_DEP_2)
	v_add_co_u32 v3, vcc_lo, v3, v19
	v_add_co_ci_u32_e32 v5, vcc_lo, 0, v5, vcc_lo
	s_delay_alu instid0(VALU_DEP_2) | instskip(SKIP_1) | instid1(VALU_DEP_3)
	v_mul_lo_u32 v11, s23, v3
	v_mad_u64_u32 v[15:16], null, s22, v3, 0
	v_mul_lo_u32 v17, s22, v5
	s_delay_alu instid0(VALU_DEP_2) | instskip(NEXT) | instid1(VALU_DEP_2)
	v_sub_co_u32 v13, vcc_lo, v13, v15
	v_add3_u32 v11, v16, v17, v11
	s_delay_alu instid0(VALU_DEP_1) | instskip(NEXT) | instid1(VALU_DEP_1)
	v_sub_nc_u32_e32 v16, v9, v11
	v_subrev_co_ci_u32_e64 v15, s0, s23, v16, vcc_lo
	v_add_co_u32 v16, s0, v3, 2
	s_delay_alu instid0(VALU_DEP_1) | instskip(SKIP_3) | instid1(VALU_DEP_3)
	v_add_co_ci_u32_e64 v17, s0, 0, v5, s0
	v_sub_co_u32 v18, s0, v13, s22
	v_sub_co_ci_u32_e32 v9, vcc_lo, v9, v11, vcc_lo
	v_subrev_co_ci_u32_e64 v15, s0, 0, v15, s0
	v_cmp_le_u32_e32 vcc_lo, s22, v18
	s_delay_alu instid0(VALU_DEP_3) | instskip(SKIP_1) | instid1(VALU_DEP_4)
	v_cmp_eq_u32_e64 s0, s23, v9
	v_cndmask_b32_e64 v11, 0, -1, vcc_lo
	v_cmp_le_u32_e32 vcc_lo, s23, v15
	v_cndmask_b32_e64 v18, 0, -1, vcc_lo
	v_cmp_le_u32_e32 vcc_lo, s22, v13
	;; [unrolled: 2-line block ×3, first 2 shown]
	v_cndmask_b32_e64 v19, 0, -1, vcc_lo
	v_cmp_eq_u32_e32 vcc_lo, s23, v15
	s_delay_alu instid0(VALU_DEP_2) | instskip(SKIP_3) | instid1(VALU_DEP_3)
	v_cndmask_b32_e64 v9, v19, v13, s0
	v_cndmask_b32_e32 v11, v18, v11, vcc_lo
	v_add_co_u32 v15, vcc_lo, v3, 1
	v_add_co_ci_u32_e32 v18, vcc_lo, 0, v5, vcc_lo
	v_cmp_ne_u32_e32 vcc_lo, 0, v11
	s_delay_alu instid0(VALU_DEP_2) | instskip(NEXT) | instid1(VALU_DEP_4)
	v_cndmask_b32_e32 v11, v18, v17, vcc_lo
	v_cndmask_b32_e32 v13, v15, v16, vcc_lo
	v_cmp_ne_u32_e32 vcc_lo, 0, v9
	v_xor_b32_e32 v9, s20, v21
	s_delay_alu instid0(VALU_DEP_3) | instskip(SKIP_2) | instid1(VALU_DEP_3)
	v_cndmask_b32_e32 v3, v3, v13, vcc_lo
	v_cndmask_b32_e32 v5, v5, v11, vcc_lo
	v_xor_b32_e32 v11, s21, v21
	v_xor_b32_e32 v3, v3, v9
	s_delay_alu instid0(VALU_DEP_2) | instskip(NEXT) | instid1(VALU_DEP_2)
	v_xor_b32_e32 v5, v5, v11
	v_sub_co_u32 v16, vcc_lo, v3, v9
	s_delay_alu instid0(VALU_DEP_2)
	v_sub_co_ci_u32_e32 v17, vcc_lo, v5, v11, vcc_lo
.LBB28_38:                              ;   in Loop: Header=BB28_24 Depth=2
	s_and_not1_saveexec_b32 s0, s14
	s_cbranch_execz .LBB28_40
; %bb.39:                               ;   in Loop: Header=BB28_24 Depth=2
	v_cvt_f32_u32_e32 v3, s46
	s_sub_i32 s14, 0, s46
	v_mov_b32_e32 v17, v2
	s_delay_alu instid0(VALU_DEP_2) | instskip(SKIP_2) | instid1(VALU_DEP_1)
	v_rcp_iflag_f32_e32 v3, v3
	s_waitcnt_depctr 0xfff
	v_mul_f32_e32 v3, 0x4f7ffffe, v3
	v_cvt_u32_f32_e32 v3, v3
	s_delay_alu instid0(VALU_DEP_1) | instskip(NEXT) | instid1(VALU_DEP_1)
	v_mul_lo_u32 v5, s14, v3
	v_mul_hi_u32 v5, v3, v5
	s_delay_alu instid0(VALU_DEP_1) | instskip(NEXT) | instid1(VALU_DEP_1)
	v_add_nc_u32_e32 v3, v3, v5
	v_mul_hi_u32 v3, v14, v3
	s_delay_alu instid0(VALU_DEP_1) | instskip(SKIP_1) | instid1(VALU_DEP_2)
	v_mul_lo_u32 v5, v3, s46
	v_add_nc_u32_e32 v9, 1, v3
	v_sub_nc_u32_e32 v5, v14, v5
	s_delay_alu instid0(VALU_DEP_1) | instskip(SKIP_1) | instid1(VALU_DEP_4)
	v_cmp_le_u32_e32 vcc_lo, s46, v5
	v_subrev_nc_u32_e32 v11, s46, v5
	v_cndmask_b32_e32 v3, v3, v9, vcc_lo
	s_delay_alu instid0(VALU_DEP_1) | instskip(NEXT) | instid1(VALU_DEP_3)
	v_add_nc_u32_e32 v9, 1, v3
	v_cndmask_b32_e32 v5, v5, v11, vcc_lo
	s_delay_alu instid0(VALU_DEP_1) | instskip(NEXT) | instid1(VALU_DEP_3)
	v_cmp_le_u32_e32 vcc_lo, s46, v5
	v_cndmask_b32_e32 v16, v3, v9, vcc_lo
.LBB28_40:                              ;   in Loop: Header=BB28_24 Depth=2
	s_or_b32 exec_lo, exec_lo, s0
	s_add_u32 s20, s30, s18
	s_addc_u32 s21, s1, s19
	s_add_i32 s14, s16, 3
                                        ; implicit-def: $vgpr18_vgpr19
	s_delay_alu instid0(SALU_CYCLE_1)
	s_lshl_b64 s[18:19], s[14:15], 2
	s_mov_b32 s14, exec_lo
	s_add_u32 s22, s26, s18
	s_addc_u32 s23, s27, s19
	s_clause 0x1
	s_load_b32 s48, s[22:23], 0x0
	s_load_b32 s47, s[20:21], 0x0
	s_waitcnt lgkmcnt(0)
	s_ashr_i32 s0, s48, 31
	s_delay_alu instid0(SALU_CYCLE_1) | instskip(NEXT) | instid1(VALU_DEP_1)
	v_or_b32_e32 v3, s0, v17
	v_cmpx_ne_u64_e32 0, v[2:3]
	s_xor_b32 s14, exec_lo, s14
	s_cbranch_execz .LBB28_42
; %bb.41:                               ;   in Loop: Header=BB28_24 Depth=2
	s_add_u32 s22, s48, s0
	s_mov_b32 s20, s0
	s_mov_b32 s21, s0
	s_addc_u32 s23, s0, s0
	v_ashrrev_i32_e32 v23, 31, v17
	s_xor_b64 s[22:23], s[22:23], s[20:21]
	s_delay_alu instid0(SALU_CYCLE_1) | instskip(SKIP_3) | instid1(VALU_DEP_1)
	v_cvt_f32_u32_e32 v3, s22
	v_cvt_f32_u32_e32 v5, s23
	s_sub_u32 s0, 0, s22
	s_subb_u32 s17, 0, s23
	v_fmac_f32_e32 v3, 0x4f800000, v5
	s_delay_alu instid0(VALU_DEP_1) | instskip(SKIP_2) | instid1(VALU_DEP_1)
	v_rcp_f32_e32 v3, v3
	s_waitcnt_depctr 0xfff
	v_mul_f32_e32 v3, 0x5f7ffffc, v3
	v_mul_f32_e32 v5, 0x2f800000, v3
	s_delay_alu instid0(VALU_DEP_1) | instskip(NEXT) | instid1(VALU_DEP_1)
	v_trunc_f32_e32 v5, v5
	v_fmac_f32_e32 v3, 0xcf800000, v5
	v_cvt_u32_f32_e32 v5, v5
	s_delay_alu instid0(VALU_DEP_2) | instskip(NEXT) | instid1(VALU_DEP_2)
	v_cvt_u32_f32_e32 v3, v3
	v_mul_lo_u32 v9, s0, v5
	s_delay_alu instid0(VALU_DEP_2) | instskip(SKIP_1) | instid1(VALU_DEP_2)
	v_mul_hi_u32 v11, s0, v3
	v_mul_lo_u32 v13, s17, v3
	v_add_nc_u32_e32 v9, v11, v9
	v_mul_lo_u32 v11, s0, v3
	s_delay_alu instid0(VALU_DEP_2) | instskip(NEXT) | instid1(VALU_DEP_2)
	v_add_nc_u32_e32 v9, v9, v13
	v_mul_hi_u32 v13, v3, v11
	s_delay_alu instid0(VALU_DEP_2)
	v_mul_lo_u32 v15, v3, v9
	v_mul_hi_u32 v18, v3, v9
	v_mul_hi_u32 v19, v5, v11
	v_mul_lo_u32 v11, v5, v11
	v_mul_hi_u32 v20, v5, v9
	v_mul_lo_u32 v9, v5, v9
	v_add_co_u32 v13, vcc_lo, v13, v15
	v_add_co_ci_u32_e32 v15, vcc_lo, 0, v18, vcc_lo
	s_delay_alu instid0(VALU_DEP_2) | instskip(NEXT) | instid1(VALU_DEP_2)
	v_add_co_u32 v11, vcc_lo, v13, v11
	v_add_co_ci_u32_e32 v11, vcc_lo, v15, v19, vcc_lo
	v_add_co_ci_u32_e32 v13, vcc_lo, 0, v20, vcc_lo
	s_delay_alu instid0(VALU_DEP_2) | instskip(NEXT) | instid1(VALU_DEP_2)
	v_add_co_u32 v9, vcc_lo, v11, v9
	v_add_co_ci_u32_e32 v11, vcc_lo, 0, v13, vcc_lo
	s_delay_alu instid0(VALU_DEP_2) | instskip(NEXT) | instid1(VALU_DEP_2)
	v_add_co_u32 v3, vcc_lo, v3, v9
	v_add_co_ci_u32_e32 v5, vcc_lo, v5, v11, vcc_lo
	s_delay_alu instid0(VALU_DEP_2) | instskip(SKIP_1) | instid1(VALU_DEP_3)
	v_mul_hi_u32 v9, s0, v3
	v_mul_lo_u32 v13, s17, v3
	v_mul_lo_u32 v11, s0, v5
	s_delay_alu instid0(VALU_DEP_1) | instskip(SKIP_1) | instid1(VALU_DEP_2)
	v_add_nc_u32_e32 v9, v9, v11
	v_mul_lo_u32 v11, s0, v3
	v_add_nc_u32_e32 v9, v9, v13
	s_delay_alu instid0(VALU_DEP_2) | instskip(NEXT) | instid1(VALU_DEP_2)
	v_mul_hi_u32 v13, v3, v11
	v_mul_lo_u32 v15, v3, v9
	v_mul_hi_u32 v18, v3, v9
	v_mul_hi_u32 v19, v5, v11
	v_mul_lo_u32 v11, v5, v11
	v_mul_hi_u32 v20, v5, v9
	v_mul_lo_u32 v9, v5, v9
	v_add_co_u32 v13, vcc_lo, v13, v15
	v_add_co_ci_u32_e32 v15, vcc_lo, 0, v18, vcc_lo
	s_delay_alu instid0(VALU_DEP_2) | instskip(NEXT) | instid1(VALU_DEP_2)
	v_add_co_u32 v11, vcc_lo, v13, v11
	v_add_co_ci_u32_e32 v11, vcc_lo, v15, v19, vcc_lo
	v_add_co_ci_u32_e32 v13, vcc_lo, 0, v20, vcc_lo
	v_add_co_u32 v15, vcc_lo, v16, v23
	v_add_co_ci_u32_e32 v17, vcc_lo, v17, v23, vcc_lo
	s_delay_alu instid0(VALU_DEP_4) | instskip(NEXT) | instid1(VALU_DEP_4)
	v_add_co_u32 v9, vcc_lo, v11, v9
	v_add_co_ci_u32_e32 v11, vcc_lo, 0, v13, vcc_lo
	s_delay_alu instid0(VALU_DEP_4) | instskip(NEXT) | instid1(VALU_DEP_3)
	v_xor_b32_e32 v13, v15, v23
	v_add_co_u32 v3, vcc_lo, v3, v9
	s_delay_alu instid0(VALU_DEP_3) | instskip(SKIP_1) | instid1(VALU_DEP_3)
	v_add_co_ci_u32_e32 v5, vcc_lo, v5, v11, vcc_lo
	v_xor_b32_e32 v9, v17, v23
	v_mul_hi_u32 v11, v13, v3
	s_delay_alu instid0(VALU_DEP_3) | instskip(NEXT) | instid1(VALU_DEP_3)
	v_mad_u64_u32 v[17:18], null, v13, v5, 0
	v_mad_u64_u32 v[19:20], null, v9, v3, 0
	;; [unrolled: 1-line block ×3, first 2 shown]
	s_delay_alu instid0(VALU_DEP_3) | instskip(NEXT) | instid1(VALU_DEP_4)
	v_add_co_u32 v3, vcc_lo, v11, v17
	v_add_co_ci_u32_e32 v5, vcc_lo, 0, v18, vcc_lo
	s_delay_alu instid0(VALU_DEP_2) | instskip(NEXT) | instid1(VALU_DEP_2)
	v_add_co_u32 v3, vcc_lo, v3, v19
	v_add_co_ci_u32_e32 v3, vcc_lo, v5, v20, vcc_lo
	v_add_co_ci_u32_e32 v5, vcc_lo, 0, v22, vcc_lo
	s_delay_alu instid0(VALU_DEP_2) | instskip(NEXT) | instid1(VALU_DEP_2)
	v_add_co_u32 v3, vcc_lo, v3, v21
	v_add_co_ci_u32_e32 v5, vcc_lo, 0, v5, vcc_lo
	s_delay_alu instid0(VALU_DEP_2) | instskip(SKIP_1) | instid1(VALU_DEP_3)
	v_mul_lo_u32 v11, s23, v3
	v_mad_u64_u32 v[17:18], null, s22, v3, 0
	v_mul_lo_u32 v15, s22, v5
	s_delay_alu instid0(VALU_DEP_2) | instskip(NEXT) | instid1(VALU_DEP_2)
	v_sub_co_u32 v13, vcc_lo, v13, v17
	v_add3_u32 v11, v18, v15, v11
	s_delay_alu instid0(VALU_DEP_1) | instskip(NEXT) | instid1(VALU_DEP_1)
	v_sub_nc_u32_e32 v15, v9, v11
	v_subrev_co_ci_u32_e64 v15, s0, s23, v15, vcc_lo
	v_add_co_u32 v17, s0, v3, 2
	s_delay_alu instid0(VALU_DEP_1) | instskip(SKIP_3) | instid1(VALU_DEP_3)
	v_add_co_ci_u32_e64 v18, s0, 0, v5, s0
	v_sub_co_u32 v19, s0, v13, s22
	v_sub_co_ci_u32_e32 v9, vcc_lo, v9, v11, vcc_lo
	v_subrev_co_ci_u32_e64 v15, s0, 0, v15, s0
	v_cmp_le_u32_e32 vcc_lo, s22, v19
	s_delay_alu instid0(VALU_DEP_3) | instskip(SKIP_1) | instid1(VALU_DEP_4)
	v_cmp_eq_u32_e64 s0, s23, v9
	v_cndmask_b32_e64 v11, 0, -1, vcc_lo
	v_cmp_le_u32_e32 vcc_lo, s23, v15
	v_cndmask_b32_e64 v19, 0, -1, vcc_lo
	v_cmp_le_u32_e32 vcc_lo, s22, v13
	;; [unrolled: 2-line block ×3, first 2 shown]
	v_cndmask_b32_e64 v20, 0, -1, vcc_lo
	v_cmp_eq_u32_e32 vcc_lo, s23, v15
	s_delay_alu instid0(VALU_DEP_2) | instskip(SKIP_3) | instid1(VALU_DEP_3)
	v_cndmask_b32_e64 v9, v20, v13, s0
	v_cndmask_b32_e32 v11, v19, v11, vcc_lo
	v_add_co_u32 v15, vcc_lo, v3, 1
	v_add_co_ci_u32_e32 v19, vcc_lo, 0, v5, vcc_lo
	v_cmp_ne_u32_e32 vcc_lo, 0, v11
	s_delay_alu instid0(VALU_DEP_2) | instskip(NEXT) | instid1(VALU_DEP_4)
	v_cndmask_b32_e32 v11, v19, v18, vcc_lo
	v_cndmask_b32_e32 v13, v15, v17, vcc_lo
	v_cmp_ne_u32_e32 vcc_lo, 0, v9
	v_xor_b32_e32 v9, s20, v23
	s_delay_alu instid0(VALU_DEP_3) | instskip(SKIP_2) | instid1(VALU_DEP_3)
	v_cndmask_b32_e32 v3, v3, v13, vcc_lo
	v_cndmask_b32_e32 v5, v5, v11, vcc_lo
	v_xor_b32_e32 v11, s21, v23
	v_xor_b32_e32 v3, v3, v9
	s_delay_alu instid0(VALU_DEP_2) | instskip(NEXT) | instid1(VALU_DEP_2)
	v_xor_b32_e32 v5, v5, v11
	v_sub_co_u32 v18, vcc_lo, v3, v9
	s_delay_alu instid0(VALU_DEP_2)
	v_sub_co_ci_u32_e32 v19, vcc_lo, v5, v11, vcc_lo
.LBB28_42:                              ;   in Loop: Header=BB28_24 Depth=2
	s_and_not1_saveexec_b32 s0, s14
	s_cbranch_execz .LBB28_44
; %bb.43:                               ;   in Loop: Header=BB28_24 Depth=2
	v_cvt_f32_u32_e32 v3, s48
	s_sub_i32 s14, 0, s48
	v_mov_b32_e32 v19, v2
	s_delay_alu instid0(VALU_DEP_2) | instskip(SKIP_2) | instid1(VALU_DEP_1)
	v_rcp_iflag_f32_e32 v3, v3
	s_waitcnt_depctr 0xfff
	v_mul_f32_e32 v3, 0x4f7ffffe, v3
	v_cvt_u32_f32_e32 v3, v3
	s_delay_alu instid0(VALU_DEP_1) | instskip(NEXT) | instid1(VALU_DEP_1)
	v_mul_lo_u32 v5, s14, v3
	v_mul_hi_u32 v5, v3, v5
	s_delay_alu instid0(VALU_DEP_1) | instskip(NEXT) | instid1(VALU_DEP_1)
	v_add_nc_u32_e32 v3, v3, v5
	v_mul_hi_u32 v3, v16, v3
	s_delay_alu instid0(VALU_DEP_1) | instskip(SKIP_1) | instid1(VALU_DEP_2)
	v_mul_lo_u32 v5, v3, s48
	v_add_nc_u32_e32 v9, 1, v3
	v_sub_nc_u32_e32 v5, v16, v5
	s_delay_alu instid0(VALU_DEP_1) | instskip(SKIP_1) | instid1(VALU_DEP_4)
	v_cmp_le_u32_e32 vcc_lo, s48, v5
	v_subrev_nc_u32_e32 v11, s48, v5
	v_cndmask_b32_e32 v3, v3, v9, vcc_lo
	s_delay_alu instid0(VALU_DEP_1) | instskip(NEXT) | instid1(VALU_DEP_3)
	v_add_nc_u32_e32 v9, 1, v3
	v_cndmask_b32_e32 v5, v5, v11, vcc_lo
	s_delay_alu instid0(VALU_DEP_1) | instskip(NEXT) | instid1(VALU_DEP_3)
	v_cmp_le_u32_e32 vcc_lo, s48, v5
	v_cndmask_b32_e32 v18, v3, v9, vcc_lo
.LBB28_44:                              ;   in Loop: Header=BB28_24 Depth=2
	s_or_b32 exec_lo, exec_lo, s0
	s_add_u32 s20, s30, s18
	s_addc_u32 s21, s1, s19
	s_add_i32 s14, s16, 2
                                        ; implicit-def: $vgpr20_vgpr21
	s_delay_alu instid0(SALU_CYCLE_1)
	s_lshl_b64 s[18:19], s[14:15], 2
	s_mov_b32 s14, exec_lo
	s_add_u32 s22, s26, s18
	s_addc_u32 s23, s27, s19
	s_clause 0x1
	s_load_b32 s50, s[22:23], 0x0
	s_load_b32 s49, s[20:21], 0x0
	s_waitcnt lgkmcnt(0)
	s_ashr_i32 s0, s50, 31
	s_delay_alu instid0(SALU_CYCLE_1) | instskip(NEXT) | instid1(VALU_DEP_1)
	v_or_b32_e32 v3, s0, v19
	v_cmpx_ne_u64_e32 0, v[2:3]
	s_xor_b32 s14, exec_lo, s14
	s_cbranch_execz .LBB28_46
; %bb.45:                               ;   in Loop: Header=BB28_24 Depth=2
	s_add_u32 s22, s50, s0
	s_mov_b32 s20, s0
	s_mov_b32 s21, s0
	s_addc_u32 s23, s0, s0
	v_ashrrev_i32_e32 v25, 31, v19
	s_xor_b64 s[22:23], s[22:23], s[20:21]
	s_delay_alu instid0(SALU_CYCLE_1) | instskip(SKIP_3) | instid1(VALU_DEP_1)
	v_cvt_f32_u32_e32 v3, s22
	v_cvt_f32_u32_e32 v5, s23
	s_sub_u32 s0, 0, s22
	s_subb_u32 s17, 0, s23
	v_fmac_f32_e32 v3, 0x4f800000, v5
	s_delay_alu instid0(VALU_DEP_1) | instskip(SKIP_2) | instid1(VALU_DEP_1)
	v_rcp_f32_e32 v3, v3
	s_waitcnt_depctr 0xfff
	v_mul_f32_e32 v3, 0x5f7ffffc, v3
	v_mul_f32_e32 v5, 0x2f800000, v3
	s_delay_alu instid0(VALU_DEP_1) | instskip(NEXT) | instid1(VALU_DEP_1)
	v_trunc_f32_e32 v5, v5
	v_fmac_f32_e32 v3, 0xcf800000, v5
	v_cvt_u32_f32_e32 v5, v5
	s_delay_alu instid0(VALU_DEP_2) | instskip(NEXT) | instid1(VALU_DEP_2)
	v_cvt_u32_f32_e32 v3, v3
	v_mul_lo_u32 v9, s0, v5
	s_delay_alu instid0(VALU_DEP_2) | instskip(SKIP_1) | instid1(VALU_DEP_2)
	v_mul_hi_u32 v11, s0, v3
	v_mul_lo_u32 v13, s17, v3
	v_add_nc_u32_e32 v9, v11, v9
	v_mul_lo_u32 v11, s0, v3
	s_delay_alu instid0(VALU_DEP_2) | instskip(NEXT) | instid1(VALU_DEP_2)
	v_add_nc_u32_e32 v9, v9, v13
	v_mul_hi_u32 v13, v3, v11
	s_delay_alu instid0(VALU_DEP_2)
	v_mul_lo_u32 v15, v3, v9
	v_mul_hi_u32 v17, v3, v9
	v_mul_hi_u32 v20, v5, v11
	v_mul_lo_u32 v11, v5, v11
	v_mul_hi_u32 v21, v5, v9
	v_mul_lo_u32 v9, v5, v9
	v_add_co_u32 v13, vcc_lo, v13, v15
	v_add_co_ci_u32_e32 v15, vcc_lo, 0, v17, vcc_lo
	s_delay_alu instid0(VALU_DEP_2) | instskip(NEXT) | instid1(VALU_DEP_2)
	v_add_co_u32 v11, vcc_lo, v13, v11
	v_add_co_ci_u32_e32 v11, vcc_lo, v15, v20, vcc_lo
	v_add_co_ci_u32_e32 v13, vcc_lo, 0, v21, vcc_lo
	s_delay_alu instid0(VALU_DEP_2) | instskip(NEXT) | instid1(VALU_DEP_2)
	v_add_co_u32 v9, vcc_lo, v11, v9
	v_add_co_ci_u32_e32 v11, vcc_lo, 0, v13, vcc_lo
	s_delay_alu instid0(VALU_DEP_2) | instskip(NEXT) | instid1(VALU_DEP_2)
	v_add_co_u32 v3, vcc_lo, v3, v9
	v_add_co_ci_u32_e32 v5, vcc_lo, v5, v11, vcc_lo
	s_delay_alu instid0(VALU_DEP_2) | instskip(SKIP_1) | instid1(VALU_DEP_3)
	v_mul_hi_u32 v9, s0, v3
	v_mul_lo_u32 v13, s17, v3
	v_mul_lo_u32 v11, s0, v5
	s_delay_alu instid0(VALU_DEP_1) | instskip(SKIP_1) | instid1(VALU_DEP_2)
	v_add_nc_u32_e32 v9, v9, v11
	v_mul_lo_u32 v11, s0, v3
	v_add_nc_u32_e32 v9, v9, v13
	s_delay_alu instid0(VALU_DEP_2) | instskip(NEXT) | instid1(VALU_DEP_2)
	v_mul_hi_u32 v13, v3, v11
	v_mul_lo_u32 v15, v3, v9
	v_mul_hi_u32 v17, v3, v9
	v_mul_hi_u32 v20, v5, v11
	v_mul_lo_u32 v11, v5, v11
	v_mul_hi_u32 v21, v5, v9
	v_mul_lo_u32 v9, v5, v9
	v_add_co_u32 v13, vcc_lo, v13, v15
	v_add_co_ci_u32_e32 v15, vcc_lo, 0, v17, vcc_lo
	s_delay_alu instid0(VALU_DEP_2) | instskip(NEXT) | instid1(VALU_DEP_2)
	v_add_co_u32 v11, vcc_lo, v13, v11
	v_add_co_ci_u32_e32 v11, vcc_lo, v15, v20, vcc_lo
	v_add_co_ci_u32_e32 v13, vcc_lo, 0, v21, vcc_lo
	v_add_co_u32 v15, vcc_lo, v18, v25
	v_add_co_ci_u32_e32 v17, vcc_lo, v19, v25, vcc_lo
	s_delay_alu instid0(VALU_DEP_4) | instskip(NEXT) | instid1(VALU_DEP_4)
	v_add_co_u32 v9, vcc_lo, v11, v9
	v_add_co_ci_u32_e32 v11, vcc_lo, 0, v13, vcc_lo
	s_delay_alu instid0(VALU_DEP_4) | instskip(NEXT) | instid1(VALU_DEP_3)
	v_xor_b32_e32 v13, v15, v25
	v_add_co_u32 v3, vcc_lo, v3, v9
	s_delay_alu instid0(VALU_DEP_3) | instskip(SKIP_1) | instid1(VALU_DEP_3)
	v_add_co_ci_u32_e32 v5, vcc_lo, v5, v11, vcc_lo
	v_xor_b32_e32 v9, v17, v25
	v_mul_hi_u32 v11, v13, v3
	s_delay_alu instid0(VALU_DEP_3) | instskip(NEXT) | instid1(VALU_DEP_3)
	v_mad_u64_u32 v[19:20], null, v13, v5, 0
	v_mad_u64_u32 v[21:22], null, v9, v3, 0
	;; [unrolled: 1-line block ×3, first 2 shown]
	s_delay_alu instid0(VALU_DEP_3) | instskip(NEXT) | instid1(VALU_DEP_4)
	v_add_co_u32 v3, vcc_lo, v11, v19
	v_add_co_ci_u32_e32 v5, vcc_lo, 0, v20, vcc_lo
	s_delay_alu instid0(VALU_DEP_2) | instskip(NEXT) | instid1(VALU_DEP_2)
	v_add_co_u32 v3, vcc_lo, v3, v21
	v_add_co_ci_u32_e32 v3, vcc_lo, v5, v22, vcc_lo
	v_add_co_ci_u32_e32 v5, vcc_lo, 0, v24, vcc_lo
	s_delay_alu instid0(VALU_DEP_2) | instskip(NEXT) | instid1(VALU_DEP_2)
	v_add_co_u32 v3, vcc_lo, v3, v23
	v_add_co_ci_u32_e32 v5, vcc_lo, 0, v5, vcc_lo
	s_delay_alu instid0(VALU_DEP_2) | instskip(SKIP_1) | instid1(VALU_DEP_3)
	v_mul_lo_u32 v11, s23, v3
	v_mad_u64_u32 v[19:20], null, s22, v3, 0
	v_mul_lo_u32 v15, s22, v5
	s_delay_alu instid0(VALU_DEP_2) | instskip(NEXT) | instid1(VALU_DEP_2)
	v_sub_co_u32 v13, vcc_lo, v13, v19
	v_add3_u32 v11, v20, v15, v11
	s_delay_alu instid0(VALU_DEP_1) | instskip(NEXT) | instid1(VALU_DEP_1)
	v_sub_nc_u32_e32 v15, v9, v11
	v_subrev_co_ci_u32_e64 v15, s0, s23, v15, vcc_lo
	v_add_co_u32 v17, s0, v3, 2
	s_delay_alu instid0(VALU_DEP_1) | instskip(SKIP_3) | instid1(VALU_DEP_3)
	v_add_co_ci_u32_e64 v19, s0, 0, v5, s0
	v_sub_co_u32 v20, s0, v13, s22
	v_sub_co_ci_u32_e32 v9, vcc_lo, v9, v11, vcc_lo
	v_subrev_co_ci_u32_e64 v15, s0, 0, v15, s0
	v_cmp_le_u32_e32 vcc_lo, s22, v20
	s_delay_alu instid0(VALU_DEP_3) | instskip(SKIP_1) | instid1(VALU_DEP_4)
	v_cmp_eq_u32_e64 s0, s23, v9
	v_cndmask_b32_e64 v11, 0, -1, vcc_lo
	v_cmp_le_u32_e32 vcc_lo, s23, v15
	v_cndmask_b32_e64 v20, 0, -1, vcc_lo
	v_cmp_le_u32_e32 vcc_lo, s22, v13
	;; [unrolled: 2-line block ×3, first 2 shown]
	v_cndmask_b32_e64 v21, 0, -1, vcc_lo
	v_cmp_eq_u32_e32 vcc_lo, s23, v15
	s_delay_alu instid0(VALU_DEP_2) | instskip(SKIP_3) | instid1(VALU_DEP_3)
	v_cndmask_b32_e64 v9, v21, v13, s0
	v_cndmask_b32_e32 v11, v20, v11, vcc_lo
	v_add_co_u32 v15, vcc_lo, v3, 1
	v_add_co_ci_u32_e32 v20, vcc_lo, 0, v5, vcc_lo
	v_cmp_ne_u32_e32 vcc_lo, 0, v11
	s_delay_alu instid0(VALU_DEP_2) | instskip(NEXT) | instid1(VALU_DEP_4)
	v_cndmask_b32_e32 v11, v20, v19, vcc_lo
	v_cndmask_b32_e32 v13, v15, v17, vcc_lo
	v_cmp_ne_u32_e32 vcc_lo, 0, v9
	v_xor_b32_e32 v9, s20, v25
	s_delay_alu instid0(VALU_DEP_3) | instskip(SKIP_2) | instid1(VALU_DEP_3)
	v_cndmask_b32_e32 v3, v3, v13, vcc_lo
	v_cndmask_b32_e32 v5, v5, v11, vcc_lo
	v_xor_b32_e32 v11, s21, v25
	v_xor_b32_e32 v3, v3, v9
	s_delay_alu instid0(VALU_DEP_2) | instskip(NEXT) | instid1(VALU_DEP_2)
	v_xor_b32_e32 v5, v5, v11
	v_sub_co_u32 v20, vcc_lo, v3, v9
	s_delay_alu instid0(VALU_DEP_2)
	v_sub_co_ci_u32_e32 v21, vcc_lo, v5, v11, vcc_lo
.LBB28_46:                              ;   in Loop: Header=BB28_24 Depth=2
	s_and_not1_saveexec_b32 s0, s14
	s_cbranch_execz .LBB28_48
; %bb.47:                               ;   in Loop: Header=BB28_24 Depth=2
	v_cvt_f32_u32_e32 v3, s50
	s_sub_i32 s14, 0, s50
	v_mov_b32_e32 v21, v2
	s_delay_alu instid0(VALU_DEP_2) | instskip(SKIP_2) | instid1(VALU_DEP_1)
	v_rcp_iflag_f32_e32 v3, v3
	s_waitcnt_depctr 0xfff
	v_mul_f32_e32 v3, 0x4f7ffffe, v3
	v_cvt_u32_f32_e32 v3, v3
	s_delay_alu instid0(VALU_DEP_1) | instskip(NEXT) | instid1(VALU_DEP_1)
	v_mul_lo_u32 v5, s14, v3
	v_mul_hi_u32 v5, v3, v5
	s_delay_alu instid0(VALU_DEP_1) | instskip(NEXT) | instid1(VALU_DEP_1)
	v_add_nc_u32_e32 v3, v3, v5
	v_mul_hi_u32 v3, v18, v3
	s_delay_alu instid0(VALU_DEP_1) | instskip(SKIP_1) | instid1(VALU_DEP_2)
	v_mul_lo_u32 v5, v3, s50
	v_add_nc_u32_e32 v9, 1, v3
	v_sub_nc_u32_e32 v5, v18, v5
	s_delay_alu instid0(VALU_DEP_1) | instskip(SKIP_1) | instid1(VALU_DEP_4)
	v_cmp_le_u32_e32 vcc_lo, s50, v5
	v_subrev_nc_u32_e32 v11, s50, v5
	v_cndmask_b32_e32 v3, v3, v9, vcc_lo
	s_delay_alu instid0(VALU_DEP_1) | instskip(NEXT) | instid1(VALU_DEP_3)
	v_add_nc_u32_e32 v9, 1, v3
	v_cndmask_b32_e32 v5, v5, v11, vcc_lo
	s_delay_alu instid0(VALU_DEP_1) | instskip(NEXT) | instid1(VALU_DEP_3)
	v_cmp_le_u32_e32 vcc_lo, s50, v5
	v_cndmask_b32_e32 v20, v3, v9, vcc_lo
.LBB28_48:                              ;   in Loop: Header=BB28_24 Depth=2
	s_or_b32 exec_lo, exec_lo, s0
	s_add_u32 s20, s30, s18
	s_addc_u32 s21, s1, s19
	s_add_i32 s14, s16, 1
	s_mov_b32 s17, exec_lo
	s_lshl_b64 s[18:19], s[14:15], 2
                                        ; implicit-def: $vgpr22_vgpr23
	s_delay_alu instid0(SALU_CYCLE_1)
	s_add_u32 s22, s26, s18
	s_addc_u32 s23, s27, s19
	s_clause 0x1
	s_load_b32 s51, s[22:23], 0x0
	s_load_b32 s14, s[20:21], 0x0
	s_waitcnt lgkmcnt(0)
	s_ashr_i32 s0, s51, 31
	s_delay_alu instid0(SALU_CYCLE_1) | instskip(NEXT) | instid1(VALU_DEP_1)
	v_or_b32_e32 v3, s0, v21
	v_cmpx_ne_u64_e32 0, v[2:3]
	s_xor_b32 s17, exec_lo, s17
	s_cbranch_execz .LBB28_50
; %bb.49:                               ;   in Loop: Header=BB28_24 Depth=2
	s_add_u32 s22, s51, s0
	s_mov_b32 s20, s0
	s_mov_b32 s21, s0
	s_addc_u32 s23, s0, s0
	s_delay_alu instid0(SALU_CYCLE_1) | instskip(NEXT) | instid1(SALU_CYCLE_1)
	s_xor_b64 s[22:23], s[22:23], s[20:21]
	v_cvt_f32_u32_e32 v3, s22
	v_cvt_f32_u32_e32 v5, s23
	s_sub_u32 s0, 0, s22
	s_subb_u32 s52, 0, s23
	s_delay_alu instid0(VALU_DEP_1) | instskip(NEXT) | instid1(VALU_DEP_1)
	v_fmac_f32_e32 v3, 0x4f800000, v5
	v_rcp_f32_e32 v3, v3
	s_waitcnt_depctr 0xfff
	v_mul_f32_e32 v3, 0x5f7ffffc, v3
	s_delay_alu instid0(VALU_DEP_1) | instskip(NEXT) | instid1(VALU_DEP_1)
	v_mul_f32_e32 v5, 0x2f800000, v3
	v_trunc_f32_e32 v5, v5
	s_delay_alu instid0(VALU_DEP_1) | instskip(SKIP_1) | instid1(VALU_DEP_2)
	v_fmac_f32_e32 v3, 0xcf800000, v5
	v_cvt_u32_f32_e32 v5, v5
	v_cvt_u32_f32_e32 v3, v3
	s_delay_alu instid0(VALU_DEP_2) | instskip(NEXT) | instid1(VALU_DEP_2)
	v_mul_lo_u32 v9, s0, v5
	v_mul_hi_u32 v11, s0, v3
	v_mul_lo_u32 v13, s52, v3
	s_delay_alu instid0(VALU_DEP_2) | instskip(SKIP_1) | instid1(VALU_DEP_2)
	v_add_nc_u32_e32 v9, v11, v9
	v_mul_lo_u32 v11, s0, v3
	v_add_nc_u32_e32 v9, v9, v13
	s_delay_alu instid0(VALU_DEP_2) | instskip(NEXT) | instid1(VALU_DEP_2)
	v_mul_hi_u32 v13, v3, v11
	v_mul_lo_u32 v15, v3, v9
	v_mul_hi_u32 v17, v3, v9
	v_mul_hi_u32 v19, v5, v11
	v_mul_lo_u32 v11, v5, v11
	v_mul_hi_u32 v22, v5, v9
	v_mul_lo_u32 v9, v5, v9
	v_add_co_u32 v13, vcc_lo, v13, v15
	v_add_co_ci_u32_e32 v15, vcc_lo, 0, v17, vcc_lo
	s_delay_alu instid0(VALU_DEP_2) | instskip(NEXT) | instid1(VALU_DEP_2)
	v_add_co_u32 v11, vcc_lo, v13, v11
	v_add_co_ci_u32_e32 v11, vcc_lo, v15, v19, vcc_lo
	v_add_co_ci_u32_e32 v13, vcc_lo, 0, v22, vcc_lo
	v_ashrrev_i32_e32 v19, 31, v21
	s_delay_alu instid0(VALU_DEP_3) | instskip(NEXT) | instid1(VALU_DEP_3)
	v_add_co_u32 v9, vcc_lo, v11, v9
	v_add_co_ci_u32_e32 v11, vcc_lo, 0, v13, vcc_lo
	s_delay_alu instid0(VALU_DEP_2) | instskip(NEXT) | instid1(VALU_DEP_2)
	v_add_co_u32 v3, vcc_lo, v3, v9
	v_add_co_ci_u32_e32 v5, vcc_lo, v5, v11, vcc_lo
	s_delay_alu instid0(VALU_DEP_2) | instskip(SKIP_1) | instid1(VALU_DEP_3)
	v_mul_hi_u32 v9, s0, v3
	v_mul_lo_u32 v13, s52, v3
	v_mul_lo_u32 v11, s0, v5
	s_delay_alu instid0(VALU_DEP_1) | instskip(SKIP_1) | instid1(VALU_DEP_2)
	v_add_nc_u32_e32 v9, v9, v11
	v_mul_lo_u32 v11, s0, v3
	v_add_nc_u32_e32 v9, v9, v13
	s_delay_alu instid0(VALU_DEP_2) | instskip(NEXT) | instid1(VALU_DEP_2)
	v_mul_hi_u32 v13, v3, v11
	v_mul_lo_u32 v15, v3, v9
	v_mul_hi_u32 v17, v3, v9
	v_mul_hi_u32 v22, v5, v11
	v_mul_lo_u32 v11, v5, v11
	v_mul_hi_u32 v23, v5, v9
	v_mul_lo_u32 v9, v5, v9
	v_add_co_u32 v13, vcc_lo, v13, v15
	v_add_co_ci_u32_e32 v15, vcc_lo, 0, v17, vcc_lo
	s_delay_alu instid0(VALU_DEP_2) | instskip(NEXT) | instid1(VALU_DEP_2)
	v_add_co_u32 v11, vcc_lo, v13, v11
	v_add_co_ci_u32_e32 v11, vcc_lo, v15, v22, vcc_lo
	v_add_co_ci_u32_e32 v13, vcc_lo, 0, v23, vcc_lo
	v_add_co_u32 v15, vcc_lo, v20, v19
	v_add_co_ci_u32_e32 v17, vcc_lo, v21, v19, vcc_lo
	s_delay_alu instid0(VALU_DEP_4) | instskip(NEXT) | instid1(VALU_DEP_4)
	v_add_co_u32 v9, vcc_lo, v11, v9
	v_add_co_ci_u32_e32 v11, vcc_lo, 0, v13, vcc_lo
	s_delay_alu instid0(VALU_DEP_4) | instskip(NEXT) | instid1(VALU_DEP_3)
	v_xor_b32_e32 v13, v15, v19
	v_add_co_u32 v3, vcc_lo, v3, v9
	s_delay_alu instid0(VALU_DEP_3) | instskip(SKIP_1) | instid1(VALU_DEP_3)
	v_add_co_ci_u32_e32 v5, vcc_lo, v5, v11, vcc_lo
	v_xor_b32_e32 v9, v17, v19
	v_mul_hi_u32 v11, v13, v3
	s_delay_alu instid0(VALU_DEP_3) | instskip(NEXT) | instid1(VALU_DEP_3)
	v_mad_u64_u32 v[21:22], null, v13, v5, 0
	v_mad_u64_u32 v[23:24], null, v9, v3, 0
	;; [unrolled: 1-line block ×3, first 2 shown]
	s_delay_alu instid0(VALU_DEP_3) | instskip(NEXT) | instid1(VALU_DEP_4)
	v_add_co_u32 v3, vcc_lo, v11, v21
	v_add_co_ci_u32_e32 v5, vcc_lo, 0, v22, vcc_lo
	s_delay_alu instid0(VALU_DEP_2) | instskip(NEXT) | instid1(VALU_DEP_2)
	v_add_co_u32 v3, vcc_lo, v3, v23
	v_add_co_ci_u32_e32 v3, vcc_lo, v5, v24, vcc_lo
	v_add_co_ci_u32_e32 v5, vcc_lo, 0, v28, vcc_lo
	s_delay_alu instid0(VALU_DEP_2) | instskip(NEXT) | instid1(VALU_DEP_2)
	v_add_co_u32 v3, vcc_lo, v3, v27
	v_add_co_ci_u32_e32 v5, vcc_lo, 0, v5, vcc_lo
	s_delay_alu instid0(VALU_DEP_2) | instskip(SKIP_1) | instid1(VALU_DEP_3)
	v_mul_lo_u32 v11, s23, v3
	v_mad_u64_u32 v[21:22], null, s22, v3, 0
	v_mul_lo_u32 v15, s22, v5
	s_delay_alu instid0(VALU_DEP_2) | instskip(NEXT) | instid1(VALU_DEP_2)
	v_sub_co_u32 v13, vcc_lo, v13, v21
	v_add3_u32 v11, v22, v15, v11
	s_delay_alu instid0(VALU_DEP_1) | instskip(NEXT) | instid1(VALU_DEP_1)
	v_sub_nc_u32_e32 v15, v9, v11
	v_subrev_co_ci_u32_e64 v15, s0, s23, v15, vcc_lo
	v_add_co_u32 v17, s0, v3, 2
	s_delay_alu instid0(VALU_DEP_1) | instskip(SKIP_3) | instid1(VALU_DEP_3)
	v_add_co_ci_u32_e64 v21, s0, 0, v5, s0
	v_sub_co_u32 v22, s0, v13, s22
	v_sub_co_ci_u32_e32 v9, vcc_lo, v9, v11, vcc_lo
	v_subrev_co_ci_u32_e64 v15, s0, 0, v15, s0
	v_cmp_le_u32_e32 vcc_lo, s22, v22
	s_delay_alu instid0(VALU_DEP_3) | instskip(SKIP_1) | instid1(VALU_DEP_4)
	v_cmp_eq_u32_e64 s0, s23, v9
	v_cndmask_b32_e64 v11, 0, -1, vcc_lo
	v_cmp_le_u32_e32 vcc_lo, s23, v15
	v_cndmask_b32_e64 v22, 0, -1, vcc_lo
	v_cmp_le_u32_e32 vcc_lo, s22, v13
	;; [unrolled: 2-line block ×3, first 2 shown]
	v_cndmask_b32_e64 v23, 0, -1, vcc_lo
	v_cmp_eq_u32_e32 vcc_lo, s23, v15
	s_delay_alu instid0(VALU_DEP_2) | instskip(SKIP_3) | instid1(VALU_DEP_3)
	v_cndmask_b32_e64 v9, v23, v13, s0
	v_cndmask_b32_e32 v11, v22, v11, vcc_lo
	v_add_co_u32 v15, vcc_lo, v3, 1
	v_add_co_ci_u32_e32 v22, vcc_lo, 0, v5, vcc_lo
	v_cmp_ne_u32_e32 vcc_lo, 0, v11
	s_delay_alu instid0(VALU_DEP_2) | instskip(NEXT) | instid1(VALU_DEP_4)
	v_cndmask_b32_e32 v11, v22, v21, vcc_lo
	v_cndmask_b32_e32 v13, v15, v17, vcc_lo
	v_cmp_ne_u32_e32 vcc_lo, 0, v9
	v_xor_b32_e32 v9, s20, v19
	s_delay_alu instid0(VALU_DEP_3) | instskip(SKIP_2) | instid1(VALU_DEP_3)
	v_cndmask_b32_e32 v3, v3, v13, vcc_lo
	v_cndmask_b32_e32 v5, v5, v11, vcc_lo
	v_xor_b32_e32 v11, s21, v19
	v_xor_b32_e32 v3, v3, v9
	s_delay_alu instid0(VALU_DEP_2) | instskip(NEXT) | instid1(VALU_DEP_2)
	v_xor_b32_e32 v5, v5, v11
	v_sub_co_u32 v22, vcc_lo, v3, v9
	s_delay_alu instid0(VALU_DEP_2)
	v_sub_co_ci_u32_e32 v23, vcc_lo, v5, v11, vcc_lo
.LBB28_50:                              ;   in Loop: Header=BB28_24 Depth=2
	s_and_not1_saveexec_b32 s0, s17
	s_cbranch_execz .LBB28_52
; %bb.51:                               ;   in Loop: Header=BB28_24 Depth=2
	v_cvt_f32_u32_e32 v3, s51
	s_sub_i32 s17, 0, s51
	v_mov_b32_e32 v23, v2
	s_delay_alu instid0(VALU_DEP_2) | instskip(SKIP_2) | instid1(VALU_DEP_1)
	v_rcp_iflag_f32_e32 v3, v3
	s_waitcnt_depctr 0xfff
	v_mul_f32_e32 v3, 0x4f7ffffe, v3
	v_cvt_u32_f32_e32 v3, v3
	s_delay_alu instid0(VALU_DEP_1) | instskip(NEXT) | instid1(VALU_DEP_1)
	v_mul_lo_u32 v5, s17, v3
	v_mul_hi_u32 v5, v3, v5
	s_delay_alu instid0(VALU_DEP_1) | instskip(NEXT) | instid1(VALU_DEP_1)
	v_add_nc_u32_e32 v3, v3, v5
	v_mul_hi_u32 v3, v20, v3
	s_delay_alu instid0(VALU_DEP_1) | instskip(SKIP_1) | instid1(VALU_DEP_2)
	v_mul_lo_u32 v5, v3, s51
	v_add_nc_u32_e32 v9, 1, v3
	v_sub_nc_u32_e32 v5, v20, v5
	s_delay_alu instid0(VALU_DEP_1) | instskip(SKIP_1) | instid1(VALU_DEP_4)
	v_cmp_le_u32_e32 vcc_lo, s51, v5
	v_subrev_nc_u32_e32 v11, s51, v5
	v_cndmask_b32_e32 v3, v3, v9, vcc_lo
	s_delay_alu instid0(VALU_DEP_1) | instskip(NEXT) | instid1(VALU_DEP_3)
	v_add_nc_u32_e32 v9, 1, v3
	v_cndmask_b32_e32 v5, v5, v11, vcc_lo
	s_delay_alu instid0(VALU_DEP_1) | instskip(NEXT) | instid1(VALU_DEP_3)
	v_cmp_le_u32_e32 vcc_lo, s51, v5
	v_cndmask_b32_e32 v22, v3, v9, vcc_lo
.LBB28_52:                              ;   in Loop: Header=BB28_24 Depth=2
	s_or_b32 exec_lo, exec_lo, s0
	s_mov_b32 s17, s15
	s_add_u32 s20, s30, s18
	s_addc_u32 s21, s1, s19
	s_lshl_b64 s[18:19], s[16:17], 2
                                        ; implicit-def: $vgpr24_vgpr25
	s_delay_alu instid0(SALU_CYCLE_1)
	s_add_u32 s22, s26, s18
	s_addc_u32 s23, s27, s19
	s_clause 0x1
	s_load_b32 s52, s[22:23], 0x0
	s_load_b32 s17, s[20:21], 0x0
	s_mov_b32 s20, exec_lo
	s_waitcnt lgkmcnt(0)
	s_ashr_i32 s0, s52, 31
	s_delay_alu instid0(SALU_CYCLE_1) | instskip(NEXT) | instid1(VALU_DEP_1)
	v_or_b32_e32 v3, s0, v23
	v_cmpx_ne_u64_e32 0, v[2:3]
	s_xor_b32 s53, exec_lo, s20
	s_cbranch_execz .LBB28_54
; %bb.53:                               ;   in Loop: Header=BB28_24 Depth=2
	s_add_u32 s22, s52, s0
	s_mov_b32 s20, s0
	s_mov_b32 s21, s0
	s_addc_u32 s23, s0, s0
	s_delay_alu instid0(SALU_CYCLE_1) | instskip(NEXT) | instid1(SALU_CYCLE_1)
	s_xor_b64 s[22:23], s[22:23], s[20:21]
	v_cvt_f32_u32_e32 v3, s22
	v_cvt_f32_u32_e32 v5, s23
	s_sub_u32 s0, 0, s22
	s_subb_u32 s54, 0, s23
	s_delay_alu instid0(VALU_DEP_1) | instskip(NEXT) | instid1(VALU_DEP_1)
	v_fmac_f32_e32 v3, 0x4f800000, v5
	v_rcp_f32_e32 v3, v3
	s_waitcnt_depctr 0xfff
	v_mul_f32_e32 v3, 0x5f7ffffc, v3
	s_delay_alu instid0(VALU_DEP_1) | instskip(NEXT) | instid1(VALU_DEP_1)
	v_mul_f32_e32 v5, 0x2f800000, v3
	v_trunc_f32_e32 v5, v5
	s_delay_alu instid0(VALU_DEP_1) | instskip(SKIP_1) | instid1(VALU_DEP_2)
	v_fmac_f32_e32 v3, 0xcf800000, v5
	v_cvt_u32_f32_e32 v5, v5
	v_cvt_u32_f32_e32 v3, v3
	s_delay_alu instid0(VALU_DEP_2) | instskip(NEXT) | instid1(VALU_DEP_2)
	v_mul_lo_u32 v9, s0, v5
	v_mul_hi_u32 v11, s0, v3
	v_mul_lo_u32 v13, s54, v3
	s_delay_alu instid0(VALU_DEP_2) | instskip(SKIP_1) | instid1(VALU_DEP_2)
	v_add_nc_u32_e32 v9, v11, v9
	v_mul_lo_u32 v11, s0, v3
	v_add_nc_u32_e32 v9, v9, v13
	s_delay_alu instid0(VALU_DEP_2) | instskip(NEXT) | instid1(VALU_DEP_2)
	v_mul_hi_u32 v13, v3, v11
	v_mul_lo_u32 v15, v3, v9
	v_mul_hi_u32 v17, v3, v9
	v_mul_hi_u32 v19, v5, v11
	v_mul_lo_u32 v11, v5, v11
	v_mul_hi_u32 v21, v5, v9
	v_mul_lo_u32 v9, v5, v9
	v_add_co_u32 v13, vcc_lo, v13, v15
	v_add_co_ci_u32_e32 v15, vcc_lo, 0, v17, vcc_lo
	s_delay_alu instid0(VALU_DEP_2) | instskip(NEXT) | instid1(VALU_DEP_2)
	v_add_co_u32 v11, vcc_lo, v13, v11
	v_add_co_ci_u32_e32 v11, vcc_lo, v15, v19, vcc_lo
	v_add_co_ci_u32_e32 v13, vcc_lo, 0, v21, vcc_lo
	v_ashrrev_i32_e32 v19, 31, v23
	s_delay_alu instid0(VALU_DEP_3) | instskip(NEXT) | instid1(VALU_DEP_3)
	v_add_co_u32 v9, vcc_lo, v11, v9
	v_add_co_ci_u32_e32 v11, vcc_lo, 0, v13, vcc_lo
	s_delay_alu instid0(VALU_DEP_2) | instskip(NEXT) | instid1(VALU_DEP_2)
	v_add_co_u32 v3, vcc_lo, v3, v9
	v_add_co_ci_u32_e32 v5, vcc_lo, v5, v11, vcc_lo
	s_delay_alu instid0(VALU_DEP_2) | instskip(SKIP_1) | instid1(VALU_DEP_3)
	v_mul_hi_u32 v9, s0, v3
	v_mul_lo_u32 v13, s54, v3
	v_mul_lo_u32 v11, s0, v5
	s_delay_alu instid0(VALU_DEP_1) | instskip(SKIP_1) | instid1(VALU_DEP_2)
	v_add_nc_u32_e32 v9, v9, v11
	v_mul_lo_u32 v11, s0, v3
	v_add_nc_u32_e32 v9, v9, v13
	s_delay_alu instid0(VALU_DEP_2) | instskip(NEXT) | instid1(VALU_DEP_2)
	v_mul_hi_u32 v13, v3, v11
	v_mul_lo_u32 v15, v3, v9
	v_mul_hi_u32 v17, v3, v9
	v_mul_hi_u32 v21, v5, v11
	v_mul_lo_u32 v11, v5, v11
	v_mul_hi_u32 v24, v5, v9
	v_mul_lo_u32 v9, v5, v9
	v_add_co_u32 v13, vcc_lo, v13, v15
	v_add_co_ci_u32_e32 v15, vcc_lo, 0, v17, vcc_lo
	s_delay_alu instid0(VALU_DEP_2) | instskip(NEXT) | instid1(VALU_DEP_2)
	v_add_co_u32 v11, vcc_lo, v13, v11
	v_add_co_ci_u32_e32 v11, vcc_lo, v15, v21, vcc_lo
	v_add_co_ci_u32_e32 v13, vcc_lo, 0, v24, vcc_lo
	v_add_co_u32 v15, vcc_lo, v22, v19
	v_add_co_ci_u32_e32 v17, vcc_lo, v23, v19, vcc_lo
	s_delay_alu instid0(VALU_DEP_4) | instskip(NEXT) | instid1(VALU_DEP_4)
	v_add_co_u32 v9, vcc_lo, v11, v9
	v_add_co_ci_u32_e32 v11, vcc_lo, 0, v13, vcc_lo
	s_delay_alu instid0(VALU_DEP_4) | instskip(NEXT) | instid1(VALU_DEP_3)
	v_xor_b32_e32 v13, v15, v19
	v_add_co_u32 v3, vcc_lo, v3, v9
	s_delay_alu instid0(VALU_DEP_3) | instskip(SKIP_1) | instid1(VALU_DEP_3)
	v_add_co_ci_u32_e32 v5, vcc_lo, v5, v11, vcc_lo
	v_xor_b32_e32 v9, v17, v19
	v_mul_hi_u32 v11, v13, v3
	s_delay_alu instid0(VALU_DEP_3) | instskip(NEXT) | instid1(VALU_DEP_3)
	v_mad_u64_u32 v[23:24], null, v13, v5, 0
	v_mad_u64_u32 v[27:28], null, v9, v3, 0
	;; [unrolled: 1-line block ×3, first 2 shown]
	s_delay_alu instid0(VALU_DEP_3) | instskip(NEXT) | instid1(VALU_DEP_4)
	v_add_co_u32 v3, vcc_lo, v11, v23
	v_add_co_ci_u32_e32 v5, vcc_lo, 0, v24, vcc_lo
	s_delay_alu instid0(VALU_DEP_2) | instskip(NEXT) | instid1(VALU_DEP_2)
	v_add_co_u32 v3, vcc_lo, v3, v27
	v_add_co_ci_u32_e32 v3, vcc_lo, v5, v28, vcc_lo
	v_add_co_ci_u32_e32 v5, vcc_lo, 0, v30, vcc_lo
	s_delay_alu instid0(VALU_DEP_2) | instskip(NEXT) | instid1(VALU_DEP_2)
	v_add_co_u32 v3, vcc_lo, v3, v29
	v_add_co_ci_u32_e32 v5, vcc_lo, 0, v5, vcc_lo
	s_delay_alu instid0(VALU_DEP_2) | instskip(SKIP_1) | instid1(VALU_DEP_3)
	v_mul_lo_u32 v11, s23, v3
	v_mad_u64_u32 v[23:24], null, s22, v3, 0
	v_mul_lo_u32 v15, s22, v5
	s_delay_alu instid0(VALU_DEP_2) | instskip(NEXT) | instid1(VALU_DEP_2)
	v_sub_co_u32 v13, vcc_lo, v13, v23
	v_add3_u32 v11, v24, v15, v11
	s_delay_alu instid0(VALU_DEP_1) | instskip(NEXT) | instid1(VALU_DEP_1)
	v_sub_nc_u32_e32 v15, v9, v11
	v_subrev_co_ci_u32_e64 v15, s0, s23, v15, vcc_lo
	v_add_co_u32 v17, s0, v3, 2
	s_delay_alu instid0(VALU_DEP_1) | instskip(SKIP_3) | instid1(VALU_DEP_3)
	v_add_co_ci_u32_e64 v21, s0, 0, v5, s0
	v_sub_co_u32 v23, s0, v13, s22
	v_sub_co_ci_u32_e32 v9, vcc_lo, v9, v11, vcc_lo
	v_subrev_co_ci_u32_e64 v15, s0, 0, v15, s0
	v_cmp_le_u32_e32 vcc_lo, s22, v23
	s_delay_alu instid0(VALU_DEP_3) | instskip(SKIP_1) | instid1(VALU_DEP_4)
	v_cmp_eq_u32_e64 s0, s23, v9
	v_cndmask_b32_e64 v11, 0, -1, vcc_lo
	v_cmp_le_u32_e32 vcc_lo, s23, v15
	v_cndmask_b32_e64 v23, 0, -1, vcc_lo
	v_cmp_le_u32_e32 vcc_lo, s22, v13
	;; [unrolled: 2-line block ×3, first 2 shown]
	v_cndmask_b32_e64 v24, 0, -1, vcc_lo
	v_cmp_eq_u32_e32 vcc_lo, s23, v15
	s_delay_alu instid0(VALU_DEP_2) | instskip(SKIP_3) | instid1(VALU_DEP_3)
	v_cndmask_b32_e64 v9, v24, v13, s0
	v_cndmask_b32_e32 v11, v23, v11, vcc_lo
	v_add_co_u32 v15, vcc_lo, v3, 1
	v_add_co_ci_u32_e32 v23, vcc_lo, 0, v5, vcc_lo
	v_cmp_ne_u32_e32 vcc_lo, 0, v11
	s_delay_alu instid0(VALU_DEP_2) | instskip(NEXT) | instid1(VALU_DEP_4)
	v_cndmask_b32_e32 v11, v23, v21, vcc_lo
	v_cndmask_b32_e32 v13, v15, v17, vcc_lo
	v_cmp_ne_u32_e32 vcc_lo, 0, v9
	v_xor_b32_e32 v9, s20, v19
	s_delay_alu instid0(VALU_DEP_3) | instskip(SKIP_2) | instid1(VALU_DEP_3)
	v_cndmask_b32_e32 v3, v3, v13, vcc_lo
	v_cndmask_b32_e32 v5, v5, v11, vcc_lo
	v_xor_b32_e32 v11, s21, v19
	v_xor_b32_e32 v3, v3, v9
	s_delay_alu instid0(VALU_DEP_2) | instskip(NEXT) | instid1(VALU_DEP_2)
	v_xor_b32_e32 v5, v5, v11
	v_sub_co_u32 v24, vcc_lo, v3, v9
	s_delay_alu instid0(VALU_DEP_2)
	v_sub_co_ci_u32_e32 v25, vcc_lo, v5, v11, vcc_lo
.LBB28_54:                              ;   in Loop: Header=BB28_24 Depth=2
	s_and_not1_saveexec_b32 s0, s53
	s_cbranch_execz .LBB28_56
; %bb.55:                               ;   in Loop: Header=BB28_24 Depth=2
	v_cvt_f32_u32_e32 v3, s52
	s_sub_i32 s20, 0, s52
	v_mov_b32_e32 v25, v2
	s_delay_alu instid0(VALU_DEP_2) | instskip(SKIP_2) | instid1(VALU_DEP_1)
	v_rcp_iflag_f32_e32 v3, v3
	s_waitcnt_depctr 0xfff
	v_mul_f32_e32 v3, 0x4f7ffffe, v3
	v_cvt_u32_f32_e32 v3, v3
	s_delay_alu instid0(VALU_DEP_1) | instskip(NEXT) | instid1(VALU_DEP_1)
	v_mul_lo_u32 v5, s20, v3
	v_mul_hi_u32 v5, v3, v5
	s_delay_alu instid0(VALU_DEP_1) | instskip(NEXT) | instid1(VALU_DEP_1)
	v_add_nc_u32_e32 v3, v3, v5
	v_mul_hi_u32 v3, v22, v3
	s_delay_alu instid0(VALU_DEP_1) | instskip(SKIP_1) | instid1(VALU_DEP_2)
	v_mul_lo_u32 v5, v3, s52
	v_add_nc_u32_e32 v9, 1, v3
	v_sub_nc_u32_e32 v5, v22, v5
	s_delay_alu instid0(VALU_DEP_1) | instskip(SKIP_1) | instid1(VALU_DEP_4)
	v_cmp_le_u32_e32 vcc_lo, s52, v5
	v_subrev_nc_u32_e32 v11, s52, v5
	v_cndmask_b32_e32 v3, v3, v9, vcc_lo
	s_delay_alu instid0(VALU_DEP_1) | instskip(NEXT) | instid1(VALU_DEP_3)
	v_add_nc_u32_e32 v9, 1, v3
	v_cndmask_b32_e32 v5, v5, v11, vcc_lo
	s_delay_alu instid0(VALU_DEP_1) | instskip(NEXT) | instid1(VALU_DEP_3)
	v_cmp_le_u32_e32 vcc_lo, s52, v5
	v_cndmask_b32_e32 v24, v3, v9, vcc_lo
.LBB28_56:                              ;   in Loop: Header=BB28_24 Depth=2
	s_or_b32 exec_lo, exec_lo, s0
	v_mul_lo_u32 v3, v10, s40
	v_mul_lo_u32 v5, v12, s42
	;; [unrolled: 1-line block ×4, first 2 shown]
	s_add_u32 s18, s30, s18
	s_addc_u32 s19, s1, s19
	v_mul_lo_u32 v13, v18, s48
	s_load_b32 s0, s[18:19], 0x0
	v_sub_nc_u32_e32 v3, v8, v3
	v_sub_nc_u32_e32 v5, v10, v5
	v_mul_lo_u32 v8, v20, s50
	v_sub_nc_u32_e32 v9, v12, v9
	v_sub_nc_u32_e32 v11, v14, v11
	v_mul_lo_u32 v3, s41, v3
	v_mul_lo_u32 v5, s43, v5
	;; [unrolled: 1-line block ×4, first 2 shown]
	v_sub_nc_u32_e32 v13, v16, v13
	v_sub_nc_u32_e32 v8, v18, v8
	v_mul_lo_u32 v9, s45, v9
	v_mul_lo_u32 v11, s47, v11
	s_add_i32 s16, s16, -8
	v_add3_u32 v3, v3, v4, v5
	v_mul_lo_u32 v4, s49, v13
	v_sub_nc_u32_e32 v5, v20, v10
	v_sub_nc_u32_e32 v10, v22, v12
	v_mul_lo_u32 v8, s14, v8
	s_cmp_lg_u32 s16, -8
	v_add3_u32 v3, v9, v3, v11
	v_mul_lo_u32 v5, s17, v5
	s_waitcnt lgkmcnt(0)
	v_mul_lo_u32 v9, s0, v10
	s_delay_alu instid0(VALU_DEP_3) | instskip(NEXT) | instid1(VALU_DEP_1)
	v_add3_u32 v3, v4, v3, v8
	v_add3_u32 v4, v5, v3, v9
	s_cbranch_scc0 .LBB28_58
; %bb.57:                               ;   in Loop: Header=BB28_24 Depth=2
	v_dual_mov_b32 v8, v24 :: v_dual_mov_b32 v9, v25
	s_branch .LBB28_24
.LBB28_58:                              ;   in Loop: Header=BB28_3 Depth=1
	s_load_b32 s0, s[12:13], 0x0
	s_waitcnt lgkmcnt(0)
	v_cmp_gt_i32_e32 vcc_lo, s0, v1
	s_and_b32 exec_lo, exec_lo, vcc_lo
	s_cbranch_execz .LBB28_2
; %bb.59:                               ;   in Loop: Header=BB28_3 Depth=1
	v_ashrrev_i32_e32 v1, 31, v0
	s_delay_alu instid0(VALU_DEP_1)
	v_cmp_lt_i64_e32 vcc_lo, s[4:5], v[0:1]
	s_and_b32 exec_lo, exec_lo, vcc_lo
	s_cbranch_execz .LBB28_2
; %bb.60:                               ;   in Loop: Header=BB28_3 Depth=1
	v_ashrrev_i32_e32 v5, 31, v4
	v_mov_b32_e32 v3, v2
	s_delay_alu instid0(VALU_DEP_2) | instskip(SKIP_2) | instid1(VALU_DEP_3)
	v_lshlrev_b64 v[0:1], 4, v[4:5]
	v_mov_b32_e32 v4, v2
	v_mov_b32_e32 v5, v2
	v_add_co_u32 v0, vcc_lo, s2, v0
	s_delay_alu instid0(VALU_DEP_4)
	v_add_co_ci_u32_e32 v1, vcc_lo, s3, v1, vcc_lo
	global_store_b128 v[0:1], v[2:5], off
	s_branch .LBB28_2
.LBB28_61:
	s_nop 0
	s_sendmsg sendmsg(MSG_DEALLOC_VGPRS)
	s_endpgm
	.section	.rodata,"a",@progbits
	.p2align	6, 0x0
	.amdhsa_kernel _ZN2at6native16triu_tril_kernelIN3c107complexIdEEiLb0ELi1ELb1EEEvNS_4cuda6detail10TensorInfoIT_T0_EENS7_IKS8_S9_EEllS9_
		.amdhsa_group_segment_fixed_size 0
		.amdhsa_private_segment_fixed_size 0
		.amdhsa_kernarg_size 712
		.amdhsa_user_sgpr_count 15
		.amdhsa_user_sgpr_dispatch_ptr 0
		.amdhsa_user_sgpr_queue_ptr 0
		.amdhsa_user_sgpr_kernarg_segment_ptr 1
		.amdhsa_user_sgpr_dispatch_id 0
		.amdhsa_user_sgpr_private_segment_size 0
		.amdhsa_wavefront_size32 1
		.amdhsa_uses_dynamic_stack 0
		.amdhsa_enable_private_segment 0
		.amdhsa_system_sgpr_workgroup_id_x 1
		.amdhsa_system_sgpr_workgroup_id_y 0
		.amdhsa_system_sgpr_workgroup_id_z 0
		.amdhsa_system_sgpr_workgroup_info 0
		.amdhsa_system_vgpr_workitem_id 0
		.amdhsa_next_free_vgpr 31
		.amdhsa_next_free_sgpr 55
		.amdhsa_reserve_vcc 1
		.amdhsa_float_round_mode_32 0
		.amdhsa_float_round_mode_16_64 0
		.amdhsa_float_denorm_mode_32 3
		.amdhsa_float_denorm_mode_16_64 3
		.amdhsa_dx10_clamp 1
		.amdhsa_ieee_mode 1
		.amdhsa_fp16_overflow 0
		.amdhsa_workgroup_processor_mode 1
		.amdhsa_memory_ordered 1
		.amdhsa_forward_progress 0
		.amdhsa_shared_vgpr_count 0
		.amdhsa_exception_fp_ieee_invalid_op 0
		.amdhsa_exception_fp_denorm_src 0
		.amdhsa_exception_fp_ieee_div_zero 0
		.amdhsa_exception_fp_ieee_overflow 0
		.amdhsa_exception_fp_ieee_underflow 0
		.amdhsa_exception_fp_ieee_inexact 0
		.amdhsa_exception_int_div_zero 0
	.end_amdhsa_kernel
	.section	.text._ZN2at6native16triu_tril_kernelIN3c107complexIdEEiLb0ELi1ELb1EEEvNS_4cuda6detail10TensorInfoIT_T0_EENS7_IKS8_S9_EEllS9_,"axG",@progbits,_ZN2at6native16triu_tril_kernelIN3c107complexIdEEiLb0ELi1ELb1EEEvNS_4cuda6detail10TensorInfoIT_T0_EENS7_IKS8_S9_EEllS9_,comdat
.Lfunc_end28:
	.size	_ZN2at6native16triu_tril_kernelIN3c107complexIdEEiLb0ELi1ELb1EEEvNS_4cuda6detail10TensorInfoIT_T0_EENS7_IKS8_S9_EEllS9_, .Lfunc_end28-_ZN2at6native16triu_tril_kernelIN3c107complexIdEEiLb0ELi1ELb1EEEvNS_4cuda6detail10TensorInfoIT_T0_EENS7_IKS8_S9_EEllS9_
                                        ; -- End function
	.section	.AMDGPU.csdata,"",@progbits
; Kernel info:
; codeLenInByte = 12332
; NumSgprs: 57
; NumVgprs: 31
; ScratchSize: 0
; MemoryBound: 0
; FloatMode: 240
; IeeeMode: 1
; LDSByteSize: 0 bytes/workgroup (compile time only)
; SGPRBlocks: 7
; VGPRBlocks: 3
; NumSGPRsForWavesPerEU: 57
; NumVGPRsForWavesPerEU: 31
; Occupancy: 16
; WaveLimiterHint : 0
; COMPUTE_PGM_RSRC2:SCRATCH_EN: 0
; COMPUTE_PGM_RSRC2:USER_SGPR: 15
; COMPUTE_PGM_RSRC2:TRAP_HANDLER: 0
; COMPUTE_PGM_RSRC2:TGID_X_EN: 1
; COMPUTE_PGM_RSRC2:TGID_Y_EN: 0
; COMPUTE_PGM_RSRC2:TGID_Z_EN: 0
; COMPUTE_PGM_RSRC2:TIDIG_COMP_CNT: 0
	.section	.text._ZN2at6native16triu_tril_kernelIN3c107complexIdEEiLb0ELi1ELb0EEEvNS_4cuda6detail10TensorInfoIT_T0_EENS7_IKS8_S9_EEllS9_,"axG",@progbits,_ZN2at6native16triu_tril_kernelIN3c107complexIdEEiLb0ELi1ELb0EEEvNS_4cuda6detail10TensorInfoIT_T0_EENS7_IKS8_S9_EEllS9_,comdat
	.protected	_ZN2at6native16triu_tril_kernelIN3c107complexIdEEiLb0ELi1ELb0EEEvNS_4cuda6detail10TensorInfoIT_T0_EENS7_IKS8_S9_EEllS9_ ; -- Begin function _ZN2at6native16triu_tril_kernelIN3c107complexIdEEiLb0ELi1ELb0EEEvNS_4cuda6detail10TensorInfoIT_T0_EENS7_IKS8_S9_EEllS9_
	.globl	_ZN2at6native16triu_tril_kernelIN3c107complexIdEEiLb0ELi1ELb0EEEvNS_4cuda6detail10TensorInfoIT_T0_EENS7_IKS8_S9_EEllS9_
	.p2align	8
	.type	_ZN2at6native16triu_tril_kernelIN3c107complexIdEEiLb0ELi1ELb0EEEvNS_4cuda6detail10TensorInfoIT_T0_EENS7_IKS8_S9_EEllS9_,@function
_ZN2at6native16triu_tril_kernelIN3c107complexIdEEiLb0ELi1ELb0EEEvNS_4cuda6detail10TensorInfoIT_T0_EENS7_IKS8_S9_EEllS9_: ; @_ZN2at6native16triu_tril_kernelIN3c107complexIdEEiLb0ELi1ELb0EEEvNS_4cuda6detail10TensorInfoIT_T0_EENS7_IKS8_S9_EEllS9_
; %bb.0:
	s_clause 0x1
	s_load_b32 s2, s[0:1], 0x1d4
	s_load_b128 s[4:7], s[0:1], 0x1b0
	v_mov_b32_e32 v4, 0
	s_add_u32 s12, s0, 0x1c8
	s_addc_u32 s13, s1, 0
	s_delay_alu instid0(VALU_DEP_1) | instskip(SKIP_3) | instid1(VALU_DEP_1)
	v_mov_b32_e32 v1, v4
	s_waitcnt lgkmcnt(0)
	s_and_b32 s16, s2, 0xffff
	s_mov_b32 s2, exec_lo
	v_mad_u64_u32 v[6:7], null, s16, s15, v[0:1]
	s_delay_alu instid0(VALU_DEP_1)
	v_cmpx_gt_i64_e64 s[6:7], v[6:7]
	s_cbranch_execz .LBB29_44
; %bb.1:
	s_clause 0x1
	s_load_b32 s18, s[0:1], 0x1a8
	s_load_b32 s26, s[0:1], 0x1c0
	s_add_u32 s27, s0, 0xd8
	s_addc_u32 s28, s1, 0
	s_load_b64 s[2:3], s[0:1], 0xd8
	s_load_b32 s17, s[12:13], 0x0
	s_mov_b32 s39, 0
	s_waitcnt lgkmcnt(0)
	s_ashr_i32 s19, s18, 31
	s_ashr_i32 s29, s26, 31
	s_lshl_b64 s[8:9], s[18:19], 2
	v_cvt_f32_u32_e32 v0, s26
	s_add_u32 s14, s8, -8
	s_addc_u32 s15, s9, -1
	s_add_u32 s10, s27, s14
	s_addc_u32 s11, s28, s15
	v_rcp_iflag_f32_e32 v0, v0
	s_clause 0x1
	s_load_b64 s[8:9], s[10:11], 0x8
	s_load_b64 s[10:11], s[10:11], 0x6c
	s_mul_i32 s38, s17, s16
	s_mov_b32 s17, 0
	s_waitcnt_depctr 0xfff
	v_mul_f32_e32 v0, 0x4f7ffffe, v0
	s_delay_alu instid0(VALU_DEP_1)
	v_cvt_u32_f32_e32 v0, v0
	s_waitcnt lgkmcnt(0)
	s_ashr_i32 s30, s8, 31
	s_add_u32 s31, s0, 0x6c
	s_addc_u32 s33, s1, 0
	s_add_u32 s14, s31, s14
	s_addc_u32 s15, s33, s15
	s_and_b32 s34, s18, 3
	s_add_i32 s35, s18, -3
	s_cmp_lg_u32 s34, 2
	s_load_b64 s[12:13], s[14:15], 0x0
	s_cselect_b32 s36, -1, 0
	s_cmp_gt_u32 s35, 2
	s_load_b64 s[14:15], s[0:1], 0x0
	s_cselect_b32 s37, -1, 0
	s_sub_i32 s20, 0, s26
	v_cmp_gt_i64_e64 s1, s[18:19], 2
	v_mul_lo_u32 v1, s20, v0
	s_delay_alu instid0(VALU_DEP_1) | instskip(NEXT) | instid1(VALU_DEP_1)
	v_mul_hi_u32 v1, v0, v1
	v_add_nc_u32_e32 v17, v0, v1
	s_branch .LBB29_3
.LBB29_2:                               ;   in Loop: Header=BB29_3 Depth=1
	s_or_b32 exec_lo, exec_lo, s0
	v_add_co_u32 v6, vcc_lo, v6, s38
	v_add_co_ci_u32_e32 v7, vcc_lo, 0, v7, vcc_lo
	s_delay_alu instid0(VALU_DEP_1) | instskip(SKIP_1) | instid1(SALU_CYCLE_1)
	v_cmp_le_i64_e32 vcc_lo, s[6:7], v[6:7]
	s_or_b32 s39, vcc_lo, s39
	s_and_not1_b32 exec_lo, exec_lo, s39
	s_cbranch_execz .LBB29_44
.LBB29_3:                               ; =>This Loop Header: Depth=1
                                        ;     Child Loop BB29_14 Depth 2
                                        ;     Child Loop BB29_22 Depth 2
	v_or_b32_e32 v5, s29, v7
                                        ; implicit-def: $vgpr2_vgpr3
	s_mov_b32 s0, exec_lo
	s_delay_alu instid0(VALU_DEP_1)
	v_cmpx_ne_u64_e32 0, v[4:5]
	s_xor_b32 s16, exec_lo, s0
	s_cbranch_execz .LBB29_5
; %bb.4:                                ;   in Loop: Header=BB29_3 Depth=1
	s_add_u32 s20, s26, s29
	s_mov_b32 s18, s29
	s_mov_b32 s19, s29
	s_addc_u32 s21, s29, s29
	s_delay_alu instid0(SALU_CYCLE_1)
	s_xor_b64 s[20:21], s[20:21], s[18:19]
	s_waitcnt vmcnt(0)
	v_cvt_f32_u32_e32 v0, s20
	v_cvt_f32_u32_e32 v1, s21
	s_sub_u32 s0, 0, s20
	s_subb_u32 s22, 0, s21
	s_delay_alu instid0(VALU_DEP_1) | instskip(NEXT) | instid1(VALU_DEP_1)
	v_fmac_f32_e32 v0, 0x4f800000, v1
	v_rcp_f32_e32 v0, v0
	s_waitcnt_depctr 0xfff
	v_mul_f32_e32 v0, 0x5f7ffffc, v0
	s_delay_alu instid0(VALU_DEP_1) | instskip(NEXT) | instid1(VALU_DEP_1)
	v_mul_f32_e32 v1, 0x2f800000, v0
	v_trunc_f32_e32 v1, v1
	s_delay_alu instid0(VALU_DEP_1) | instskip(SKIP_1) | instid1(VALU_DEP_2)
	v_fmac_f32_e32 v0, 0xcf800000, v1
	v_cvt_u32_f32_e32 v1, v1
	v_cvt_u32_f32_e32 v0, v0
	s_delay_alu instid0(VALU_DEP_2) | instskip(NEXT) | instid1(VALU_DEP_2)
	v_mul_lo_u32 v2, s0, v1
	v_mul_hi_u32 v3, s0, v0
	v_mul_lo_u32 v5, s22, v0
	s_delay_alu instid0(VALU_DEP_2) | instskip(SKIP_1) | instid1(VALU_DEP_2)
	v_add_nc_u32_e32 v2, v3, v2
	v_mul_lo_u32 v3, s0, v0
	v_add_nc_u32_e32 v2, v2, v5
	s_delay_alu instid0(VALU_DEP_2) | instskip(NEXT) | instid1(VALU_DEP_2)
	v_mul_hi_u32 v5, v0, v3
	v_mul_lo_u32 v8, v0, v2
	v_mul_hi_u32 v9, v0, v2
	v_mul_hi_u32 v10, v1, v3
	v_mul_lo_u32 v3, v1, v3
	v_mul_hi_u32 v11, v1, v2
	v_mul_lo_u32 v2, v1, v2
	v_add_co_u32 v5, vcc_lo, v5, v8
	v_add_co_ci_u32_e32 v8, vcc_lo, 0, v9, vcc_lo
	s_delay_alu instid0(VALU_DEP_2) | instskip(NEXT) | instid1(VALU_DEP_2)
	v_add_co_u32 v3, vcc_lo, v5, v3
	v_add_co_ci_u32_e32 v3, vcc_lo, v8, v10, vcc_lo
	v_add_co_ci_u32_e32 v5, vcc_lo, 0, v11, vcc_lo
	v_ashrrev_i32_e32 v10, 31, v7
	s_delay_alu instid0(VALU_DEP_3) | instskip(NEXT) | instid1(VALU_DEP_3)
	v_add_co_u32 v2, vcc_lo, v3, v2
	v_add_co_ci_u32_e32 v3, vcc_lo, 0, v5, vcc_lo
	s_delay_alu instid0(VALU_DEP_2) | instskip(NEXT) | instid1(VALU_DEP_2)
	v_add_co_u32 v0, vcc_lo, v0, v2
	v_add_co_ci_u32_e32 v1, vcc_lo, v1, v3, vcc_lo
	s_delay_alu instid0(VALU_DEP_2) | instskip(SKIP_1) | instid1(VALU_DEP_3)
	v_mul_hi_u32 v2, s0, v0
	v_mul_lo_u32 v5, s22, v0
	v_mul_lo_u32 v3, s0, v1
	s_delay_alu instid0(VALU_DEP_1) | instskip(SKIP_1) | instid1(VALU_DEP_2)
	v_add_nc_u32_e32 v2, v2, v3
	v_mul_lo_u32 v3, s0, v0
	v_add_nc_u32_e32 v2, v2, v5
	s_delay_alu instid0(VALU_DEP_2) | instskip(NEXT) | instid1(VALU_DEP_2)
	v_mul_hi_u32 v5, v0, v3
	v_mul_lo_u32 v8, v0, v2
	v_mul_hi_u32 v9, v0, v2
	v_mul_hi_u32 v11, v1, v3
	v_mul_lo_u32 v3, v1, v3
	v_mul_hi_u32 v12, v1, v2
	v_mul_lo_u32 v2, v1, v2
	v_add_co_u32 v5, vcc_lo, v5, v8
	v_add_co_ci_u32_e32 v8, vcc_lo, 0, v9, vcc_lo
	s_delay_alu instid0(VALU_DEP_2) | instskip(NEXT) | instid1(VALU_DEP_2)
	v_add_co_u32 v3, vcc_lo, v5, v3
	v_add_co_ci_u32_e32 v3, vcc_lo, v8, v11, vcc_lo
	v_add_co_ci_u32_e32 v5, vcc_lo, 0, v12, vcc_lo
	v_add_co_u32 v8, vcc_lo, v6, v10
	v_add_co_ci_u32_e32 v9, vcc_lo, v7, v10, vcc_lo
	s_delay_alu instid0(VALU_DEP_4) | instskip(NEXT) | instid1(VALU_DEP_4)
	v_add_co_u32 v2, vcc_lo, v3, v2
	v_add_co_ci_u32_e32 v3, vcc_lo, 0, v5, vcc_lo
	s_delay_alu instid0(VALU_DEP_4) | instskip(NEXT) | instid1(VALU_DEP_3)
	v_xor_b32_e32 v5, v8, v10
	v_add_co_u32 v8, vcc_lo, v0, v2
	s_delay_alu instid0(VALU_DEP_3) | instskip(SKIP_1) | instid1(VALU_DEP_3)
	v_add_co_ci_u32_e32 v11, vcc_lo, v1, v3, vcc_lo
	v_xor_b32_e32 v12, v9, v10
	v_mul_hi_u32 v13, v5, v8
	s_delay_alu instid0(VALU_DEP_3) | instskip(NEXT) | instid1(VALU_DEP_3)
	v_mad_u64_u32 v[0:1], null, v5, v11, 0
	v_mad_u64_u32 v[2:3], null, v12, v8, 0
	;; [unrolled: 1-line block ×3, first 2 shown]
	s_delay_alu instid0(VALU_DEP_3) | instskip(NEXT) | instid1(VALU_DEP_4)
	v_add_co_u32 v0, vcc_lo, v13, v0
	v_add_co_ci_u32_e32 v1, vcc_lo, 0, v1, vcc_lo
	s_delay_alu instid0(VALU_DEP_2) | instskip(NEXT) | instid1(VALU_DEP_2)
	v_add_co_u32 v0, vcc_lo, v0, v2
	v_add_co_ci_u32_e32 v0, vcc_lo, v1, v3, vcc_lo
	v_add_co_ci_u32_e32 v1, vcc_lo, 0, v9, vcc_lo
	s_delay_alu instid0(VALU_DEP_2) | instskip(NEXT) | instid1(VALU_DEP_2)
	v_add_co_u32 v2, vcc_lo, v0, v8
	v_add_co_ci_u32_e32 v3, vcc_lo, 0, v1, vcc_lo
	s_delay_alu instid0(VALU_DEP_2) | instskip(SKIP_1) | instid1(VALU_DEP_3)
	v_mul_lo_u32 v8, s21, v2
	v_mad_u64_u32 v[0:1], null, s20, v2, 0
	v_mul_lo_u32 v9, s20, v3
	s_delay_alu instid0(VALU_DEP_2) | instskip(NEXT) | instid1(VALU_DEP_2)
	v_sub_co_u32 v0, vcc_lo, v5, v0
	v_add3_u32 v1, v1, v9, v8
	s_delay_alu instid0(VALU_DEP_1) | instskip(NEXT) | instid1(VALU_DEP_1)
	v_sub_nc_u32_e32 v8, v12, v1
	v_subrev_co_ci_u32_e64 v5, s0, s21, v8, vcc_lo
	v_add_co_u32 v8, s0, v2, 2
	s_delay_alu instid0(VALU_DEP_1) | instskip(SKIP_3) | instid1(VALU_DEP_3)
	v_add_co_ci_u32_e64 v9, s0, 0, v3, s0
	v_sub_co_u32 v11, s0, v0, s20
	v_sub_co_ci_u32_e32 v1, vcc_lo, v12, v1, vcc_lo
	v_subrev_co_ci_u32_e64 v5, s0, 0, v5, s0
	v_cmp_le_u32_e32 vcc_lo, s20, v11
	s_delay_alu instid0(VALU_DEP_3) | instskip(SKIP_1) | instid1(VALU_DEP_4)
	v_cmp_eq_u32_e64 s0, s21, v1
	v_cndmask_b32_e64 v11, 0, -1, vcc_lo
	v_cmp_le_u32_e32 vcc_lo, s21, v5
	v_cndmask_b32_e64 v12, 0, -1, vcc_lo
	v_cmp_le_u32_e32 vcc_lo, s20, v0
	;; [unrolled: 2-line block ×3, first 2 shown]
	v_cndmask_b32_e64 v13, 0, -1, vcc_lo
	v_cmp_eq_u32_e32 vcc_lo, s21, v5
	s_delay_alu instid0(VALU_DEP_2) | instskip(SKIP_3) | instid1(VALU_DEP_3)
	v_cndmask_b32_e64 v0, v13, v0, s0
	v_cndmask_b32_e32 v5, v12, v11, vcc_lo
	v_add_co_u32 v11, vcc_lo, v2, 1
	v_add_co_ci_u32_e32 v12, vcc_lo, 0, v3, vcc_lo
	v_cmp_ne_u32_e32 vcc_lo, 0, v5
	s_delay_alu instid0(VALU_DEP_2) | instskip(NEXT) | instid1(VALU_DEP_4)
	v_cndmask_b32_e32 v1, v12, v9, vcc_lo
	v_cndmask_b32_e32 v5, v11, v8, vcc_lo
	v_cmp_ne_u32_e32 vcc_lo, 0, v0
	v_xor_b32_e32 v0, s18, v10
	s_delay_alu instid0(VALU_DEP_4) | instskip(NEXT) | instid1(VALU_DEP_4)
	v_cndmask_b32_e32 v1, v3, v1, vcc_lo
	v_cndmask_b32_e32 v2, v2, v5, vcc_lo
	v_xor_b32_e32 v3, s19, v10
	s_delay_alu instid0(VALU_DEP_2) | instskip(NEXT) | instid1(VALU_DEP_2)
	v_xor_b32_e32 v2, v2, v0
	v_xor_b32_e32 v1, v1, v3
	s_delay_alu instid0(VALU_DEP_2) | instskip(NEXT) | instid1(VALU_DEP_2)
	v_sub_co_u32 v2, vcc_lo, v2, v0
	v_sub_co_ci_u32_e32 v3, vcc_lo, v1, v3, vcc_lo
.LBB29_5:                               ;   in Loop: Header=BB29_3 Depth=1
	s_and_not1_saveexec_b32 s0, s16
	s_cbranch_execz .LBB29_7
; %bb.6:                                ;   in Loop: Header=BB29_3 Depth=1
	s_waitcnt vmcnt(0)
	v_mul_hi_u32 v0, v6, v17
	s_delay_alu instid0(VALU_DEP_1) | instskip(NEXT) | instid1(VALU_DEP_1)
	v_mul_lo_u32 v1, v0, s26
	v_sub_nc_u32_e32 v1, v6, v1
	s_delay_alu instid0(VALU_DEP_1) | instskip(SKIP_1) | instid1(VALU_DEP_2)
	v_subrev_nc_u32_e32 v3, s26, v1
	v_cmp_le_u32_e32 vcc_lo, s26, v1
	v_dual_cndmask_b32 v1, v1, v3 :: v_dual_add_nc_u32 v2, 1, v0
	s_delay_alu instid0(VALU_DEP_1) | instskip(SKIP_1) | instid1(VALU_DEP_3)
	v_cndmask_b32_e32 v0, v0, v2, vcc_lo
	v_mov_b32_e32 v3, v4
	v_cmp_le_u32_e32 vcc_lo, s26, v1
	s_delay_alu instid0(VALU_DEP_3) | instskip(NEXT) | instid1(VALU_DEP_1)
	v_add_nc_u32_e32 v2, 1, v0
	v_cndmask_b32_e32 v2, v0, v2, vcc_lo
.LBB29_7:                               ;   in Loop: Header=BB29_3 Depth=1
	s_or_b32 exec_lo, exec_lo, s0
	s_waitcnt vmcnt(0)
	v_or_b32_e32 v5, s30, v3
                                        ; implicit-def: $vgpr0_vgpr1
	s_mov_b32 s0, exec_lo
	s_delay_alu instid0(VALU_DEP_1)
	v_cmpx_ne_u64_e32 0, v[4:5]
	s_xor_b32 s16, exec_lo, s0
	s_cbranch_execz .LBB29_9
; %bb.8:                                ;   in Loop: Header=BB29_3 Depth=1
	s_add_u32 s20, s8, s30
	s_mov_b32 s18, s30
	s_mov_b32 s19, s30
	s_addc_u32 s21, s30, s30
	s_delay_alu instid0(SALU_CYCLE_1) | instskip(NEXT) | instid1(SALU_CYCLE_1)
	s_xor_b64 s[20:21], s[20:21], s[18:19]
	v_cvt_f32_u32_e32 v0, s20
	v_cvt_f32_u32_e32 v1, s21
	s_sub_u32 s0, 0, s20
	s_subb_u32 s22, 0, s21
	s_delay_alu instid0(VALU_DEP_1) | instskip(NEXT) | instid1(VALU_DEP_1)
	v_fmac_f32_e32 v0, 0x4f800000, v1
	v_rcp_f32_e32 v0, v0
	s_waitcnt_depctr 0xfff
	v_mul_f32_e32 v0, 0x5f7ffffc, v0
	s_delay_alu instid0(VALU_DEP_1) | instskip(NEXT) | instid1(VALU_DEP_1)
	v_mul_f32_e32 v1, 0x2f800000, v0
	v_trunc_f32_e32 v1, v1
	s_delay_alu instid0(VALU_DEP_1) | instskip(SKIP_1) | instid1(VALU_DEP_2)
	v_fmac_f32_e32 v0, 0xcf800000, v1
	v_cvt_u32_f32_e32 v1, v1
	v_cvt_u32_f32_e32 v0, v0
	s_delay_alu instid0(VALU_DEP_2) | instskip(NEXT) | instid1(VALU_DEP_2)
	v_mul_lo_u32 v5, s0, v1
	v_mul_hi_u32 v8, s0, v0
	v_mul_lo_u32 v9, s22, v0
	s_delay_alu instid0(VALU_DEP_2) | instskip(SKIP_1) | instid1(VALU_DEP_2)
	v_add_nc_u32_e32 v5, v8, v5
	v_mul_lo_u32 v8, s0, v0
	v_add_nc_u32_e32 v5, v5, v9
	s_delay_alu instid0(VALU_DEP_2) | instskip(NEXT) | instid1(VALU_DEP_2)
	v_mul_hi_u32 v9, v0, v8
	v_mul_lo_u32 v10, v0, v5
	v_mul_hi_u32 v11, v0, v5
	v_mul_hi_u32 v12, v1, v8
	v_mul_lo_u32 v8, v1, v8
	v_mul_hi_u32 v13, v1, v5
	v_mul_lo_u32 v5, v1, v5
	v_add_co_u32 v9, vcc_lo, v9, v10
	v_add_co_ci_u32_e32 v10, vcc_lo, 0, v11, vcc_lo
	s_delay_alu instid0(VALU_DEP_2) | instskip(NEXT) | instid1(VALU_DEP_2)
	v_add_co_u32 v8, vcc_lo, v9, v8
	v_add_co_ci_u32_e32 v8, vcc_lo, v10, v12, vcc_lo
	v_add_co_ci_u32_e32 v9, vcc_lo, 0, v13, vcc_lo
	v_ashrrev_i32_e32 v12, 31, v3
	s_delay_alu instid0(VALU_DEP_3) | instskip(NEXT) | instid1(VALU_DEP_3)
	v_add_co_u32 v5, vcc_lo, v8, v5
	v_add_co_ci_u32_e32 v8, vcc_lo, 0, v9, vcc_lo
	s_delay_alu instid0(VALU_DEP_2) | instskip(NEXT) | instid1(VALU_DEP_2)
	v_add_co_u32 v0, vcc_lo, v0, v5
	v_add_co_ci_u32_e32 v1, vcc_lo, v1, v8, vcc_lo
	s_delay_alu instid0(VALU_DEP_2) | instskip(SKIP_1) | instid1(VALU_DEP_3)
	v_mul_hi_u32 v5, s0, v0
	v_mul_lo_u32 v9, s22, v0
	v_mul_lo_u32 v8, s0, v1
	s_delay_alu instid0(VALU_DEP_1) | instskip(SKIP_1) | instid1(VALU_DEP_2)
	v_add_nc_u32_e32 v5, v5, v8
	v_mul_lo_u32 v8, s0, v0
	v_add_nc_u32_e32 v5, v5, v9
	s_delay_alu instid0(VALU_DEP_2) | instskip(NEXT) | instid1(VALU_DEP_2)
	v_mul_hi_u32 v9, v0, v8
	v_mul_lo_u32 v10, v0, v5
	v_mul_hi_u32 v11, v0, v5
	v_mul_hi_u32 v13, v1, v8
	v_mul_lo_u32 v8, v1, v8
	v_mul_hi_u32 v14, v1, v5
	v_mul_lo_u32 v5, v1, v5
	v_add_co_u32 v9, vcc_lo, v9, v10
	v_add_co_ci_u32_e32 v10, vcc_lo, 0, v11, vcc_lo
	s_delay_alu instid0(VALU_DEP_2) | instskip(NEXT) | instid1(VALU_DEP_2)
	v_add_co_u32 v8, vcc_lo, v9, v8
	v_add_co_ci_u32_e32 v8, vcc_lo, v10, v13, vcc_lo
	v_add_co_ci_u32_e32 v9, vcc_lo, 0, v14, vcc_lo
	v_add_co_u32 v10, vcc_lo, v2, v12
	v_add_co_ci_u32_e32 v3, vcc_lo, v3, v12, vcc_lo
	s_delay_alu instid0(VALU_DEP_4) | instskip(NEXT) | instid1(VALU_DEP_4)
	v_add_co_u32 v5, vcc_lo, v8, v5
	v_add_co_ci_u32_e32 v8, vcc_lo, 0, v9, vcc_lo
	s_delay_alu instid0(VALU_DEP_4) | instskip(NEXT) | instid1(VALU_DEP_3)
	v_xor_b32_e32 v13, v10, v12
	v_add_co_u32 v5, vcc_lo, v0, v5
	s_delay_alu instid0(VALU_DEP_3) | instskip(SKIP_1) | instid1(VALU_DEP_3)
	v_add_co_ci_u32_e32 v14, vcc_lo, v1, v8, vcc_lo
	v_xor_b32_e32 v3, v3, v12
	v_mul_hi_u32 v15, v13, v5
	s_delay_alu instid0(VALU_DEP_3) | instskip(NEXT) | instid1(VALU_DEP_3)
	v_mad_u64_u32 v[0:1], null, v13, v14, 0
	v_mad_u64_u32 v[8:9], null, v3, v5, 0
	;; [unrolled: 1-line block ×3, first 2 shown]
	s_delay_alu instid0(VALU_DEP_3) | instskip(NEXT) | instid1(VALU_DEP_4)
	v_add_co_u32 v0, vcc_lo, v15, v0
	v_add_co_ci_u32_e32 v1, vcc_lo, 0, v1, vcc_lo
	s_delay_alu instid0(VALU_DEP_2) | instskip(NEXT) | instid1(VALU_DEP_2)
	v_add_co_u32 v0, vcc_lo, v0, v8
	v_add_co_ci_u32_e32 v0, vcc_lo, v1, v9, vcc_lo
	v_add_co_ci_u32_e32 v1, vcc_lo, 0, v11, vcc_lo
	s_delay_alu instid0(VALU_DEP_2) | instskip(NEXT) | instid1(VALU_DEP_2)
	v_add_co_u32 v5, vcc_lo, v0, v10
	v_add_co_ci_u32_e32 v8, vcc_lo, 0, v1, vcc_lo
	s_delay_alu instid0(VALU_DEP_2) | instskip(SKIP_1) | instid1(VALU_DEP_3)
	v_mul_lo_u32 v9, s21, v5
	v_mad_u64_u32 v[0:1], null, s20, v5, 0
	v_mul_lo_u32 v10, s20, v8
	s_delay_alu instid0(VALU_DEP_2) | instskip(NEXT) | instid1(VALU_DEP_2)
	v_sub_co_u32 v0, vcc_lo, v13, v0
	v_add3_u32 v1, v1, v10, v9
	s_delay_alu instid0(VALU_DEP_1) | instskip(NEXT) | instid1(VALU_DEP_1)
	v_sub_nc_u32_e32 v9, v3, v1
	v_subrev_co_ci_u32_e64 v9, s0, s21, v9, vcc_lo
	v_add_co_u32 v10, s0, v5, 2
	s_delay_alu instid0(VALU_DEP_1) | instskip(SKIP_3) | instid1(VALU_DEP_3)
	v_add_co_ci_u32_e64 v11, s0, 0, v8, s0
	v_sub_co_u32 v13, s0, v0, s20
	v_sub_co_ci_u32_e32 v1, vcc_lo, v3, v1, vcc_lo
	v_subrev_co_ci_u32_e64 v9, s0, 0, v9, s0
	v_cmp_le_u32_e32 vcc_lo, s20, v13
	s_delay_alu instid0(VALU_DEP_3) | instskip(SKIP_1) | instid1(VALU_DEP_4)
	v_cmp_eq_u32_e64 s0, s21, v1
	v_cndmask_b32_e64 v3, 0, -1, vcc_lo
	v_cmp_le_u32_e32 vcc_lo, s21, v9
	v_cndmask_b32_e64 v13, 0, -1, vcc_lo
	v_cmp_le_u32_e32 vcc_lo, s20, v0
	;; [unrolled: 2-line block ×3, first 2 shown]
	v_cndmask_b32_e64 v14, 0, -1, vcc_lo
	v_cmp_eq_u32_e32 vcc_lo, s21, v9
	s_delay_alu instid0(VALU_DEP_2) | instskip(SKIP_3) | instid1(VALU_DEP_3)
	v_cndmask_b32_e64 v0, v14, v0, s0
	v_cndmask_b32_e32 v3, v13, v3, vcc_lo
	v_add_co_u32 v9, vcc_lo, v5, 1
	v_add_co_ci_u32_e32 v13, vcc_lo, 0, v8, vcc_lo
	v_cmp_ne_u32_e32 vcc_lo, 0, v3
	s_delay_alu instid0(VALU_DEP_2) | instskip(NEXT) | instid1(VALU_DEP_4)
	v_cndmask_b32_e32 v1, v13, v11, vcc_lo
	v_cndmask_b32_e32 v3, v9, v10, vcc_lo
	v_cmp_ne_u32_e32 vcc_lo, 0, v0
	v_xor_b32_e32 v0, s18, v12
	s_delay_alu instid0(VALU_DEP_3) | instskip(SKIP_2) | instid1(VALU_DEP_3)
	v_cndmask_b32_e32 v3, v5, v3, vcc_lo
	v_cndmask_b32_e32 v1, v8, v1, vcc_lo
	v_xor_b32_e32 v5, s19, v12
	v_xor_b32_e32 v3, v3, v0
	s_delay_alu instid0(VALU_DEP_2) | instskip(NEXT) | instid1(VALU_DEP_2)
	v_xor_b32_e32 v1, v1, v5
	v_sub_co_u32 v0, vcc_lo, v3, v0
	s_delay_alu instid0(VALU_DEP_2)
	v_sub_co_ci_u32_e32 v1, vcc_lo, v1, v5, vcc_lo
.LBB29_9:                               ;   in Loop: Header=BB29_3 Depth=1
	s_and_not1_saveexec_b32 s0, s16
	s_cbranch_execz .LBB29_11
; %bb.10:                               ;   in Loop: Header=BB29_3 Depth=1
	v_cvt_f32_u32_e32 v0, s8
	s_sub_i32 s16, 0, s8
	s_delay_alu instid0(VALU_DEP_1) | instskip(SKIP_2) | instid1(VALU_DEP_1)
	v_rcp_iflag_f32_e32 v0, v0
	s_waitcnt_depctr 0xfff
	v_mul_f32_e32 v0, 0x4f7ffffe, v0
	v_cvt_u32_f32_e32 v0, v0
	s_delay_alu instid0(VALU_DEP_1) | instskip(NEXT) | instid1(VALU_DEP_1)
	v_mul_lo_u32 v1, s16, v0
	v_mul_hi_u32 v1, v0, v1
	s_delay_alu instid0(VALU_DEP_1) | instskip(NEXT) | instid1(VALU_DEP_1)
	v_add_nc_u32_e32 v0, v0, v1
	v_mul_hi_u32 v0, v2, v0
	s_delay_alu instid0(VALU_DEP_1) | instskip(SKIP_1) | instid1(VALU_DEP_2)
	v_mul_lo_u32 v1, v0, s8
	v_add_nc_u32_e32 v3, 1, v0
	v_sub_nc_u32_e32 v1, v2, v1
	s_delay_alu instid0(VALU_DEP_1) | instskip(SKIP_1) | instid1(VALU_DEP_2)
	v_subrev_nc_u32_e32 v5, s8, v1
	v_cmp_le_u32_e32 vcc_lo, s8, v1
	v_dual_cndmask_b32 v1, v1, v5 :: v_dual_cndmask_b32 v0, v0, v3
	s_delay_alu instid0(VALU_DEP_1) | instskip(NEXT) | instid1(VALU_DEP_2)
	v_cmp_le_u32_e32 vcc_lo, s8, v1
	v_add_nc_u32_e32 v3, 1, v0
	v_mov_b32_e32 v1, v4
	s_delay_alu instid0(VALU_DEP_2)
	v_cndmask_b32_e32 v0, v0, v3, vcc_lo
.LBB29_11:                              ;   in Loop: Header=BB29_3 Depth=1
	s_or_b32 exec_lo, exec_lo, s0
	v_mad_u64_u32 v[8:9], null, v2, s26, 0
	s_delay_alu instid0(VALU_DEP_2) | instskip(SKIP_1) | instid1(VALU_DEP_2)
	v_mad_u64_u32 v[9:10], null, v0, s8, 0
	s_and_not1_b32 vcc_lo, exec_lo, s1
	v_sub_co_u32 v18, null, v6, v8
	s_delay_alu instid0(VALU_DEP_2) | instskip(NEXT) | instid1(VALU_DEP_2)
	v_sub_co_u32 v19, null, v2, v9
	v_mul_lo_u32 v3, s11, v18
	s_waitcnt lgkmcnt(0)
	v_mul_lo_u32 v5, s13, v18
	s_delay_alu instid0(VALU_DEP_2) | instskip(NEXT) | instid1(VALU_DEP_2)
	v_mad_u64_u32 v[10:11], null, s10, v19, v[3:4]
	v_mad_u64_u32 v[8:9], null, s12, v19, v[5:6]
	s_cbranch_vccnz .LBB29_40
; %bb.12:                               ;   in Loop: Header=BB29_3 Depth=1
	s_and_not1_b32 vcc_lo, exec_lo, s36
	s_mov_b32 s40, 1
	s_cbranch_vccnz .LBB29_20
; %bb.13:                               ;   in Loop: Header=BB29_3 Depth=1
	v_dual_mov_b32 v3, v1 :: v_dual_mov_b32 v2, v0
	s_mov_b32 s16, s35
.LBB29_14:                              ;   Parent Loop BB29_3 Depth=1
                                        ; =>  This Inner Loop Header: Depth=2
	s_delay_alu instid0(SALU_CYCLE_1)
	s_lshl_b64 s[20:21], s[16:17], 2
                                        ; implicit-def: $vgpr0_vgpr1
	s_mov_b32 s22, exec_lo
	s_add_u32 s18, s27, s20
	s_addc_u32 s19, s28, s21
	s_load_b32 s41, s[18:19], 0x8
	s_waitcnt lgkmcnt(0)
	s_ashr_i32 s0, s41, 31
	s_delay_alu instid0(SALU_CYCLE_1) | instskip(NEXT) | instid1(VALU_DEP_1)
	v_or_b32_e32 v5, s0, v3
	v_cmpx_ne_u64_e32 0, v[4:5]
	s_xor_b32 s42, exec_lo, s22
	s_cbranch_execz .LBB29_16
; %bb.15:                               ;   in Loop: Header=BB29_14 Depth=2
	s_add_u32 s24, s41, s0
	s_mov_b32 s22, s0
	s_mov_b32 s23, s0
	s_addc_u32 s25, s0, s0
	s_delay_alu instid0(SALU_CYCLE_1) | instskip(NEXT) | instid1(SALU_CYCLE_1)
	s_xor_b64 s[24:25], s[24:25], s[22:23]
	v_cvt_f32_u32_e32 v0, s24
	v_cvt_f32_u32_e32 v1, s25
	s_sub_u32 s0, 0, s24
	s_subb_u32 s43, 0, s25
	s_delay_alu instid0(VALU_DEP_1) | instskip(NEXT) | instid1(VALU_DEP_1)
	v_fmac_f32_e32 v0, 0x4f800000, v1
	v_rcp_f32_e32 v0, v0
	s_waitcnt_depctr 0xfff
	v_mul_f32_e32 v0, 0x5f7ffffc, v0
	s_delay_alu instid0(VALU_DEP_1) | instskip(NEXT) | instid1(VALU_DEP_1)
	v_mul_f32_e32 v1, 0x2f800000, v0
	v_trunc_f32_e32 v1, v1
	s_delay_alu instid0(VALU_DEP_1) | instskip(SKIP_1) | instid1(VALU_DEP_2)
	v_fmac_f32_e32 v0, 0xcf800000, v1
	v_cvt_u32_f32_e32 v1, v1
	v_cvt_u32_f32_e32 v0, v0
	s_delay_alu instid0(VALU_DEP_2) | instskip(NEXT) | instid1(VALU_DEP_2)
	v_mul_lo_u32 v5, s0, v1
	v_mul_hi_u32 v9, s0, v0
	v_mul_lo_u32 v11, s43, v0
	s_delay_alu instid0(VALU_DEP_2) | instskip(SKIP_1) | instid1(VALU_DEP_2)
	v_add_nc_u32_e32 v5, v9, v5
	v_mul_lo_u32 v9, s0, v0
	v_add_nc_u32_e32 v5, v5, v11
	s_delay_alu instid0(VALU_DEP_2) | instskip(NEXT) | instid1(VALU_DEP_2)
	v_mul_hi_u32 v11, v0, v9
	v_mul_lo_u32 v12, v0, v5
	v_mul_hi_u32 v13, v0, v5
	v_mul_hi_u32 v14, v1, v9
	v_mul_lo_u32 v9, v1, v9
	v_mul_hi_u32 v15, v1, v5
	v_mul_lo_u32 v5, v1, v5
	v_add_co_u32 v11, vcc_lo, v11, v12
	v_add_co_ci_u32_e32 v12, vcc_lo, 0, v13, vcc_lo
	s_delay_alu instid0(VALU_DEP_2) | instskip(NEXT) | instid1(VALU_DEP_2)
	v_add_co_u32 v9, vcc_lo, v11, v9
	v_add_co_ci_u32_e32 v9, vcc_lo, v12, v14, vcc_lo
	v_add_co_ci_u32_e32 v11, vcc_lo, 0, v15, vcc_lo
	v_ashrrev_i32_e32 v15, 31, v3
	s_delay_alu instid0(VALU_DEP_3) | instskip(NEXT) | instid1(VALU_DEP_3)
	v_add_co_u32 v5, vcc_lo, v9, v5
	v_add_co_ci_u32_e32 v9, vcc_lo, 0, v11, vcc_lo
	s_delay_alu instid0(VALU_DEP_2) | instskip(NEXT) | instid1(VALU_DEP_2)
	v_add_co_u32 v0, vcc_lo, v0, v5
	v_add_co_ci_u32_e32 v1, vcc_lo, v1, v9, vcc_lo
	s_delay_alu instid0(VALU_DEP_2) | instskip(SKIP_1) | instid1(VALU_DEP_3)
	v_mul_hi_u32 v5, s0, v0
	v_mul_lo_u32 v11, s43, v0
	v_mul_lo_u32 v9, s0, v1
	s_delay_alu instid0(VALU_DEP_1) | instskip(SKIP_1) | instid1(VALU_DEP_2)
	v_add_nc_u32_e32 v5, v5, v9
	v_mul_lo_u32 v9, s0, v0
	v_add_nc_u32_e32 v5, v5, v11
	s_delay_alu instid0(VALU_DEP_2) | instskip(NEXT) | instid1(VALU_DEP_2)
	v_mul_hi_u32 v11, v0, v9
	v_mul_lo_u32 v12, v0, v5
	v_mul_hi_u32 v13, v0, v5
	v_mul_hi_u32 v14, v1, v9
	v_mul_lo_u32 v9, v1, v9
	v_mul_hi_u32 v16, v1, v5
	v_mul_lo_u32 v5, v1, v5
	v_add_co_u32 v11, vcc_lo, v11, v12
	v_add_co_ci_u32_e32 v12, vcc_lo, 0, v13, vcc_lo
	s_delay_alu instid0(VALU_DEP_2) | instskip(NEXT) | instid1(VALU_DEP_2)
	v_add_co_u32 v9, vcc_lo, v11, v9
	v_add_co_ci_u32_e32 v9, vcc_lo, v12, v14, vcc_lo
	v_add_co_ci_u32_e32 v11, vcc_lo, 0, v16, vcc_lo
	v_add_co_u32 v12, vcc_lo, v2, v15
	v_add_co_ci_u32_e32 v3, vcc_lo, v3, v15, vcc_lo
	s_delay_alu instid0(VALU_DEP_4) | instskip(NEXT) | instid1(VALU_DEP_4)
	v_add_co_u32 v5, vcc_lo, v9, v5
	v_add_co_ci_u32_e32 v9, vcc_lo, 0, v11, vcc_lo
	s_delay_alu instid0(VALU_DEP_4) | instskip(NEXT) | instid1(VALU_DEP_3)
	v_xor_b32_e32 v16, v12, v15
	v_add_co_u32 v5, vcc_lo, v0, v5
	s_delay_alu instid0(VALU_DEP_3) | instskip(SKIP_1) | instid1(VALU_DEP_3)
	v_add_co_ci_u32_e32 v9, vcc_lo, v1, v9, vcc_lo
	v_xor_b32_e32 v3, v3, v15
	v_mul_hi_u32 v20, v16, v5
	s_delay_alu instid0(VALU_DEP_3) | instskip(NEXT) | instid1(VALU_DEP_3)
	v_mad_u64_u32 v[0:1], null, v16, v9, 0
	v_mad_u64_u32 v[11:12], null, v3, v5, 0
	;; [unrolled: 1-line block ×3, first 2 shown]
	s_delay_alu instid0(VALU_DEP_3) | instskip(NEXT) | instid1(VALU_DEP_4)
	v_add_co_u32 v0, vcc_lo, v20, v0
	v_add_co_ci_u32_e32 v1, vcc_lo, 0, v1, vcc_lo
	s_delay_alu instid0(VALU_DEP_2) | instskip(NEXT) | instid1(VALU_DEP_2)
	v_add_co_u32 v0, vcc_lo, v0, v11
	v_add_co_ci_u32_e32 v0, vcc_lo, v1, v12, vcc_lo
	v_add_co_ci_u32_e32 v1, vcc_lo, 0, v14, vcc_lo
	s_delay_alu instid0(VALU_DEP_2) | instskip(NEXT) | instid1(VALU_DEP_2)
	v_add_co_u32 v5, vcc_lo, v0, v13
	v_add_co_ci_u32_e32 v9, vcc_lo, 0, v1, vcc_lo
	s_delay_alu instid0(VALU_DEP_2) | instskip(SKIP_1) | instid1(VALU_DEP_3)
	v_mul_lo_u32 v11, s25, v5
	v_mad_u64_u32 v[0:1], null, s24, v5, 0
	v_mul_lo_u32 v12, s24, v9
	s_delay_alu instid0(VALU_DEP_2) | instskip(NEXT) | instid1(VALU_DEP_2)
	v_sub_co_u32 v0, vcc_lo, v16, v0
	v_add3_u32 v1, v1, v12, v11
	s_delay_alu instid0(VALU_DEP_1) | instskip(NEXT) | instid1(VALU_DEP_1)
	v_sub_nc_u32_e32 v11, v3, v1
	v_subrev_co_ci_u32_e64 v11, s0, s25, v11, vcc_lo
	v_add_co_u32 v12, s0, v5, 2
	s_delay_alu instid0(VALU_DEP_1) | instskip(SKIP_3) | instid1(VALU_DEP_3)
	v_add_co_ci_u32_e64 v13, s0, 0, v9, s0
	v_sub_co_u32 v14, s0, v0, s24
	v_sub_co_ci_u32_e32 v1, vcc_lo, v3, v1, vcc_lo
	v_subrev_co_ci_u32_e64 v11, s0, 0, v11, s0
	v_cmp_le_u32_e32 vcc_lo, s24, v14
	s_delay_alu instid0(VALU_DEP_3) | instskip(SKIP_1) | instid1(VALU_DEP_4)
	v_cmp_eq_u32_e64 s0, s25, v1
	v_cndmask_b32_e64 v3, 0, -1, vcc_lo
	v_cmp_le_u32_e32 vcc_lo, s25, v11
	v_cndmask_b32_e64 v14, 0, -1, vcc_lo
	v_cmp_le_u32_e32 vcc_lo, s24, v0
	;; [unrolled: 2-line block ×3, first 2 shown]
	v_cndmask_b32_e64 v16, 0, -1, vcc_lo
	v_cmp_eq_u32_e32 vcc_lo, s25, v11
	s_delay_alu instid0(VALU_DEP_2) | instskip(SKIP_3) | instid1(VALU_DEP_3)
	v_cndmask_b32_e64 v0, v16, v0, s0
	v_cndmask_b32_e32 v3, v14, v3, vcc_lo
	v_add_co_u32 v11, vcc_lo, v5, 1
	v_add_co_ci_u32_e32 v14, vcc_lo, 0, v9, vcc_lo
	v_cmp_ne_u32_e32 vcc_lo, 0, v3
	s_delay_alu instid0(VALU_DEP_2) | instskip(NEXT) | instid1(VALU_DEP_4)
	v_cndmask_b32_e32 v1, v14, v13, vcc_lo
	v_cndmask_b32_e32 v3, v11, v12, vcc_lo
	v_cmp_ne_u32_e32 vcc_lo, 0, v0
	v_xor_b32_e32 v0, s22, v15
	s_delay_alu instid0(VALU_DEP_3) | instskip(SKIP_2) | instid1(VALU_DEP_3)
	v_cndmask_b32_e32 v3, v5, v3, vcc_lo
	v_cndmask_b32_e32 v1, v9, v1, vcc_lo
	v_xor_b32_e32 v5, s23, v15
	v_xor_b32_e32 v3, v3, v0
	s_delay_alu instid0(VALU_DEP_2) | instskip(NEXT) | instid1(VALU_DEP_2)
	v_xor_b32_e32 v1, v1, v5
	v_sub_co_u32 v0, vcc_lo, v3, v0
	s_delay_alu instid0(VALU_DEP_2)
	v_sub_co_ci_u32_e32 v1, vcc_lo, v1, v5, vcc_lo
.LBB29_16:                              ;   in Loop: Header=BB29_14 Depth=2
	s_and_not1_saveexec_b32 s0, s42
	s_cbranch_execz .LBB29_18
; %bb.17:                               ;   in Loop: Header=BB29_14 Depth=2
	v_cvt_f32_u32_e32 v0, s41
	s_sub_i32 s22, 0, s41
	s_delay_alu instid0(VALU_DEP_1) | instskip(SKIP_2) | instid1(VALU_DEP_1)
	v_rcp_iflag_f32_e32 v0, v0
	s_waitcnt_depctr 0xfff
	v_mul_f32_e32 v0, 0x4f7ffffe, v0
	v_cvt_u32_f32_e32 v0, v0
	s_delay_alu instid0(VALU_DEP_1) | instskip(NEXT) | instid1(VALU_DEP_1)
	v_mul_lo_u32 v1, s22, v0
	v_mul_hi_u32 v1, v0, v1
	s_delay_alu instid0(VALU_DEP_1) | instskip(NEXT) | instid1(VALU_DEP_1)
	v_add_nc_u32_e32 v0, v0, v1
	v_mul_hi_u32 v0, v2, v0
	s_delay_alu instid0(VALU_DEP_1) | instskip(SKIP_1) | instid1(VALU_DEP_2)
	v_mul_lo_u32 v1, v0, s41
	v_add_nc_u32_e32 v3, 1, v0
	v_sub_nc_u32_e32 v1, v2, v1
	s_delay_alu instid0(VALU_DEP_1) | instskip(SKIP_1) | instid1(VALU_DEP_2)
	v_subrev_nc_u32_e32 v5, s41, v1
	v_cmp_le_u32_e32 vcc_lo, s41, v1
	v_dual_cndmask_b32 v1, v1, v5 :: v_dual_cndmask_b32 v0, v0, v3
	s_delay_alu instid0(VALU_DEP_1) | instskip(NEXT) | instid1(VALU_DEP_2)
	v_cmp_le_u32_e32 vcc_lo, s41, v1
	v_add_nc_u32_e32 v3, 1, v0
	v_mov_b32_e32 v1, v4
	s_delay_alu instid0(VALU_DEP_2)
	v_cndmask_b32_e32 v0, v0, v3, vcc_lo
.LBB29_18:                              ;   in Loop: Header=BB29_14 Depth=2
	s_or_b32 exec_lo, exec_lo, s0
	s_add_u32 s20, s31, s20
	s_addc_u32 s21, s33, s21
	s_clause 0x1
	s_load_b32 s0, s[18:19], 0x6c
	s_load_b32 s18, s[20:21], 0x0
	v_mul_lo_u32 v3, v0, s41
	s_add_i32 s16, s16, -1
	s_delay_alu instid0(VALU_DEP_1) | instskip(SKIP_1) | instid1(VALU_DEP_1)
	v_sub_nc_u32_e32 v5, v2, v3
	s_waitcnt lgkmcnt(0)
	v_mad_u64_u32 v[2:3], null, s0, v5, v[10:11]
	v_mad_u64_u32 v[9:10], null, s18, v5, v[8:9]
	s_xor_b32 s0, s34, s40
	s_add_i32 s40, s40, 1
	s_cmp_lg_u32 s0, 2
	s_delay_alu instid0(VALU_DEP_2) | instskip(NEXT) | instid1(VALU_DEP_2)
	v_mov_b32_e32 v10, v2
	v_mov_b32_e32 v8, v9
	s_cbranch_scc0 .LBB29_21
; %bb.19:                               ;   in Loop: Header=BB29_14 Depth=2
	v_dual_mov_b32 v3, v1 :: v_dual_mov_b32 v2, v0
	s_branch .LBB29_14
.LBB29_20:                              ;   in Loop: Header=BB29_3 Depth=1
	s_mov_b32 s16, s35
.LBB29_21:                              ;   in Loop: Header=BB29_3 Depth=1
	s_and_b32 vcc_lo, exec_lo, s37
	s_cbranch_vccz .LBB29_40
.LBB29_22:                              ;   Parent Loop BB29_3 Depth=1
                                        ; =>  This Inner Loop Header: Depth=2
	s_lshl_b64 s[18:19], s[16:17], 2
                                        ; implicit-def: $vgpr2_vgpr3
	s_mov_b32 s22, exec_lo
	s_add_u32 s20, s27, s18
	s_addc_u32 s21, s28, s19
	s_load_b32 s40, s[20:21], 0x8
	s_waitcnt lgkmcnt(0)
	s_ashr_i32 s0, s40, 31
	s_delay_alu instid0(SALU_CYCLE_1) | instskip(NEXT) | instid1(VALU_DEP_1)
	v_or_b32_e32 v5, s0, v1
	v_cmpx_ne_u64_e32 0, v[4:5]
	s_xor_b32 s41, exec_lo, s22
	s_cbranch_execz .LBB29_24
; %bb.23:                               ;   in Loop: Header=BB29_22 Depth=2
	s_add_u32 s24, s40, s0
	s_mov_b32 s22, s0
	s_mov_b32 s23, s0
	s_addc_u32 s25, s0, s0
	s_delay_alu instid0(SALU_CYCLE_1) | instskip(NEXT) | instid1(SALU_CYCLE_1)
	s_xor_b64 s[24:25], s[24:25], s[22:23]
	v_cvt_f32_u32_e32 v2, s24
	v_cvt_f32_u32_e32 v3, s25
	s_sub_u32 s0, 0, s24
	s_subb_u32 s42, 0, s25
	s_delay_alu instid0(VALU_DEP_1) | instskip(NEXT) | instid1(VALU_DEP_1)
	v_fmac_f32_e32 v2, 0x4f800000, v3
	v_rcp_f32_e32 v2, v2
	s_waitcnt_depctr 0xfff
	v_mul_f32_e32 v2, 0x5f7ffffc, v2
	s_delay_alu instid0(VALU_DEP_1) | instskip(NEXT) | instid1(VALU_DEP_1)
	v_mul_f32_e32 v3, 0x2f800000, v2
	v_trunc_f32_e32 v3, v3
	s_delay_alu instid0(VALU_DEP_1) | instskip(SKIP_1) | instid1(VALU_DEP_2)
	v_fmac_f32_e32 v2, 0xcf800000, v3
	v_cvt_u32_f32_e32 v3, v3
	v_cvt_u32_f32_e32 v2, v2
	s_delay_alu instid0(VALU_DEP_2) | instskip(NEXT) | instid1(VALU_DEP_2)
	v_mul_lo_u32 v5, s0, v3
	v_mul_hi_u32 v9, s0, v2
	v_mul_lo_u32 v11, s42, v2
	s_delay_alu instid0(VALU_DEP_2) | instskip(SKIP_1) | instid1(VALU_DEP_2)
	v_add_nc_u32_e32 v5, v9, v5
	v_mul_lo_u32 v9, s0, v2
	v_add_nc_u32_e32 v5, v5, v11
	s_delay_alu instid0(VALU_DEP_2) | instskip(NEXT) | instid1(VALU_DEP_2)
	v_mul_hi_u32 v11, v2, v9
	v_mul_lo_u32 v12, v2, v5
	v_mul_hi_u32 v13, v2, v5
	v_mul_hi_u32 v14, v3, v9
	v_mul_lo_u32 v9, v3, v9
	v_mul_hi_u32 v15, v3, v5
	v_mul_lo_u32 v5, v3, v5
	v_add_co_u32 v11, vcc_lo, v11, v12
	v_add_co_ci_u32_e32 v12, vcc_lo, 0, v13, vcc_lo
	s_delay_alu instid0(VALU_DEP_2) | instskip(NEXT) | instid1(VALU_DEP_2)
	v_add_co_u32 v9, vcc_lo, v11, v9
	v_add_co_ci_u32_e32 v9, vcc_lo, v12, v14, vcc_lo
	v_add_co_ci_u32_e32 v11, vcc_lo, 0, v15, vcc_lo
	v_ashrrev_i32_e32 v15, 31, v1
	s_delay_alu instid0(VALU_DEP_3) | instskip(NEXT) | instid1(VALU_DEP_3)
	v_add_co_u32 v5, vcc_lo, v9, v5
	v_add_co_ci_u32_e32 v9, vcc_lo, 0, v11, vcc_lo
	s_delay_alu instid0(VALU_DEP_2) | instskip(NEXT) | instid1(VALU_DEP_2)
	v_add_co_u32 v2, vcc_lo, v2, v5
	v_add_co_ci_u32_e32 v3, vcc_lo, v3, v9, vcc_lo
	s_delay_alu instid0(VALU_DEP_2) | instskip(SKIP_1) | instid1(VALU_DEP_3)
	v_mul_hi_u32 v5, s0, v2
	v_mul_lo_u32 v11, s42, v2
	v_mul_lo_u32 v9, s0, v3
	s_delay_alu instid0(VALU_DEP_1) | instskip(SKIP_1) | instid1(VALU_DEP_2)
	v_add_nc_u32_e32 v5, v5, v9
	v_mul_lo_u32 v9, s0, v2
	v_add_nc_u32_e32 v5, v5, v11
	s_delay_alu instid0(VALU_DEP_2) | instskip(NEXT) | instid1(VALU_DEP_2)
	v_mul_hi_u32 v11, v2, v9
	v_mul_lo_u32 v12, v2, v5
	v_mul_hi_u32 v13, v2, v5
	v_mul_hi_u32 v14, v3, v9
	v_mul_lo_u32 v9, v3, v9
	v_mul_hi_u32 v16, v3, v5
	v_mul_lo_u32 v5, v3, v5
	v_add_co_u32 v11, vcc_lo, v11, v12
	v_add_co_ci_u32_e32 v12, vcc_lo, 0, v13, vcc_lo
	s_delay_alu instid0(VALU_DEP_2) | instskip(NEXT) | instid1(VALU_DEP_2)
	v_add_co_u32 v9, vcc_lo, v11, v9
	v_add_co_ci_u32_e32 v9, vcc_lo, v12, v14, vcc_lo
	v_add_co_ci_u32_e32 v11, vcc_lo, 0, v16, vcc_lo
	v_add_co_u32 v12, vcc_lo, v0, v15
	v_add_co_ci_u32_e32 v1, vcc_lo, v1, v15, vcc_lo
	s_delay_alu instid0(VALU_DEP_4) | instskip(NEXT) | instid1(VALU_DEP_4)
	v_add_co_u32 v5, vcc_lo, v9, v5
	v_add_co_ci_u32_e32 v9, vcc_lo, 0, v11, vcc_lo
	s_delay_alu instid0(VALU_DEP_4) | instskip(NEXT) | instid1(VALU_DEP_3)
	v_xor_b32_e32 v16, v12, v15
	v_add_co_u32 v5, vcc_lo, v2, v5
	s_delay_alu instid0(VALU_DEP_3) | instskip(SKIP_1) | instid1(VALU_DEP_3)
	v_add_co_ci_u32_e32 v3, vcc_lo, v3, v9, vcc_lo
	v_xor_b32_e32 v9, v1, v15
	v_mul_hi_u32 v20, v16, v5
	s_delay_alu instid0(VALU_DEP_3) | instskip(NEXT) | instid1(VALU_DEP_3)
	v_mad_u64_u32 v[1:2], null, v16, v3, 0
	v_mad_u64_u32 v[11:12], null, v9, v5, 0
	;; [unrolled: 1-line block ×3, first 2 shown]
	s_delay_alu instid0(VALU_DEP_3) | instskip(NEXT) | instid1(VALU_DEP_4)
	v_add_co_u32 v1, vcc_lo, v20, v1
	v_add_co_ci_u32_e32 v2, vcc_lo, 0, v2, vcc_lo
	s_delay_alu instid0(VALU_DEP_2) | instskip(NEXT) | instid1(VALU_DEP_2)
	v_add_co_u32 v1, vcc_lo, v1, v11
	v_add_co_ci_u32_e32 v1, vcc_lo, v2, v12, vcc_lo
	v_add_co_ci_u32_e32 v2, vcc_lo, 0, v14, vcc_lo
	s_delay_alu instid0(VALU_DEP_2) | instskip(NEXT) | instid1(VALU_DEP_2)
	v_add_co_u32 v3, vcc_lo, v1, v13
	v_add_co_ci_u32_e32 v5, vcc_lo, 0, v2, vcc_lo
	s_delay_alu instid0(VALU_DEP_2) | instskip(SKIP_1) | instid1(VALU_DEP_3)
	v_mul_lo_u32 v11, s25, v3
	v_mad_u64_u32 v[1:2], null, s24, v3, 0
	v_mul_lo_u32 v12, s24, v5
	s_delay_alu instid0(VALU_DEP_2) | instskip(NEXT) | instid1(VALU_DEP_2)
	v_sub_co_u32 v1, vcc_lo, v16, v1
	v_add3_u32 v2, v2, v12, v11
	s_delay_alu instid0(VALU_DEP_1) | instskip(NEXT) | instid1(VALU_DEP_1)
	v_sub_nc_u32_e32 v11, v9, v2
	v_subrev_co_ci_u32_e64 v11, s0, s25, v11, vcc_lo
	v_add_co_u32 v12, s0, v3, 2
	s_delay_alu instid0(VALU_DEP_1) | instskip(SKIP_3) | instid1(VALU_DEP_3)
	v_add_co_ci_u32_e64 v13, s0, 0, v5, s0
	v_sub_co_u32 v14, s0, v1, s24
	v_sub_co_ci_u32_e32 v2, vcc_lo, v9, v2, vcc_lo
	v_subrev_co_ci_u32_e64 v11, s0, 0, v11, s0
	v_cmp_le_u32_e32 vcc_lo, s24, v14
	s_delay_alu instid0(VALU_DEP_3) | instskip(SKIP_1) | instid1(VALU_DEP_4)
	v_cmp_eq_u32_e64 s0, s25, v2
	v_cndmask_b32_e64 v9, 0, -1, vcc_lo
	v_cmp_le_u32_e32 vcc_lo, s25, v11
	v_cndmask_b32_e64 v14, 0, -1, vcc_lo
	v_cmp_le_u32_e32 vcc_lo, s24, v1
	;; [unrolled: 2-line block ×3, first 2 shown]
	v_cndmask_b32_e64 v16, 0, -1, vcc_lo
	v_cmp_eq_u32_e32 vcc_lo, s25, v11
	s_delay_alu instid0(VALU_DEP_2) | instskip(SKIP_3) | instid1(VALU_DEP_3)
	v_cndmask_b32_e64 v1, v16, v1, s0
	v_cndmask_b32_e32 v9, v14, v9, vcc_lo
	v_add_co_u32 v11, vcc_lo, v3, 1
	v_add_co_ci_u32_e32 v14, vcc_lo, 0, v5, vcc_lo
	v_cmp_ne_u32_e32 vcc_lo, 0, v9
	s_delay_alu instid0(VALU_DEP_2) | instskip(SKIP_2) | instid1(VALU_DEP_3)
	v_dual_cndmask_b32 v2, v14, v13 :: v_dual_cndmask_b32 v9, v11, v12
	v_cmp_ne_u32_e32 vcc_lo, 0, v1
	v_xor_b32_e32 v1, s22, v15
	v_dual_cndmask_b32 v2, v5, v2 :: v_dual_cndmask_b32 v3, v3, v9
	v_xor_b32_e32 v5, s23, v15
	s_delay_alu instid0(VALU_DEP_2) | instskip(NEXT) | instid1(VALU_DEP_2)
	v_xor_b32_e32 v3, v3, v1
	v_xor_b32_e32 v9, v2, v5
	s_delay_alu instid0(VALU_DEP_2) | instskip(NEXT) | instid1(VALU_DEP_2)
	v_sub_co_u32 v2, vcc_lo, v3, v1
	v_sub_co_ci_u32_e32 v3, vcc_lo, v9, v5, vcc_lo
.LBB29_24:                              ;   in Loop: Header=BB29_22 Depth=2
	s_and_not1_saveexec_b32 s0, s41
	s_cbranch_execz .LBB29_26
; %bb.25:                               ;   in Loop: Header=BB29_22 Depth=2
	v_cvt_f32_u32_e32 v1, s40
	s_sub_i32 s22, 0, s40
	s_delay_alu instid0(VALU_DEP_1) | instskip(SKIP_2) | instid1(VALU_DEP_1)
	v_rcp_iflag_f32_e32 v1, v1
	s_waitcnt_depctr 0xfff
	v_mul_f32_e32 v1, 0x4f7ffffe, v1
	v_cvt_u32_f32_e32 v1, v1
	s_delay_alu instid0(VALU_DEP_1) | instskip(NEXT) | instid1(VALU_DEP_1)
	v_mul_lo_u32 v2, s22, v1
	v_mul_hi_u32 v2, v1, v2
	s_delay_alu instid0(VALU_DEP_1) | instskip(NEXT) | instid1(VALU_DEP_1)
	v_add_nc_u32_e32 v1, v1, v2
	v_mul_hi_u32 v1, v0, v1
	s_delay_alu instid0(VALU_DEP_1) | instskip(SKIP_1) | instid1(VALU_DEP_2)
	v_mul_lo_u32 v2, v1, s40
	v_add_nc_u32_e32 v3, 1, v1
	v_sub_nc_u32_e32 v2, v0, v2
	s_delay_alu instid0(VALU_DEP_1) | instskip(SKIP_1) | instid1(VALU_DEP_2)
	v_subrev_nc_u32_e32 v5, s40, v2
	v_cmp_le_u32_e32 vcc_lo, s40, v2
	v_dual_cndmask_b32 v2, v2, v5 :: v_dual_cndmask_b32 v1, v1, v3
	s_delay_alu instid0(VALU_DEP_1) | instskip(NEXT) | instid1(VALU_DEP_2)
	v_cmp_le_u32_e32 vcc_lo, s40, v2
	v_add_nc_u32_e32 v3, 1, v1
	s_delay_alu instid0(VALU_DEP_1)
	v_dual_cndmask_b32 v2, v1, v3 :: v_dual_mov_b32 v3, v4
.LBB29_26:                              ;   in Loop: Header=BB29_22 Depth=2
	s_or_b32 exec_lo, exec_lo, s0
	s_add_u32 s24, s31, s18
	s_addc_u32 s25, s33, s19
	s_add_i32 s18, s16, -1
	s_mov_b32 s19, s17
                                        ; implicit-def: $vgpr11_vgpr12
	s_delay_alu instid0(SALU_CYCLE_1) | instskip(NEXT) | instid1(SALU_CYCLE_1)
	s_lshl_b64 s[22:23], s[18:19], 2
	s_add_u32 s18, s27, s22
	s_addc_u32 s19, s28, s23
	s_clause 0x2
	s_load_b32 s43, s[18:19], 0x8
	s_load_b32 s41, s[20:21], 0x6c
	;; [unrolled: 1-line block ×3, first 2 shown]
	s_mov_b32 s20, exec_lo
	s_waitcnt lgkmcnt(0)
	s_ashr_i32 s0, s43, 31
	s_delay_alu instid0(SALU_CYCLE_1) | instskip(NEXT) | instid1(VALU_DEP_1)
	v_or_b32_e32 v5, s0, v3
	v_cmpx_ne_u64_e32 0, v[4:5]
	s_xor_b32 s44, exec_lo, s20
	s_cbranch_execz .LBB29_28
; %bb.27:                               ;   in Loop: Header=BB29_22 Depth=2
	s_add_u32 s24, s43, s0
	s_mov_b32 s20, s0
	s_mov_b32 s21, s0
	s_addc_u32 s25, s0, s0
	v_ashrrev_i32_e32 v20, 31, v3
	s_xor_b64 s[24:25], s[24:25], s[20:21]
	s_delay_alu instid0(SALU_CYCLE_1) | instskip(SKIP_3) | instid1(VALU_DEP_1)
	v_cvt_f32_u32_e32 v1, s24
	v_cvt_f32_u32_e32 v5, s25
	s_sub_u32 s0, 0, s24
	s_subb_u32 s45, 0, s25
	v_fmac_f32_e32 v1, 0x4f800000, v5
	s_delay_alu instid0(VALU_DEP_1) | instskip(SKIP_2) | instid1(VALU_DEP_1)
	v_rcp_f32_e32 v1, v1
	s_waitcnt_depctr 0xfff
	v_mul_f32_e32 v1, 0x5f7ffffc, v1
	v_mul_f32_e32 v5, 0x2f800000, v1
	s_delay_alu instid0(VALU_DEP_1) | instskip(NEXT) | instid1(VALU_DEP_1)
	v_trunc_f32_e32 v5, v5
	v_fmac_f32_e32 v1, 0xcf800000, v5
	v_cvt_u32_f32_e32 v5, v5
	s_delay_alu instid0(VALU_DEP_2) | instskip(NEXT) | instid1(VALU_DEP_2)
	v_cvt_u32_f32_e32 v1, v1
	v_mul_lo_u32 v9, s0, v5
	s_delay_alu instid0(VALU_DEP_2) | instskip(SKIP_1) | instid1(VALU_DEP_2)
	v_mul_hi_u32 v11, s0, v1
	v_mul_lo_u32 v12, s45, v1
	v_add_nc_u32_e32 v9, v11, v9
	v_mul_lo_u32 v11, s0, v1
	s_delay_alu instid0(VALU_DEP_2) | instskip(NEXT) | instid1(VALU_DEP_2)
	v_add_nc_u32_e32 v9, v9, v12
	v_mul_hi_u32 v12, v1, v11
	s_delay_alu instid0(VALU_DEP_2)
	v_mul_lo_u32 v13, v1, v9
	v_mul_hi_u32 v14, v1, v9
	v_mul_hi_u32 v15, v5, v11
	v_mul_lo_u32 v11, v5, v11
	v_mul_hi_u32 v16, v5, v9
	v_mul_lo_u32 v9, v5, v9
	v_add_co_u32 v12, vcc_lo, v12, v13
	v_add_co_ci_u32_e32 v13, vcc_lo, 0, v14, vcc_lo
	s_delay_alu instid0(VALU_DEP_2) | instskip(NEXT) | instid1(VALU_DEP_2)
	v_add_co_u32 v11, vcc_lo, v12, v11
	v_add_co_ci_u32_e32 v11, vcc_lo, v13, v15, vcc_lo
	v_add_co_ci_u32_e32 v12, vcc_lo, 0, v16, vcc_lo
	s_delay_alu instid0(VALU_DEP_2) | instskip(NEXT) | instid1(VALU_DEP_2)
	v_add_co_u32 v9, vcc_lo, v11, v9
	v_add_co_ci_u32_e32 v11, vcc_lo, 0, v12, vcc_lo
	s_delay_alu instid0(VALU_DEP_2) | instskip(NEXT) | instid1(VALU_DEP_2)
	v_add_co_u32 v1, vcc_lo, v1, v9
	v_add_co_ci_u32_e32 v5, vcc_lo, v5, v11, vcc_lo
	s_delay_alu instid0(VALU_DEP_2) | instskip(SKIP_1) | instid1(VALU_DEP_3)
	v_mul_hi_u32 v9, s0, v1
	v_mul_lo_u32 v12, s45, v1
	v_mul_lo_u32 v11, s0, v5
	s_delay_alu instid0(VALU_DEP_1) | instskip(SKIP_1) | instid1(VALU_DEP_2)
	v_add_nc_u32_e32 v9, v9, v11
	v_mul_lo_u32 v11, s0, v1
	v_add_nc_u32_e32 v9, v9, v12
	s_delay_alu instid0(VALU_DEP_2) | instskip(NEXT) | instid1(VALU_DEP_2)
	v_mul_hi_u32 v12, v1, v11
	v_mul_lo_u32 v13, v1, v9
	v_mul_hi_u32 v14, v1, v9
	v_mul_hi_u32 v15, v5, v11
	v_mul_lo_u32 v11, v5, v11
	v_mul_hi_u32 v16, v5, v9
	v_mul_lo_u32 v9, v5, v9
	v_add_co_u32 v12, vcc_lo, v12, v13
	v_add_co_ci_u32_e32 v13, vcc_lo, 0, v14, vcc_lo
	s_delay_alu instid0(VALU_DEP_2) | instskip(NEXT) | instid1(VALU_DEP_2)
	v_add_co_u32 v11, vcc_lo, v12, v11
	v_add_co_ci_u32_e32 v11, vcc_lo, v13, v15, vcc_lo
	v_add_co_ci_u32_e32 v12, vcc_lo, 0, v16, vcc_lo
	v_add_co_u32 v13, vcc_lo, v2, v20
	v_add_co_ci_u32_e32 v3, vcc_lo, v3, v20, vcc_lo
	s_delay_alu instid0(VALU_DEP_4) | instskip(NEXT) | instid1(VALU_DEP_4)
	v_add_co_u32 v9, vcc_lo, v11, v9
	v_add_co_ci_u32_e32 v11, vcc_lo, 0, v12, vcc_lo
	s_delay_alu instid0(VALU_DEP_4) | instskip(NEXT) | instid1(VALU_DEP_3)
	v_xor_b32_e32 v21, v13, v20
	v_add_co_u32 v1, vcc_lo, v1, v9
	s_delay_alu instid0(VALU_DEP_3) | instskip(SKIP_1) | instid1(VALU_DEP_3)
	v_add_co_ci_u32_e32 v5, vcc_lo, v5, v11, vcc_lo
	v_xor_b32_e32 v3, v3, v20
	v_mul_hi_u32 v9, v21, v1
	s_delay_alu instid0(VALU_DEP_3) | instskip(NEXT) | instid1(VALU_DEP_3)
	v_mad_u64_u32 v[11:12], null, v21, v5, 0
	v_mad_u64_u32 v[13:14], null, v3, v1, 0
	;; [unrolled: 1-line block ×3, first 2 shown]
	s_delay_alu instid0(VALU_DEP_3) | instskip(NEXT) | instid1(VALU_DEP_4)
	v_add_co_u32 v1, vcc_lo, v9, v11
	v_add_co_ci_u32_e32 v5, vcc_lo, 0, v12, vcc_lo
	s_delay_alu instid0(VALU_DEP_2) | instskip(NEXT) | instid1(VALU_DEP_2)
	v_add_co_u32 v1, vcc_lo, v1, v13
	v_add_co_ci_u32_e32 v1, vcc_lo, v5, v14, vcc_lo
	v_add_co_ci_u32_e32 v5, vcc_lo, 0, v16, vcc_lo
	s_delay_alu instid0(VALU_DEP_2) | instskip(NEXT) | instid1(VALU_DEP_2)
	v_add_co_u32 v1, vcc_lo, v1, v15
	v_add_co_ci_u32_e32 v5, vcc_lo, 0, v5, vcc_lo
	s_delay_alu instid0(VALU_DEP_2) | instskip(SKIP_1) | instid1(VALU_DEP_3)
	v_mul_lo_u32 v9, s25, v1
	v_mad_u64_u32 v[11:12], null, s24, v1, 0
	v_mul_lo_u32 v13, s24, v5
	s_delay_alu instid0(VALU_DEP_2) | instskip(NEXT) | instid1(VALU_DEP_2)
	v_sub_co_u32 v11, vcc_lo, v21, v11
	v_add3_u32 v9, v12, v13, v9
	s_delay_alu instid0(VALU_DEP_1) | instskip(NEXT) | instid1(VALU_DEP_1)
	v_sub_nc_u32_e32 v12, v3, v9
	v_subrev_co_ci_u32_e64 v12, s0, s25, v12, vcc_lo
	v_add_co_u32 v13, s0, v1, 2
	s_delay_alu instid0(VALU_DEP_1) | instskip(SKIP_3) | instid1(VALU_DEP_3)
	v_add_co_ci_u32_e64 v14, s0, 0, v5, s0
	v_sub_co_u32 v15, s0, v11, s24
	v_sub_co_ci_u32_e32 v3, vcc_lo, v3, v9, vcc_lo
	v_subrev_co_ci_u32_e64 v12, s0, 0, v12, s0
	v_cmp_le_u32_e32 vcc_lo, s24, v15
	s_delay_alu instid0(VALU_DEP_3) | instskip(SKIP_1) | instid1(VALU_DEP_4)
	v_cmp_eq_u32_e64 s0, s25, v3
	v_cndmask_b32_e64 v9, 0, -1, vcc_lo
	v_cmp_le_u32_e32 vcc_lo, s25, v12
	v_cndmask_b32_e64 v15, 0, -1, vcc_lo
	v_cmp_le_u32_e32 vcc_lo, s24, v11
	;; [unrolled: 2-line block ×3, first 2 shown]
	v_cndmask_b32_e64 v16, 0, -1, vcc_lo
	v_cmp_eq_u32_e32 vcc_lo, s25, v12
	s_delay_alu instid0(VALU_DEP_2) | instskip(SKIP_3) | instid1(VALU_DEP_3)
	v_cndmask_b32_e64 v3, v16, v11, s0
	v_cndmask_b32_e32 v9, v15, v9, vcc_lo
	v_add_co_u32 v12, vcc_lo, v1, 1
	v_add_co_ci_u32_e32 v15, vcc_lo, 0, v5, vcc_lo
	v_cmp_ne_u32_e32 vcc_lo, 0, v9
	s_delay_alu instid0(VALU_DEP_2) | instskip(NEXT) | instid1(VALU_DEP_4)
	v_cndmask_b32_e32 v9, v15, v14, vcc_lo
	v_cndmask_b32_e32 v11, v12, v13, vcc_lo
	v_cmp_ne_u32_e32 vcc_lo, 0, v3
	v_xor_b32_e32 v3, s20, v20
	s_delay_alu instid0(VALU_DEP_3) | instskip(SKIP_2) | instid1(VALU_DEP_3)
	v_cndmask_b32_e32 v1, v1, v11, vcc_lo
	v_cndmask_b32_e32 v5, v5, v9, vcc_lo
	v_xor_b32_e32 v9, s21, v20
	v_xor_b32_e32 v1, v1, v3
	s_delay_alu instid0(VALU_DEP_2) | instskip(NEXT) | instid1(VALU_DEP_2)
	v_xor_b32_e32 v5, v5, v9
	v_sub_co_u32 v11, vcc_lo, v1, v3
	s_delay_alu instid0(VALU_DEP_2)
	v_sub_co_ci_u32_e32 v12, vcc_lo, v5, v9, vcc_lo
.LBB29_28:                              ;   in Loop: Header=BB29_22 Depth=2
	s_and_not1_saveexec_b32 s0, s44
	s_cbranch_execz .LBB29_30
; %bb.29:                               ;   in Loop: Header=BB29_22 Depth=2
	v_cvt_f32_u32_e32 v1, s43
	s_sub_i32 s20, 0, s43
	v_mov_b32_e32 v12, v4
	s_delay_alu instid0(VALU_DEP_2) | instskip(SKIP_2) | instid1(VALU_DEP_1)
	v_rcp_iflag_f32_e32 v1, v1
	s_waitcnt_depctr 0xfff
	v_mul_f32_e32 v1, 0x4f7ffffe, v1
	v_cvt_u32_f32_e32 v1, v1
	s_delay_alu instid0(VALU_DEP_1) | instskip(NEXT) | instid1(VALU_DEP_1)
	v_mul_lo_u32 v3, s20, v1
	v_mul_hi_u32 v3, v1, v3
	s_delay_alu instid0(VALU_DEP_1) | instskip(NEXT) | instid1(VALU_DEP_1)
	v_add_nc_u32_e32 v1, v1, v3
	v_mul_hi_u32 v1, v2, v1
	s_delay_alu instid0(VALU_DEP_1) | instskip(SKIP_1) | instid1(VALU_DEP_2)
	v_mul_lo_u32 v3, v1, s43
	v_add_nc_u32_e32 v5, 1, v1
	v_sub_nc_u32_e32 v3, v2, v3
	s_delay_alu instid0(VALU_DEP_1) | instskip(SKIP_1) | instid1(VALU_DEP_2)
	v_subrev_nc_u32_e32 v9, s43, v3
	v_cmp_le_u32_e32 vcc_lo, s43, v3
	v_cndmask_b32_e32 v3, v3, v9, vcc_lo
	v_cndmask_b32_e32 v1, v1, v5, vcc_lo
	s_delay_alu instid0(VALU_DEP_2) | instskip(NEXT) | instid1(VALU_DEP_2)
	v_cmp_le_u32_e32 vcc_lo, s43, v3
	v_add_nc_u32_e32 v5, 1, v1
	s_delay_alu instid0(VALU_DEP_1)
	v_cndmask_b32_e32 v11, v1, v5, vcc_lo
.LBB29_30:                              ;   in Loop: Header=BB29_22 Depth=2
	s_or_b32 exec_lo, exec_lo, s0
	s_add_u32 s24, s31, s22
	s_addc_u32 s25, s33, s23
	s_add_i32 s20, s16, -2
	s_mov_b32 s21, s17
                                        ; implicit-def: $vgpr13_vgpr14
	s_delay_alu instid0(SALU_CYCLE_1) | instskip(NEXT) | instid1(SALU_CYCLE_1)
	s_lshl_b64 s[20:21], s[20:21], 2
	s_add_u32 s22, s27, s20
	s_addc_u32 s23, s28, s21
	s_clause 0x2
	s_load_b32 s46, s[22:23], 0x8
	s_load_b32 s44, s[18:19], 0x6c
	;; [unrolled: 1-line block ×3, first 2 shown]
	s_mov_b32 s18, exec_lo
	s_waitcnt lgkmcnt(0)
	s_ashr_i32 s0, s46, 31
	s_delay_alu instid0(SALU_CYCLE_1) | instskip(NEXT) | instid1(VALU_DEP_1)
	v_or_b32_e32 v5, s0, v12
	v_cmpx_ne_u64_e32 0, v[4:5]
	s_xor_b32 s47, exec_lo, s18
	s_cbranch_execz .LBB29_32
; %bb.31:                               ;   in Loop: Header=BB29_22 Depth=2
	s_add_u32 s24, s46, s0
	s_mov_b32 s18, s0
	s_mov_b32 s19, s0
	s_addc_u32 s25, s0, s0
	s_delay_alu instid0(SALU_CYCLE_1) | instskip(NEXT) | instid1(SALU_CYCLE_1)
	s_xor_b64 s[24:25], s[24:25], s[18:19]
	v_cvt_f32_u32_e32 v1, s24
	v_cvt_f32_u32_e32 v3, s25
	s_sub_u32 s0, 0, s24
	s_subb_u32 s48, 0, s25
	s_delay_alu instid0(VALU_DEP_1) | instskip(NEXT) | instid1(VALU_DEP_1)
	v_fmac_f32_e32 v1, 0x4f800000, v3
	v_rcp_f32_e32 v1, v1
	s_waitcnt_depctr 0xfff
	v_mul_f32_e32 v1, 0x5f7ffffc, v1
	s_delay_alu instid0(VALU_DEP_1) | instskip(NEXT) | instid1(VALU_DEP_1)
	v_mul_f32_e32 v3, 0x2f800000, v1
	v_trunc_f32_e32 v3, v3
	s_delay_alu instid0(VALU_DEP_1) | instskip(SKIP_1) | instid1(VALU_DEP_2)
	v_fmac_f32_e32 v1, 0xcf800000, v3
	v_cvt_u32_f32_e32 v3, v3
	v_cvt_u32_f32_e32 v1, v1
	s_delay_alu instid0(VALU_DEP_2) | instskip(NEXT) | instid1(VALU_DEP_2)
	v_mul_lo_u32 v5, s0, v3
	v_mul_hi_u32 v9, s0, v1
	v_mul_lo_u32 v13, s48, v1
	s_delay_alu instid0(VALU_DEP_2) | instskip(SKIP_1) | instid1(VALU_DEP_2)
	v_add_nc_u32_e32 v5, v9, v5
	v_mul_lo_u32 v9, s0, v1
	v_add_nc_u32_e32 v5, v5, v13
	s_delay_alu instid0(VALU_DEP_2) | instskip(NEXT) | instid1(VALU_DEP_2)
	v_mul_hi_u32 v13, v1, v9
	v_mul_lo_u32 v14, v1, v5
	v_mul_hi_u32 v15, v1, v5
	v_mul_hi_u32 v16, v3, v9
	v_mul_lo_u32 v9, v3, v9
	v_mul_hi_u32 v20, v3, v5
	v_mul_lo_u32 v5, v3, v5
	v_add_co_u32 v13, vcc_lo, v13, v14
	v_add_co_ci_u32_e32 v14, vcc_lo, 0, v15, vcc_lo
	s_delay_alu instid0(VALU_DEP_2) | instskip(NEXT) | instid1(VALU_DEP_2)
	v_add_co_u32 v9, vcc_lo, v13, v9
	v_add_co_ci_u32_e32 v9, vcc_lo, v14, v16, vcc_lo
	v_add_co_ci_u32_e32 v13, vcc_lo, 0, v20, vcc_lo
	v_ashrrev_i32_e32 v16, 31, v12
	s_delay_alu instid0(VALU_DEP_3) | instskip(NEXT) | instid1(VALU_DEP_3)
	v_add_co_u32 v5, vcc_lo, v9, v5
	v_add_co_ci_u32_e32 v9, vcc_lo, 0, v13, vcc_lo
	s_delay_alu instid0(VALU_DEP_2) | instskip(NEXT) | instid1(VALU_DEP_2)
	v_add_co_u32 v1, vcc_lo, v1, v5
	v_add_co_ci_u32_e32 v3, vcc_lo, v3, v9, vcc_lo
	s_delay_alu instid0(VALU_DEP_2) | instskip(SKIP_1) | instid1(VALU_DEP_3)
	v_mul_hi_u32 v5, s0, v1
	v_mul_lo_u32 v13, s48, v1
	v_mul_lo_u32 v9, s0, v3
	s_delay_alu instid0(VALU_DEP_1) | instskip(SKIP_1) | instid1(VALU_DEP_2)
	v_add_nc_u32_e32 v5, v5, v9
	v_mul_lo_u32 v9, s0, v1
	v_add_nc_u32_e32 v5, v5, v13
	s_delay_alu instid0(VALU_DEP_2) | instskip(NEXT) | instid1(VALU_DEP_2)
	v_mul_hi_u32 v13, v1, v9
	v_mul_lo_u32 v14, v1, v5
	v_mul_hi_u32 v15, v1, v5
	v_mul_hi_u32 v20, v3, v9
	v_mul_lo_u32 v9, v3, v9
	v_mul_hi_u32 v21, v3, v5
	v_mul_lo_u32 v5, v3, v5
	v_add_co_u32 v13, vcc_lo, v13, v14
	v_add_co_ci_u32_e32 v14, vcc_lo, 0, v15, vcc_lo
	s_delay_alu instid0(VALU_DEP_2) | instskip(NEXT) | instid1(VALU_DEP_2)
	v_add_co_u32 v9, vcc_lo, v13, v9
	v_add_co_ci_u32_e32 v9, vcc_lo, v14, v20, vcc_lo
	v_add_co_ci_u32_e32 v13, vcc_lo, 0, v21, vcc_lo
	v_add_co_u32 v14, vcc_lo, v11, v16
	v_add_co_ci_u32_e32 v12, vcc_lo, v12, v16, vcc_lo
	s_delay_alu instid0(VALU_DEP_4) | instskip(NEXT) | instid1(VALU_DEP_4)
	v_add_co_u32 v5, vcc_lo, v9, v5
	v_add_co_ci_u32_e32 v9, vcc_lo, 0, v13, vcc_lo
	s_delay_alu instid0(VALU_DEP_4) | instskip(NEXT) | instid1(VALU_DEP_3)
	v_xor_b32_e32 v22, v14, v16
	v_add_co_u32 v1, vcc_lo, v1, v5
	s_delay_alu instid0(VALU_DEP_3) | instskip(SKIP_1) | instid1(VALU_DEP_3)
	v_add_co_ci_u32_e32 v3, vcc_lo, v3, v9, vcc_lo
	v_xor_b32_e32 v5, v12, v16
	v_mul_hi_u32 v9, v22, v1
	s_delay_alu instid0(VALU_DEP_3) | instskip(NEXT) | instid1(VALU_DEP_3)
	v_mad_u64_u32 v[12:13], null, v22, v3, 0
	v_mad_u64_u32 v[14:15], null, v5, v1, 0
	;; [unrolled: 1-line block ×3, first 2 shown]
	s_delay_alu instid0(VALU_DEP_3) | instskip(NEXT) | instid1(VALU_DEP_4)
	v_add_co_u32 v1, vcc_lo, v9, v12
	v_add_co_ci_u32_e32 v3, vcc_lo, 0, v13, vcc_lo
	s_delay_alu instid0(VALU_DEP_2) | instskip(NEXT) | instid1(VALU_DEP_2)
	v_add_co_u32 v1, vcc_lo, v1, v14
	v_add_co_ci_u32_e32 v1, vcc_lo, v3, v15, vcc_lo
	v_add_co_ci_u32_e32 v3, vcc_lo, 0, v21, vcc_lo
	s_delay_alu instid0(VALU_DEP_2) | instskip(NEXT) | instid1(VALU_DEP_2)
	v_add_co_u32 v1, vcc_lo, v1, v20
	v_add_co_ci_u32_e32 v3, vcc_lo, 0, v3, vcc_lo
	s_delay_alu instid0(VALU_DEP_2) | instskip(SKIP_1) | instid1(VALU_DEP_3)
	v_mul_lo_u32 v9, s25, v1
	v_mad_u64_u32 v[12:13], null, s24, v1, 0
	v_mul_lo_u32 v14, s24, v3
	s_delay_alu instid0(VALU_DEP_2) | instskip(NEXT) | instid1(VALU_DEP_2)
	v_sub_co_u32 v12, vcc_lo, v22, v12
	v_add3_u32 v9, v13, v14, v9
	s_delay_alu instid0(VALU_DEP_1) | instskip(NEXT) | instid1(VALU_DEP_1)
	v_sub_nc_u32_e32 v13, v5, v9
	v_subrev_co_ci_u32_e64 v13, s0, s25, v13, vcc_lo
	v_add_co_u32 v14, s0, v1, 2
	s_delay_alu instid0(VALU_DEP_1) | instskip(SKIP_3) | instid1(VALU_DEP_3)
	v_add_co_ci_u32_e64 v15, s0, 0, v3, s0
	v_sub_co_u32 v20, s0, v12, s24
	v_sub_co_ci_u32_e32 v5, vcc_lo, v5, v9, vcc_lo
	v_subrev_co_ci_u32_e64 v13, s0, 0, v13, s0
	v_cmp_le_u32_e32 vcc_lo, s24, v20
	s_delay_alu instid0(VALU_DEP_3) | instskip(SKIP_1) | instid1(VALU_DEP_4)
	v_cmp_eq_u32_e64 s0, s25, v5
	v_cndmask_b32_e64 v9, 0, -1, vcc_lo
	v_cmp_le_u32_e32 vcc_lo, s25, v13
	v_cndmask_b32_e64 v20, 0, -1, vcc_lo
	v_cmp_le_u32_e32 vcc_lo, s24, v12
	;; [unrolled: 2-line block ×3, first 2 shown]
	v_cndmask_b32_e64 v21, 0, -1, vcc_lo
	v_cmp_eq_u32_e32 vcc_lo, s25, v13
	s_delay_alu instid0(VALU_DEP_2) | instskip(SKIP_3) | instid1(VALU_DEP_3)
	v_cndmask_b32_e64 v5, v21, v12, s0
	v_cndmask_b32_e32 v9, v20, v9, vcc_lo
	v_add_co_u32 v13, vcc_lo, v1, 1
	v_add_co_ci_u32_e32 v20, vcc_lo, 0, v3, vcc_lo
	v_cmp_ne_u32_e32 vcc_lo, 0, v9
	s_delay_alu instid0(VALU_DEP_2) | instskip(SKIP_2) | instid1(VALU_DEP_3)
	v_dual_cndmask_b32 v12, v13, v14 :: v_dual_cndmask_b32 v9, v20, v15
	v_cmp_ne_u32_e32 vcc_lo, 0, v5
	v_xor_b32_e32 v5, s18, v16
	v_cndmask_b32_e32 v1, v1, v12, vcc_lo
	s_delay_alu instid0(VALU_DEP_4) | instskip(SKIP_1) | instid1(VALU_DEP_3)
	v_cndmask_b32_e32 v3, v3, v9, vcc_lo
	v_xor_b32_e32 v9, s19, v16
	v_xor_b32_e32 v1, v1, v5
	s_delay_alu instid0(VALU_DEP_2) | instskip(NEXT) | instid1(VALU_DEP_2)
	v_xor_b32_e32 v3, v3, v9
	v_sub_co_u32 v13, vcc_lo, v1, v5
	s_delay_alu instid0(VALU_DEP_2)
	v_sub_co_ci_u32_e32 v14, vcc_lo, v3, v9, vcc_lo
.LBB29_32:                              ;   in Loop: Header=BB29_22 Depth=2
	s_and_not1_saveexec_b32 s0, s47
	s_cbranch_execz .LBB29_34
; %bb.33:                               ;   in Loop: Header=BB29_22 Depth=2
	v_cvt_f32_u32_e32 v1, s46
	s_sub_i32 s18, 0, s46
	v_mov_b32_e32 v14, v4
	s_delay_alu instid0(VALU_DEP_2) | instskip(SKIP_2) | instid1(VALU_DEP_1)
	v_rcp_iflag_f32_e32 v1, v1
	s_waitcnt_depctr 0xfff
	v_mul_f32_e32 v1, 0x4f7ffffe, v1
	v_cvt_u32_f32_e32 v1, v1
	s_delay_alu instid0(VALU_DEP_1) | instskip(NEXT) | instid1(VALU_DEP_1)
	v_mul_lo_u32 v3, s18, v1
	v_mul_hi_u32 v3, v1, v3
	s_delay_alu instid0(VALU_DEP_1) | instskip(NEXT) | instid1(VALU_DEP_1)
	v_add_nc_u32_e32 v1, v1, v3
	v_mul_hi_u32 v1, v11, v1
	s_delay_alu instid0(VALU_DEP_1) | instskip(SKIP_1) | instid1(VALU_DEP_2)
	v_mul_lo_u32 v3, v1, s46
	v_add_nc_u32_e32 v5, 1, v1
	v_sub_nc_u32_e32 v3, v11, v3
	s_delay_alu instid0(VALU_DEP_1) | instskip(SKIP_1) | instid1(VALU_DEP_2)
	v_subrev_nc_u32_e32 v9, s46, v3
	v_cmp_le_u32_e32 vcc_lo, s46, v3
	v_cndmask_b32_e32 v3, v3, v9, vcc_lo
	v_cndmask_b32_e32 v1, v1, v5, vcc_lo
	s_delay_alu instid0(VALU_DEP_2) | instskip(NEXT) | instid1(VALU_DEP_2)
	v_cmp_le_u32_e32 vcc_lo, s46, v3
	v_add_nc_u32_e32 v5, 1, v1
	s_delay_alu instid0(VALU_DEP_1)
	v_cndmask_b32_e32 v13, v1, v5, vcc_lo
.LBB29_34:                              ;   in Loop: Header=BB29_22 Depth=2
	s_or_b32 exec_lo, exec_lo, s0
	s_add_u32 s24, s31, s20
	s_addc_u32 s25, s33, s21
	s_add_i32 s18, s16, -3
	s_mov_b32 s19, s17
                                        ; implicit-def: $vgpr15_vgpr16
	s_delay_alu instid0(SALU_CYCLE_1) | instskip(NEXT) | instid1(SALU_CYCLE_1)
	s_lshl_b64 s[20:21], s[18:19], 2
	s_add_u32 s18, s27, s20
	s_addc_u32 s19, s28, s21
	s_clause 0x2
	s_load_b32 s49, s[18:19], 0x8
	s_load_b32 s47, s[22:23], 0x6c
	s_load_b32 s48, s[24:25], 0x0
	s_mov_b32 s22, exec_lo
	s_waitcnt lgkmcnt(0)
	s_ashr_i32 s0, s49, 31
	s_delay_alu instid0(SALU_CYCLE_1) | instskip(NEXT) | instid1(VALU_DEP_1)
	v_or_b32_e32 v5, s0, v14
	v_cmpx_ne_u64_e32 0, v[4:5]
	s_xor_b32 s50, exec_lo, s22
	s_cbranch_execz .LBB29_36
; %bb.35:                               ;   in Loop: Header=BB29_22 Depth=2
	s_add_u32 s24, s49, s0
	s_mov_b32 s22, s0
	s_mov_b32 s23, s0
	s_addc_u32 s25, s0, s0
	v_ashrrev_i32_e32 v24, 31, v14
	s_xor_b64 s[24:25], s[24:25], s[22:23]
	s_delay_alu instid0(SALU_CYCLE_1) | instskip(SKIP_3) | instid1(VALU_DEP_1)
	v_cvt_f32_u32_e32 v1, s24
	v_cvt_f32_u32_e32 v3, s25
	s_sub_u32 s0, 0, s24
	s_subb_u32 s51, 0, s25
	v_fmac_f32_e32 v1, 0x4f800000, v3
	s_delay_alu instid0(VALU_DEP_1) | instskip(SKIP_2) | instid1(VALU_DEP_1)
	v_rcp_f32_e32 v1, v1
	s_waitcnt_depctr 0xfff
	v_mul_f32_e32 v1, 0x5f7ffffc, v1
	v_mul_f32_e32 v3, 0x2f800000, v1
	s_delay_alu instid0(VALU_DEP_1) | instskip(NEXT) | instid1(VALU_DEP_1)
	v_trunc_f32_e32 v3, v3
	v_fmac_f32_e32 v1, 0xcf800000, v3
	v_cvt_u32_f32_e32 v3, v3
	s_delay_alu instid0(VALU_DEP_2) | instskip(NEXT) | instid1(VALU_DEP_2)
	v_cvt_u32_f32_e32 v1, v1
	v_mul_lo_u32 v5, s0, v3
	s_delay_alu instid0(VALU_DEP_2) | instskip(SKIP_1) | instid1(VALU_DEP_2)
	v_mul_hi_u32 v9, s0, v1
	v_mul_lo_u32 v12, s51, v1
	v_add_nc_u32_e32 v5, v9, v5
	v_mul_lo_u32 v9, s0, v1
	s_delay_alu instid0(VALU_DEP_2) | instskip(NEXT) | instid1(VALU_DEP_2)
	v_add_nc_u32_e32 v5, v5, v12
	v_mul_hi_u32 v12, v1, v9
	s_delay_alu instid0(VALU_DEP_2)
	v_mul_lo_u32 v15, v1, v5
	v_mul_hi_u32 v16, v1, v5
	v_mul_hi_u32 v20, v3, v9
	v_mul_lo_u32 v9, v3, v9
	v_mul_hi_u32 v21, v3, v5
	v_mul_lo_u32 v5, v3, v5
	v_add_co_u32 v12, vcc_lo, v12, v15
	v_add_co_ci_u32_e32 v15, vcc_lo, 0, v16, vcc_lo
	s_delay_alu instid0(VALU_DEP_2) | instskip(NEXT) | instid1(VALU_DEP_2)
	v_add_co_u32 v9, vcc_lo, v12, v9
	v_add_co_ci_u32_e32 v9, vcc_lo, v15, v20, vcc_lo
	v_add_co_ci_u32_e32 v12, vcc_lo, 0, v21, vcc_lo
	s_delay_alu instid0(VALU_DEP_2) | instskip(NEXT) | instid1(VALU_DEP_2)
	v_add_co_u32 v5, vcc_lo, v9, v5
	v_add_co_ci_u32_e32 v9, vcc_lo, 0, v12, vcc_lo
	s_delay_alu instid0(VALU_DEP_2) | instskip(NEXT) | instid1(VALU_DEP_2)
	v_add_co_u32 v1, vcc_lo, v1, v5
	v_add_co_ci_u32_e32 v3, vcc_lo, v3, v9, vcc_lo
	s_delay_alu instid0(VALU_DEP_2) | instskip(SKIP_1) | instid1(VALU_DEP_3)
	v_mul_hi_u32 v5, s0, v1
	v_mul_lo_u32 v12, s51, v1
	v_mul_lo_u32 v9, s0, v3
	s_delay_alu instid0(VALU_DEP_1) | instskip(SKIP_1) | instid1(VALU_DEP_2)
	v_add_nc_u32_e32 v5, v5, v9
	v_mul_lo_u32 v9, s0, v1
	v_add_nc_u32_e32 v5, v5, v12
	s_delay_alu instid0(VALU_DEP_2) | instskip(NEXT) | instid1(VALU_DEP_2)
	v_mul_hi_u32 v12, v1, v9
	v_mul_lo_u32 v15, v1, v5
	v_mul_hi_u32 v16, v1, v5
	v_mul_hi_u32 v20, v3, v9
	v_mul_lo_u32 v9, v3, v9
	v_mul_hi_u32 v21, v3, v5
	v_mul_lo_u32 v5, v3, v5
	v_add_co_u32 v12, vcc_lo, v12, v15
	v_add_co_ci_u32_e32 v15, vcc_lo, 0, v16, vcc_lo
	s_delay_alu instid0(VALU_DEP_2) | instskip(NEXT) | instid1(VALU_DEP_2)
	v_add_co_u32 v9, vcc_lo, v12, v9
	v_add_co_ci_u32_e32 v9, vcc_lo, v15, v20, vcc_lo
	v_add_co_ci_u32_e32 v12, vcc_lo, 0, v21, vcc_lo
	v_add_co_u32 v15, vcc_lo, v13, v24
	v_add_co_ci_u32_e32 v14, vcc_lo, v14, v24, vcc_lo
	s_delay_alu instid0(VALU_DEP_4) | instskip(NEXT) | instid1(VALU_DEP_4)
	v_add_co_u32 v5, vcc_lo, v9, v5
	v_add_co_ci_u32_e32 v9, vcc_lo, 0, v12, vcc_lo
	s_delay_alu instid0(VALU_DEP_4) | instskip(NEXT) | instid1(VALU_DEP_3)
	v_xor_b32_e32 v12, v15, v24
	v_add_co_u32 v1, vcc_lo, v1, v5
	s_delay_alu instid0(VALU_DEP_3) | instskip(SKIP_1) | instid1(VALU_DEP_3)
	v_add_co_ci_u32_e32 v3, vcc_lo, v3, v9, vcc_lo
	v_xor_b32_e32 v5, v14, v24
	v_mul_hi_u32 v9, v12, v1
	s_delay_alu instid0(VALU_DEP_3) | instskip(NEXT) | instid1(VALU_DEP_3)
	v_mad_u64_u32 v[14:15], null, v12, v3, 0
	v_mad_u64_u32 v[20:21], null, v5, v1, 0
	;; [unrolled: 1-line block ×3, first 2 shown]
	s_delay_alu instid0(VALU_DEP_3) | instskip(NEXT) | instid1(VALU_DEP_4)
	v_add_co_u32 v1, vcc_lo, v9, v14
	v_add_co_ci_u32_e32 v3, vcc_lo, 0, v15, vcc_lo
	s_delay_alu instid0(VALU_DEP_2) | instskip(NEXT) | instid1(VALU_DEP_2)
	v_add_co_u32 v1, vcc_lo, v1, v20
	v_add_co_ci_u32_e32 v1, vcc_lo, v3, v21, vcc_lo
	v_add_co_ci_u32_e32 v3, vcc_lo, 0, v23, vcc_lo
	s_delay_alu instid0(VALU_DEP_2) | instskip(NEXT) | instid1(VALU_DEP_2)
	v_add_co_u32 v1, vcc_lo, v1, v22
	v_add_co_ci_u32_e32 v3, vcc_lo, 0, v3, vcc_lo
	s_delay_alu instid0(VALU_DEP_2) | instskip(SKIP_1) | instid1(VALU_DEP_3)
	v_mul_lo_u32 v9, s25, v1
	v_mad_u64_u32 v[14:15], null, s24, v1, 0
	v_mul_lo_u32 v16, s24, v3
	s_delay_alu instid0(VALU_DEP_2) | instskip(NEXT) | instid1(VALU_DEP_2)
	v_sub_co_u32 v12, vcc_lo, v12, v14
	v_add3_u32 v9, v15, v16, v9
	s_delay_alu instid0(VALU_DEP_1) | instskip(NEXT) | instid1(VALU_DEP_1)
	v_sub_nc_u32_e32 v15, v5, v9
	v_subrev_co_ci_u32_e64 v14, s0, s25, v15, vcc_lo
	v_add_co_u32 v15, s0, v1, 2
	s_delay_alu instid0(VALU_DEP_1) | instskip(SKIP_3) | instid1(VALU_DEP_3)
	v_add_co_ci_u32_e64 v16, s0, 0, v3, s0
	v_sub_co_u32 v20, s0, v12, s24
	v_sub_co_ci_u32_e32 v5, vcc_lo, v5, v9, vcc_lo
	v_subrev_co_ci_u32_e64 v14, s0, 0, v14, s0
	v_cmp_le_u32_e32 vcc_lo, s24, v20
	s_delay_alu instid0(VALU_DEP_3) | instskip(SKIP_1) | instid1(VALU_DEP_4)
	v_cmp_eq_u32_e64 s0, s25, v5
	v_cndmask_b32_e64 v9, 0, -1, vcc_lo
	v_cmp_le_u32_e32 vcc_lo, s25, v14
	v_cndmask_b32_e64 v20, 0, -1, vcc_lo
	v_cmp_le_u32_e32 vcc_lo, s24, v12
	v_cndmask_b32_e64 v12, 0, -1, vcc_lo
	v_cmp_le_u32_e32 vcc_lo, s25, v5
	v_cndmask_b32_e64 v21, 0, -1, vcc_lo
	v_cmp_eq_u32_e32 vcc_lo, s25, v14
	s_delay_alu instid0(VALU_DEP_2) | instskip(SKIP_3) | instid1(VALU_DEP_3)
	v_cndmask_b32_e64 v5, v21, v12, s0
	v_cndmask_b32_e32 v9, v20, v9, vcc_lo
	v_add_co_u32 v14, vcc_lo, v1, 1
	v_add_co_ci_u32_e32 v20, vcc_lo, 0, v3, vcc_lo
	v_cmp_ne_u32_e32 vcc_lo, 0, v9
	s_delay_alu instid0(VALU_DEP_2) | instskip(SKIP_2) | instid1(VALU_DEP_3)
	v_dual_cndmask_b32 v12, v14, v15 :: v_dual_cndmask_b32 v9, v20, v16
	v_cmp_ne_u32_e32 vcc_lo, 0, v5
	v_xor_b32_e32 v5, s22, v24
	v_cndmask_b32_e32 v1, v1, v12, vcc_lo
	s_delay_alu instid0(VALU_DEP_4) | instskip(SKIP_1) | instid1(VALU_DEP_3)
	v_cndmask_b32_e32 v3, v3, v9, vcc_lo
	v_xor_b32_e32 v9, s23, v24
	v_xor_b32_e32 v1, v1, v5
	s_delay_alu instid0(VALU_DEP_2) | instskip(NEXT) | instid1(VALU_DEP_2)
	v_xor_b32_e32 v3, v3, v9
	v_sub_co_u32 v15, vcc_lo, v1, v5
	s_delay_alu instid0(VALU_DEP_2)
	v_sub_co_ci_u32_e32 v16, vcc_lo, v3, v9, vcc_lo
.LBB29_36:                              ;   in Loop: Header=BB29_22 Depth=2
	s_and_not1_saveexec_b32 s0, s50
	s_cbranch_execz .LBB29_38
; %bb.37:                               ;   in Loop: Header=BB29_22 Depth=2
	v_cvt_f32_u32_e32 v1, s49
	s_sub_i32 s22, 0, s49
	v_mov_b32_e32 v16, v4
	s_delay_alu instid0(VALU_DEP_2) | instskip(SKIP_2) | instid1(VALU_DEP_1)
	v_rcp_iflag_f32_e32 v1, v1
	s_waitcnt_depctr 0xfff
	v_mul_f32_e32 v1, 0x4f7ffffe, v1
	v_cvt_u32_f32_e32 v1, v1
	s_delay_alu instid0(VALU_DEP_1) | instskip(NEXT) | instid1(VALU_DEP_1)
	v_mul_lo_u32 v3, s22, v1
	v_mul_hi_u32 v3, v1, v3
	s_delay_alu instid0(VALU_DEP_1) | instskip(NEXT) | instid1(VALU_DEP_1)
	v_add_nc_u32_e32 v1, v1, v3
	v_mul_hi_u32 v1, v13, v1
	s_delay_alu instid0(VALU_DEP_1) | instskip(SKIP_1) | instid1(VALU_DEP_2)
	v_mul_lo_u32 v3, v1, s49
	v_add_nc_u32_e32 v5, 1, v1
	v_sub_nc_u32_e32 v3, v13, v3
	s_delay_alu instid0(VALU_DEP_1) | instskip(SKIP_1) | instid1(VALU_DEP_2)
	v_subrev_nc_u32_e32 v9, s49, v3
	v_cmp_le_u32_e32 vcc_lo, s49, v3
	v_cndmask_b32_e32 v3, v3, v9, vcc_lo
	v_cndmask_b32_e32 v1, v1, v5, vcc_lo
	s_delay_alu instid0(VALU_DEP_2) | instskip(NEXT) | instid1(VALU_DEP_2)
	v_cmp_le_u32_e32 vcc_lo, s49, v3
	v_add_nc_u32_e32 v5, 1, v1
	s_delay_alu instid0(VALU_DEP_1)
	v_cndmask_b32_e32 v15, v1, v5, vcc_lo
.LBB29_38:                              ;   in Loop: Header=BB29_22 Depth=2
	s_or_b32 exec_lo, exec_lo, s0
	s_add_u32 s20, s31, s20
	s_addc_u32 s21, s33, s21
	s_clause 0x1
	s_load_b32 s0, s[18:19], 0x6c
	s_load_b32 s18, s[20:21], 0x0
	v_mul_lo_u32 v1, v2, s40
	v_mul_lo_u32 v3, v11, s43
	;; [unrolled: 1-line block ×4, first 2 shown]
	s_add_i32 s16, s16, -4
	s_delay_alu instid0(SALU_CYCLE_1) | instskip(NEXT) | instid1(VALU_DEP_4)
	s_cmp_eq_u32 s16, -1
	v_sub_nc_u32_e32 v0, v0, v1
	s_delay_alu instid0(VALU_DEP_4) | instskip(NEXT) | instid1(VALU_DEP_4)
	v_sub_nc_u32_e32 v1, v2, v3
	v_sub_nc_u32_e32 v2, v11, v5
	s_delay_alu instid0(VALU_DEP_4) | instskip(NEXT) | instid1(VALU_DEP_4)
	v_sub_nc_u32_e32 v3, v13, v9
	v_mul_lo_u32 v5, s41, v0
	v_mul_lo_u32 v0, s42, v0
	v_mul_lo_u32 v9, s44, v1
	v_mul_lo_u32 v1, s45, v1
	v_mul_lo_u32 v11, s47, v2
	v_mul_lo_u32 v2, s48, v2
	s_waitcnt lgkmcnt(0)
	v_mul_lo_u32 v12, s0, v3
	v_mul_lo_u32 v3, s18, v3
	v_add3_u32 v5, v5, v10, v9
	v_add3_u32 v0, v0, v8, v1
	s_delay_alu instid0(VALU_DEP_2) | instskip(NEXT) | instid1(VALU_DEP_2)
	v_add3_u32 v10, v11, v5, v12
	v_add3_u32 v8, v2, v0, v3
	s_cbranch_scc1 .LBB29_40
; %bb.39:                               ;   in Loop: Header=BB29_22 Depth=2
	v_dual_mov_b32 v0, v15 :: v_dual_mov_b32 v1, v16
	s_branch .LBB29_22
.LBB29_40:                              ;   in Loop: Header=BB29_3 Depth=1
	v_sub_nc_u32_e32 v2, v18, v19
	v_mov_b32_e32 v0, 0
	v_mov_b32_e32 v1, 0
	v_cmp_gt_i32_e32 vcc_lo, s9, v18
	s_delay_alu instid0(VALU_DEP_4) | instskip(NEXT) | instid1(VALU_DEP_1)
	v_ashrrev_i32_e32 v3, 31, v2
	v_cmp_ge_i64_e64 s0, s[4:5], v[2:3]
	s_delay_alu instid0(VALU_DEP_4) | instskip(NEXT) | instid1(VALU_DEP_2)
	v_dual_mov_b32 v3, v1 :: v_dual_mov_b32 v2, v0
	s_and_b32 s0, s0, vcc_lo
	s_delay_alu instid0(SALU_CYCLE_1)
	s_and_saveexec_b32 s16, s0
	s_cbranch_execz .LBB29_42
; %bb.41:                               ;   in Loop: Header=BB29_3 Depth=1
	v_ashrrev_i32_e32 v11, 31, v10
	s_delay_alu instid0(VALU_DEP_1) | instskip(NEXT) | instid1(VALU_DEP_1)
	v_lshlrev_b64 v[0:1], 4, v[10:11]
	v_add_co_u32 v0, s0, s2, v0
	s_delay_alu instid0(VALU_DEP_1)
	v_add_co_ci_u32_e64 v1, s0, s3, v1, s0
	global_load_b128 v[0:3], v[0:1], off
.LBB29_42:                              ;   in Loop: Header=BB29_3 Depth=1
	s_or_b32 exec_lo, exec_lo, s16
	s_and_saveexec_b32 s0, vcc_lo
	s_cbranch_execz .LBB29_2
; %bb.43:                               ;   in Loop: Header=BB29_3 Depth=1
	v_ashrrev_i32_e32 v9, 31, v8
	s_delay_alu instid0(VALU_DEP_1) | instskip(NEXT) | instid1(VALU_DEP_1)
	v_lshlrev_b64 v[8:9], 4, v[8:9]
	v_add_co_u32 v8, vcc_lo, s14, v8
	s_delay_alu instid0(VALU_DEP_2)
	v_add_co_ci_u32_e32 v9, vcc_lo, s15, v9, vcc_lo
	s_waitcnt vmcnt(0)
	global_store_b128 v[8:9], v[0:3], off
	s_branch .LBB29_2
.LBB29_44:
	s_nop 0
	s_sendmsg sendmsg(MSG_DEALLOC_VGPRS)
	s_endpgm
	.section	.rodata,"a",@progbits
	.p2align	6, 0x0
	.amdhsa_kernel _ZN2at6native16triu_tril_kernelIN3c107complexIdEEiLb0ELi1ELb0EEEvNS_4cuda6detail10TensorInfoIT_T0_EENS7_IKS8_S9_EEllS9_
		.amdhsa_group_segment_fixed_size 0
		.amdhsa_private_segment_fixed_size 0
		.amdhsa_kernarg_size 712
		.amdhsa_user_sgpr_count 15
		.amdhsa_user_sgpr_dispatch_ptr 0
		.amdhsa_user_sgpr_queue_ptr 0
		.amdhsa_user_sgpr_kernarg_segment_ptr 1
		.amdhsa_user_sgpr_dispatch_id 0
		.amdhsa_user_sgpr_private_segment_size 0
		.amdhsa_wavefront_size32 1
		.amdhsa_uses_dynamic_stack 0
		.amdhsa_enable_private_segment 0
		.amdhsa_system_sgpr_workgroup_id_x 1
		.amdhsa_system_sgpr_workgroup_id_y 0
		.amdhsa_system_sgpr_workgroup_id_z 0
		.amdhsa_system_sgpr_workgroup_info 0
		.amdhsa_system_vgpr_workitem_id 0
		.amdhsa_next_free_vgpr 25
		.amdhsa_next_free_sgpr 52
		.amdhsa_reserve_vcc 1
		.amdhsa_float_round_mode_32 0
		.amdhsa_float_round_mode_16_64 0
		.amdhsa_float_denorm_mode_32 3
		.amdhsa_float_denorm_mode_16_64 3
		.amdhsa_dx10_clamp 1
		.amdhsa_ieee_mode 1
		.amdhsa_fp16_overflow 0
		.amdhsa_workgroup_processor_mode 1
		.amdhsa_memory_ordered 1
		.amdhsa_forward_progress 0
		.amdhsa_shared_vgpr_count 0
		.amdhsa_exception_fp_ieee_invalid_op 0
		.amdhsa_exception_fp_denorm_src 0
		.amdhsa_exception_fp_ieee_div_zero 0
		.amdhsa_exception_fp_ieee_overflow 0
		.amdhsa_exception_fp_ieee_underflow 0
		.amdhsa_exception_fp_ieee_inexact 0
		.amdhsa_exception_int_div_zero 0
	.end_amdhsa_kernel
	.section	.text._ZN2at6native16triu_tril_kernelIN3c107complexIdEEiLb0ELi1ELb0EEEvNS_4cuda6detail10TensorInfoIT_T0_EENS7_IKS8_S9_EEllS9_,"axG",@progbits,_ZN2at6native16triu_tril_kernelIN3c107complexIdEEiLb0ELi1ELb0EEEvNS_4cuda6detail10TensorInfoIT_T0_EENS7_IKS8_S9_EEllS9_,comdat
.Lfunc_end29:
	.size	_ZN2at6native16triu_tril_kernelIN3c107complexIdEEiLb0ELi1ELb0EEEvNS_4cuda6detail10TensorInfoIT_T0_EENS7_IKS8_S9_EEllS9_, .Lfunc_end29-_ZN2at6native16triu_tril_kernelIN3c107complexIdEEiLb0ELi1ELb0EEEvNS_4cuda6detail10TensorInfoIT_T0_EENS7_IKS8_S9_EEllS9_
                                        ; -- End function
	.section	.AMDGPU.csdata,"",@progbits
; Kernel info:
; codeLenInByte = 8176
; NumSgprs: 54
; NumVgprs: 25
; ScratchSize: 0
; MemoryBound: 1
; FloatMode: 240
; IeeeMode: 1
; LDSByteSize: 0 bytes/workgroup (compile time only)
; SGPRBlocks: 6
; VGPRBlocks: 3
; NumSGPRsForWavesPerEU: 54
; NumVGPRsForWavesPerEU: 25
; Occupancy: 16
; WaveLimiterHint : 0
; COMPUTE_PGM_RSRC2:SCRATCH_EN: 0
; COMPUTE_PGM_RSRC2:USER_SGPR: 15
; COMPUTE_PGM_RSRC2:TRAP_HANDLER: 0
; COMPUTE_PGM_RSRC2:TGID_X_EN: 1
; COMPUTE_PGM_RSRC2:TGID_Y_EN: 0
; COMPUTE_PGM_RSRC2:TGID_Z_EN: 0
; COMPUTE_PGM_RSRC2:TIDIG_COMP_CNT: 0
	.section	.text._ZN2at6native16triu_tril_kernelIN3c107complexIdEElLb0ELi1ELb1EEEvNS_4cuda6detail10TensorInfoIT_T0_EENS7_IKS8_S9_EEllS9_,"axG",@progbits,_ZN2at6native16triu_tril_kernelIN3c107complexIdEElLb0ELi1ELb1EEEvNS_4cuda6detail10TensorInfoIT_T0_EENS7_IKS8_S9_EEllS9_,comdat
	.protected	_ZN2at6native16triu_tril_kernelIN3c107complexIdEElLb0ELi1ELb1EEEvNS_4cuda6detail10TensorInfoIT_T0_EENS7_IKS8_S9_EEllS9_ ; -- Begin function _ZN2at6native16triu_tril_kernelIN3c107complexIdEElLb0ELi1ELb1EEEvNS_4cuda6detail10TensorInfoIT_T0_EENS7_IKS8_S9_EEllS9_
	.globl	_ZN2at6native16triu_tril_kernelIN3c107complexIdEElLb0ELi1ELb1EEEvNS_4cuda6detail10TensorInfoIT_T0_EENS7_IKS8_S9_EEllS9_
	.p2align	8
	.type	_ZN2at6native16triu_tril_kernelIN3c107complexIdEElLb0ELi1ELb1EEEvNS_4cuda6detail10TensorInfoIT_T0_EENS7_IKS8_S9_EEllS9_,@function
_ZN2at6native16triu_tril_kernelIN3c107complexIdEElLb0ELi1ELb1EEEvNS_4cuda6detail10TensorInfoIT_T0_EENS7_IKS8_S9_EEllS9_: ; @_ZN2at6native16triu_tril_kernelIN3c107complexIdEElLb0ELi1ELb1EEEvNS_4cuda6detail10TensorInfoIT_T0_EENS7_IKS8_S9_EEllS9_
; %bb.0:
	s_clause 0x1
	s_load_b32 s2, s[0:1], 0x364
	s_load_b128 s[4:7], s[0:1], 0x340
	v_mov_b32_e32 v2, 0
	s_add_u32 s10, s0, 0x358
	s_addc_u32 s11, s1, 0
	s_delay_alu instid0(VALU_DEP_1) | instskip(SKIP_3) | instid1(VALU_DEP_1)
	v_mov_b32_e32 v1, v2
	s_waitcnt lgkmcnt(0)
	s_and_b32 s24, s2, 0xffff
	s_mov_b32 s2, exec_lo
	v_mad_u64_u32 v[6:7], null, s24, s15, v[0:1]
	s_delay_alu instid0(VALU_DEP_1)
	v_cmpx_gt_i64_e64 s[6:7], v[6:7]
	s_cbranch_execz .LBB30_20
; %bb.1:
	s_clause 0x2
	s_load_b32 s26, s[0:1], 0x338
	s_load_b64 s[2:3], s[0:1], 0x350
	s_load_b64 s[8:9], s[0:1], 0x0
	s_load_b32 s25, s[10:11], 0x0
	s_mov_b32 s42, 0
	s_waitcnt lgkmcnt(0)
	s_ashr_i32 s27, s26, 31
	s_add_u32 s20, s0, 0x1a8
	s_addc_u32 s21, s1, 0
	s_lshl_b64 s[12:13], s[26:27], 3
	v_cvt_f32_u32_e32 v0, s2
	s_add_u32 s14, s12, -16
	s_addc_u32 s15, s13, -1
	s_add_u32 s22, s20, s14
	s_addc_u32 s23, s21, s15
	v_rcp_iflag_f32_e32 v0, v0
	s_add_u32 s16, s12, -8
	s_addc_u32 s17, s13, -1
	s_add_u32 s28, s0, 0xd0
	s_addc_u32 s29, s1, 0
	s_add_u32 s10, s28, s16
	s_addc_u32 s11, s29, s17
	;; [unrolled: 2-line block ×3, first 2 shown]
	s_add_i32 s0, s26, -3
	s_waitcnt_depctr 0xfff
	v_mul_f32_e32 v0, 0x4f7ffffe, v0
	s_ashr_i32 s1, s0, 31
	s_add_u32 s14, s20, s16
	s_addc_u32 s15, s21, s17
	s_lshl_b64 s[18:19], s[0:1], 3
	v_cvt_u32_f32_e32 v0, v0
	s_add_u32 s16, s28, s18
	s_addc_u32 s17, s29, s19
	s_add_u32 s18, s20, s18
	s_addc_u32 s19, s21, s19
	;; [unrolled: 2-line block ×3, first 2 shown]
	s_sub_i32 s0, 0, s2
	s_load_b64 s[22:23], s[22:23], 0x0
	v_mul_lo_u32 v1, s0, v0
	v_cmp_gt_i64_e64 s1, s[26:27], 2
	s_mul_i32 s33, s25, s24
	s_ashr_i32 s24, s3, 31
	s_delay_alu instid0(VALU_DEP_2) | instskip(NEXT) | instid1(VALU_DEP_1)
	v_mul_hi_u32 v1, v0, v1
	v_add_nc_u32_e32 v16, v0, v1
	s_waitcnt lgkmcnt(0)
	s_ashr_i32 s26, s23, 31
	s_branch .LBB30_3
.LBB30_2:                               ;   in Loop: Header=BB30_3 Depth=1
	s_or_b32 exec_lo, exec_lo, s25
	v_add_co_u32 v6, vcc_lo, v6, s33
	v_add_co_ci_u32_e32 v7, vcc_lo, 0, v7, vcc_lo
	s_delay_alu instid0(VALU_DEP_1) | instskip(SKIP_1) | instid1(SALU_CYCLE_1)
	v_cmp_le_i64_e32 vcc_lo, s[6:7], v[6:7]
	s_or_b32 s42, vcc_lo, s42
	s_and_not1_b32 exec_lo, exec_lo, s42
	s_cbranch_execz .LBB30_20
.LBB30_3:                               ; =>This Loop Header: Depth=1
                                        ;     Child Loop BB30_16 Depth 2
	v_or_b32_e32 v3, s3, v7
                                        ; implicit-def: $vgpr8_vgpr9
	s_mov_b32 s0, exec_lo
	s_delay_alu instid0(VALU_DEP_1)
	v_cmpx_ne_u64_e32 0, v[2:3]
	s_xor_b32 s27, exec_lo, s0
	s_cbranch_execz .LBB30_5
; %bb.4:                                ;   in Loop: Header=BB30_3 Depth=1
	s_add_u32 s28, s2, s24
	s_mov_b32 s25, s24
	s_addc_u32 s29, s3, s24
	s_delay_alu instid0(SALU_CYCLE_1) | instskip(NEXT) | instid1(SALU_CYCLE_1)
	s_xor_b64 s[28:29], s[28:29], s[24:25]
	v_cvt_f32_u32_e32 v0, s28
	v_cvt_f32_u32_e32 v1, s29
	s_sub_u32 s0, 0, s28
	s_subb_u32 s25, 0, s29
	s_delay_alu instid0(VALU_DEP_1) | instskip(NEXT) | instid1(VALU_DEP_1)
	v_fmac_f32_e32 v0, 0x4f800000, v1
	v_rcp_f32_e32 v0, v0
	s_waitcnt_depctr 0xfff
	v_mul_f32_e32 v0, 0x5f7ffffc, v0
	s_delay_alu instid0(VALU_DEP_1) | instskip(NEXT) | instid1(VALU_DEP_1)
	v_mul_f32_e32 v1, 0x2f800000, v0
	v_trunc_f32_e32 v1, v1
	s_delay_alu instid0(VALU_DEP_1) | instskip(SKIP_1) | instid1(VALU_DEP_2)
	v_fmac_f32_e32 v0, 0xcf800000, v1
	v_cvt_u32_f32_e32 v1, v1
	v_cvt_u32_f32_e32 v0, v0
	s_delay_alu instid0(VALU_DEP_2) | instskip(NEXT) | instid1(VALU_DEP_2)
	v_mul_lo_u32 v3, s0, v1
	v_mul_hi_u32 v4, s0, v0
	v_mul_lo_u32 v5, s25, v0
	s_delay_alu instid0(VALU_DEP_2) | instskip(SKIP_1) | instid1(VALU_DEP_2)
	v_add_nc_u32_e32 v3, v4, v3
	v_mul_lo_u32 v4, s0, v0
	v_add_nc_u32_e32 v3, v3, v5
	s_delay_alu instid0(VALU_DEP_2) | instskip(NEXT) | instid1(VALU_DEP_2)
	v_mul_hi_u32 v5, v0, v4
	v_mul_lo_u32 v8, v0, v3
	v_mul_hi_u32 v9, v0, v3
	v_mul_hi_u32 v10, v1, v4
	v_mul_lo_u32 v4, v1, v4
	v_mul_hi_u32 v11, v1, v3
	v_mul_lo_u32 v3, v1, v3
	v_add_co_u32 v5, vcc_lo, v5, v8
	v_add_co_ci_u32_e32 v8, vcc_lo, 0, v9, vcc_lo
	s_delay_alu instid0(VALU_DEP_2) | instskip(NEXT) | instid1(VALU_DEP_2)
	v_add_co_u32 v4, vcc_lo, v5, v4
	v_add_co_ci_u32_e32 v4, vcc_lo, v8, v10, vcc_lo
	v_add_co_ci_u32_e32 v5, vcc_lo, 0, v11, vcc_lo
	v_ashrrev_i32_e32 v10, 31, v7
	s_delay_alu instid0(VALU_DEP_3) | instskip(NEXT) | instid1(VALU_DEP_3)
	v_add_co_u32 v3, vcc_lo, v4, v3
	v_add_co_ci_u32_e32 v4, vcc_lo, 0, v5, vcc_lo
	s_delay_alu instid0(VALU_DEP_2) | instskip(NEXT) | instid1(VALU_DEP_2)
	v_add_co_u32 v0, vcc_lo, v0, v3
	v_add_co_ci_u32_e32 v1, vcc_lo, v1, v4, vcc_lo
	s_delay_alu instid0(VALU_DEP_2) | instskip(SKIP_1) | instid1(VALU_DEP_3)
	v_mul_hi_u32 v3, s0, v0
	v_mul_lo_u32 v5, s25, v0
	v_mul_lo_u32 v4, s0, v1
	s_delay_alu instid0(VALU_DEP_1) | instskip(SKIP_1) | instid1(VALU_DEP_2)
	v_add_nc_u32_e32 v3, v3, v4
	v_mul_lo_u32 v4, s0, v0
	v_add_nc_u32_e32 v3, v3, v5
	s_delay_alu instid0(VALU_DEP_2) | instskip(NEXT) | instid1(VALU_DEP_2)
	v_mul_hi_u32 v5, v0, v4
	v_mul_lo_u32 v8, v0, v3
	v_mul_hi_u32 v9, v0, v3
	v_mul_hi_u32 v11, v1, v4
	v_mul_lo_u32 v4, v1, v4
	v_mul_hi_u32 v12, v1, v3
	v_mul_lo_u32 v3, v1, v3
	v_add_co_u32 v5, vcc_lo, v5, v8
	v_add_co_ci_u32_e32 v8, vcc_lo, 0, v9, vcc_lo
	s_delay_alu instid0(VALU_DEP_2) | instskip(NEXT) | instid1(VALU_DEP_2)
	v_add_co_u32 v4, vcc_lo, v5, v4
	v_add_co_ci_u32_e32 v4, vcc_lo, v8, v11, vcc_lo
	v_add_co_ci_u32_e32 v5, vcc_lo, 0, v12, vcc_lo
	v_add_co_u32 v8, vcc_lo, v6, v10
	v_add_co_ci_u32_e32 v9, vcc_lo, v7, v10, vcc_lo
	s_delay_alu instid0(VALU_DEP_4) | instskip(NEXT) | instid1(VALU_DEP_4)
	v_add_co_u32 v3, vcc_lo, v4, v3
	v_add_co_ci_u32_e32 v4, vcc_lo, 0, v5, vcc_lo
	s_delay_alu instid0(VALU_DEP_4) | instskip(NEXT) | instid1(VALU_DEP_3)
	v_xor_b32_e32 v5, v8, v10
	v_add_co_u32 v8, vcc_lo, v0, v3
	s_delay_alu instid0(VALU_DEP_3) | instskip(SKIP_1) | instid1(VALU_DEP_3)
	v_add_co_ci_u32_e32 v11, vcc_lo, v1, v4, vcc_lo
	v_xor_b32_e32 v12, v9, v10
	v_mul_hi_u32 v13, v5, v8
	s_delay_alu instid0(VALU_DEP_3) | instskip(NEXT) | instid1(VALU_DEP_3)
	v_mad_u64_u32 v[0:1], null, v5, v11, 0
	v_mad_u64_u32 v[3:4], null, v12, v8, 0
	;; [unrolled: 1-line block ×3, first 2 shown]
	s_delay_alu instid0(VALU_DEP_3) | instskip(NEXT) | instid1(VALU_DEP_4)
	v_add_co_u32 v0, vcc_lo, v13, v0
	v_add_co_ci_u32_e32 v1, vcc_lo, 0, v1, vcc_lo
	s_delay_alu instid0(VALU_DEP_2) | instskip(NEXT) | instid1(VALU_DEP_2)
	v_add_co_u32 v0, vcc_lo, v0, v3
	v_add_co_ci_u32_e32 v0, vcc_lo, v1, v4, vcc_lo
	v_add_co_ci_u32_e32 v1, vcc_lo, 0, v9, vcc_lo
	s_delay_alu instid0(VALU_DEP_2) | instskip(NEXT) | instid1(VALU_DEP_2)
	v_add_co_u32 v3, vcc_lo, v0, v8
	v_add_co_ci_u32_e32 v4, vcc_lo, 0, v1, vcc_lo
	s_delay_alu instid0(VALU_DEP_2) | instskip(SKIP_1) | instid1(VALU_DEP_3)
	v_mul_lo_u32 v8, s29, v3
	v_mad_u64_u32 v[0:1], null, s28, v3, 0
	v_mul_lo_u32 v9, s28, v4
	s_delay_alu instid0(VALU_DEP_2) | instskip(NEXT) | instid1(VALU_DEP_2)
	v_sub_co_u32 v0, vcc_lo, v5, v0
	v_add3_u32 v1, v1, v9, v8
	s_delay_alu instid0(VALU_DEP_1) | instskip(NEXT) | instid1(VALU_DEP_1)
	v_sub_nc_u32_e32 v8, v12, v1
	v_subrev_co_ci_u32_e64 v5, s0, s29, v8, vcc_lo
	v_add_co_u32 v8, s0, v3, 2
	s_delay_alu instid0(VALU_DEP_1) | instskip(SKIP_3) | instid1(VALU_DEP_3)
	v_add_co_ci_u32_e64 v9, s0, 0, v4, s0
	v_sub_co_u32 v11, s0, v0, s28
	v_sub_co_ci_u32_e32 v1, vcc_lo, v12, v1, vcc_lo
	v_subrev_co_ci_u32_e64 v5, s0, 0, v5, s0
	v_cmp_le_u32_e32 vcc_lo, s28, v11
	s_delay_alu instid0(VALU_DEP_3) | instskip(SKIP_1) | instid1(VALU_DEP_4)
	v_cmp_eq_u32_e64 s0, s29, v1
	v_cndmask_b32_e64 v11, 0, -1, vcc_lo
	v_cmp_le_u32_e32 vcc_lo, s29, v5
	v_cndmask_b32_e64 v12, 0, -1, vcc_lo
	v_cmp_le_u32_e32 vcc_lo, s28, v0
	;; [unrolled: 2-line block ×3, first 2 shown]
	v_cndmask_b32_e64 v13, 0, -1, vcc_lo
	v_cmp_eq_u32_e32 vcc_lo, s29, v5
	s_delay_alu instid0(VALU_DEP_2) | instskip(SKIP_3) | instid1(VALU_DEP_3)
	v_cndmask_b32_e64 v0, v13, v0, s0
	v_cndmask_b32_e32 v5, v12, v11, vcc_lo
	v_add_co_u32 v11, vcc_lo, v3, 1
	v_add_co_ci_u32_e32 v12, vcc_lo, 0, v4, vcc_lo
	v_cmp_ne_u32_e32 vcc_lo, 0, v5
	s_delay_alu instid0(VALU_DEP_2) | instskip(NEXT) | instid1(VALU_DEP_4)
	v_cndmask_b32_e32 v1, v12, v9, vcc_lo
	v_cndmask_b32_e32 v5, v11, v8, vcc_lo
	v_cmp_ne_u32_e32 vcc_lo, 0, v0
	v_xor_b32_e32 v0, s24, v10
	s_delay_alu instid0(VALU_DEP_3) | instskip(SKIP_1) | instid1(VALU_DEP_2)
	v_cndmask_b32_e32 v3, v3, v5, vcc_lo
	v_cndmask_b32_e32 v1, v4, v1, vcc_lo
	v_xor_b32_e32 v3, v3, v0
	s_delay_alu instid0(VALU_DEP_2) | instskip(NEXT) | instid1(VALU_DEP_2)
	v_xor_b32_e32 v1, v1, v0
	v_sub_co_u32 v8, vcc_lo, v3, v0
	s_delay_alu instid0(VALU_DEP_2)
	v_sub_co_ci_u32_e32 v9, vcc_lo, v1, v0, vcc_lo
.LBB30_5:                               ;   in Loop: Header=BB30_3 Depth=1
	s_and_not1_saveexec_b32 s0, s27
; %bb.6:                                ;   in Loop: Header=BB30_3 Depth=1
	v_mul_hi_u32 v0, v6, v16
	v_mov_b32_e32 v9, v2
	s_delay_alu instid0(VALU_DEP_2) | instskip(SKIP_1) | instid1(VALU_DEP_2)
	v_mul_lo_u32 v1, v0, s2
	v_add_nc_u32_e32 v3, 1, v0
	v_sub_nc_u32_e32 v1, v6, v1
	s_delay_alu instid0(VALU_DEP_1) | instskip(SKIP_1) | instid1(VALU_DEP_2)
	v_subrev_nc_u32_e32 v4, s2, v1
	v_cmp_le_u32_e32 vcc_lo, s2, v1
	v_dual_cndmask_b32 v1, v1, v4 :: v_dual_cndmask_b32 v0, v0, v3
	s_delay_alu instid0(VALU_DEP_1) | instskip(NEXT) | instid1(VALU_DEP_2)
	v_cmp_le_u32_e32 vcc_lo, s2, v1
	v_add_nc_u32_e32 v3, 1, v0
	s_delay_alu instid0(VALU_DEP_1)
	v_cndmask_b32_e32 v8, v0, v3, vcc_lo
; %bb.7:                                ;   in Loop: Header=BB30_3 Depth=1
	s_or_b32 exec_lo, exec_lo, s0
	v_or_b32_e32 v3, s23, v9
                                        ; implicit-def: $vgpr0_vgpr1
	s_mov_b32 s0, exec_lo
	s_delay_alu instid0(VALU_DEP_1)
	v_cmpx_ne_u64_e32 0, v[2:3]
	s_xor_b32 s25, exec_lo, s0
	s_cbranch_execz .LBB30_9
; %bb.8:                                ;   in Loop: Header=BB30_3 Depth=1
	s_add_u32 s28, s22, s26
	s_mov_b32 s27, s26
	s_addc_u32 s29, s23, s26
	s_delay_alu instid0(SALU_CYCLE_1) | instskip(NEXT) | instid1(SALU_CYCLE_1)
	s_xor_b64 s[28:29], s[28:29], s[26:27]
	v_cvt_f32_u32_e32 v0, s28
	v_cvt_f32_u32_e32 v1, s29
	s_sub_u32 s0, 0, s28
	s_subb_u32 s27, 0, s29
	s_delay_alu instid0(VALU_DEP_1) | instskip(NEXT) | instid1(VALU_DEP_1)
	v_fmac_f32_e32 v0, 0x4f800000, v1
	v_rcp_f32_e32 v0, v0
	s_waitcnt_depctr 0xfff
	v_mul_f32_e32 v0, 0x5f7ffffc, v0
	s_delay_alu instid0(VALU_DEP_1) | instskip(NEXT) | instid1(VALU_DEP_1)
	v_mul_f32_e32 v1, 0x2f800000, v0
	v_trunc_f32_e32 v1, v1
	s_delay_alu instid0(VALU_DEP_1) | instskip(SKIP_1) | instid1(VALU_DEP_2)
	v_fmac_f32_e32 v0, 0xcf800000, v1
	v_cvt_u32_f32_e32 v1, v1
	v_cvt_u32_f32_e32 v0, v0
	s_delay_alu instid0(VALU_DEP_2) | instskip(NEXT) | instid1(VALU_DEP_2)
	v_mul_lo_u32 v3, s0, v1
	v_mul_hi_u32 v4, s0, v0
	v_mul_lo_u32 v5, s27, v0
	s_delay_alu instid0(VALU_DEP_2) | instskip(SKIP_1) | instid1(VALU_DEP_2)
	v_add_nc_u32_e32 v3, v4, v3
	v_mul_lo_u32 v4, s0, v0
	v_add_nc_u32_e32 v3, v3, v5
	s_delay_alu instid0(VALU_DEP_2) | instskip(NEXT) | instid1(VALU_DEP_2)
	v_mul_hi_u32 v5, v0, v4
	v_mul_lo_u32 v10, v0, v3
	v_mul_hi_u32 v11, v0, v3
	v_mul_hi_u32 v12, v1, v4
	v_mul_lo_u32 v4, v1, v4
	v_mul_hi_u32 v13, v1, v3
	v_mul_lo_u32 v3, v1, v3
	v_add_co_u32 v5, vcc_lo, v5, v10
	v_add_co_ci_u32_e32 v10, vcc_lo, 0, v11, vcc_lo
	s_delay_alu instid0(VALU_DEP_2) | instskip(NEXT) | instid1(VALU_DEP_2)
	v_add_co_u32 v4, vcc_lo, v5, v4
	v_add_co_ci_u32_e32 v4, vcc_lo, v10, v12, vcc_lo
	v_add_co_ci_u32_e32 v5, vcc_lo, 0, v13, vcc_lo
	v_ashrrev_i32_e32 v12, 31, v9
	s_delay_alu instid0(VALU_DEP_3) | instskip(NEXT) | instid1(VALU_DEP_3)
	v_add_co_u32 v3, vcc_lo, v4, v3
	v_add_co_ci_u32_e32 v4, vcc_lo, 0, v5, vcc_lo
	s_delay_alu instid0(VALU_DEP_2) | instskip(NEXT) | instid1(VALU_DEP_2)
	v_add_co_u32 v0, vcc_lo, v0, v3
	v_add_co_ci_u32_e32 v1, vcc_lo, v1, v4, vcc_lo
	s_delay_alu instid0(VALU_DEP_2) | instskip(SKIP_1) | instid1(VALU_DEP_3)
	v_mul_hi_u32 v3, s0, v0
	v_mul_lo_u32 v5, s27, v0
	v_mul_lo_u32 v4, s0, v1
	s_delay_alu instid0(VALU_DEP_1) | instskip(SKIP_1) | instid1(VALU_DEP_2)
	v_add_nc_u32_e32 v3, v3, v4
	v_mul_lo_u32 v4, s0, v0
	v_add_nc_u32_e32 v3, v3, v5
	s_delay_alu instid0(VALU_DEP_2) | instskip(NEXT) | instid1(VALU_DEP_2)
	v_mul_hi_u32 v5, v0, v4
	v_mul_lo_u32 v10, v0, v3
	v_mul_hi_u32 v11, v0, v3
	v_mul_hi_u32 v13, v1, v4
	v_mul_lo_u32 v4, v1, v4
	v_mul_hi_u32 v14, v1, v3
	v_mul_lo_u32 v3, v1, v3
	v_add_co_u32 v5, vcc_lo, v5, v10
	v_add_co_ci_u32_e32 v10, vcc_lo, 0, v11, vcc_lo
	s_delay_alu instid0(VALU_DEP_2) | instskip(NEXT) | instid1(VALU_DEP_2)
	v_add_co_u32 v4, vcc_lo, v5, v4
	v_add_co_ci_u32_e32 v4, vcc_lo, v10, v13, vcc_lo
	v_add_co_ci_u32_e32 v5, vcc_lo, 0, v14, vcc_lo
	v_add_co_u32 v10, vcc_lo, v8, v12
	v_add_co_ci_u32_e32 v11, vcc_lo, v9, v12, vcc_lo
	s_delay_alu instid0(VALU_DEP_4) | instskip(NEXT) | instid1(VALU_DEP_4)
	v_add_co_u32 v3, vcc_lo, v4, v3
	v_add_co_ci_u32_e32 v4, vcc_lo, 0, v5, vcc_lo
	s_delay_alu instid0(VALU_DEP_4) | instskip(NEXT) | instid1(VALU_DEP_3)
	v_xor_b32_e32 v5, v10, v12
	v_add_co_u32 v10, vcc_lo, v0, v3
	s_delay_alu instid0(VALU_DEP_3) | instskip(SKIP_1) | instid1(VALU_DEP_3)
	v_add_co_ci_u32_e32 v13, vcc_lo, v1, v4, vcc_lo
	v_xor_b32_e32 v14, v11, v12
	v_mul_hi_u32 v15, v5, v10
	s_delay_alu instid0(VALU_DEP_3) | instskip(NEXT) | instid1(VALU_DEP_3)
	v_mad_u64_u32 v[0:1], null, v5, v13, 0
	v_mad_u64_u32 v[3:4], null, v14, v10, 0
	;; [unrolled: 1-line block ×3, first 2 shown]
	s_delay_alu instid0(VALU_DEP_3) | instskip(NEXT) | instid1(VALU_DEP_4)
	v_add_co_u32 v0, vcc_lo, v15, v0
	v_add_co_ci_u32_e32 v1, vcc_lo, 0, v1, vcc_lo
	s_delay_alu instid0(VALU_DEP_2) | instskip(NEXT) | instid1(VALU_DEP_2)
	v_add_co_u32 v0, vcc_lo, v0, v3
	v_add_co_ci_u32_e32 v0, vcc_lo, v1, v4, vcc_lo
	v_add_co_ci_u32_e32 v1, vcc_lo, 0, v11, vcc_lo
	s_delay_alu instid0(VALU_DEP_2) | instskip(NEXT) | instid1(VALU_DEP_2)
	v_add_co_u32 v3, vcc_lo, v0, v10
	v_add_co_ci_u32_e32 v4, vcc_lo, 0, v1, vcc_lo
	s_delay_alu instid0(VALU_DEP_2) | instskip(SKIP_1) | instid1(VALU_DEP_3)
	v_mul_lo_u32 v10, s29, v3
	v_mad_u64_u32 v[0:1], null, s28, v3, 0
	v_mul_lo_u32 v11, s28, v4
	s_delay_alu instid0(VALU_DEP_2) | instskip(NEXT) | instid1(VALU_DEP_2)
	v_sub_co_u32 v0, vcc_lo, v5, v0
	v_add3_u32 v1, v1, v11, v10
	s_delay_alu instid0(VALU_DEP_1) | instskip(NEXT) | instid1(VALU_DEP_1)
	v_sub_nc_u32_e32 v10, v14, v1
	v_subrev_co_ci_u32_e64 v5, s0, s29, v10, vcc_lo
	v_add_co_u32 v10, s0, v3, 2
	s_delay_alu instid0(VALU_DEP_1) | instskip(SKIP_3) | instid1(VALU_DEP_3)
	v_add_co_ci_u32_e64 v11, s0, 0, v4, s0
	v_sub_co_u32 v13, s0, v0, s28
	v_sub_co_ci_u32_e32 v1, vcc_lo, v14, v1, vcc_lo
	v_subrev_co_ci_u32_e64 v5, s0, 0, v5, s0
	v_cmp_le_u32_e32 vcc_lo, s28, v13
	s_delay_alu instid0(VALU_DEP_3) | instskip(SKIP_1) | instid1(VALU_DEP_4)
	v_cmp_eq_u32_e64 s0, s29, v1
	v_cndmask_b32_e64 v13, 0, -1, vcc_lo
	v_cmp_le_u32_e32 vcc_lo, s29, v5
	v_cndmask_b32_e64 v14, 0, -1, vcc_lo
	v_cmp_le_u32_e32 vcc_lo, s28, v0
	;; [unrolled: 2-line block ×3, first 2 shown]
	v_cndmask_b32_e64 v15, 0, -1, vcc_lo
	v_cmp_eq_u32_e32 vcc_lo, s29, v5
	s_delay_alu instid0(VALU_DEP_2) | instskip(SKIP_3) | instid1(VALU_DEP_3)
	v_cndmask_b32_e64 v0, v15, v0, s0
	v_cndmask_b32_e32 v5, v14, v13, vcc_lo
	v_add_co_u32 v13, vcc_lo, v3, 1
	v_add_co_ci_u32_e32 v14, vcc_lo, 0, v4, vcc_lo
	v_cmp_ne_u32_e32 vcc_lo, 0, v5
	s_delay_alu instid0(VALU_DEP_2) | instskip(NEXT) | instid1(VALU_DEP_4)
	v_cndmask_b32_e32 v1, v14, v11, vcc_lo
	v_cndmask_b32_e32 v5, v13, v10, vcc_lo
	v_cmp_ne_u32_e32 vcc_lo, 0, v0
	v_xor_b32_e32 v10, s26, v12
	s_delay_alu instid0(VALU_DEP_4) | instskip(NEXT) | instid1(VALU_DEP_4)
	v_cndmask_b32_e32 v0, v4, v1, vcc_lo
	v_cndmask_b32_e32 v1, v3, v5, vcc_lo
	s_delay_alu instid0(VALU_DEP_2) | instskip(NEXT) | instid1(VALU_DEP_2)
	v_xor_b32_e32 v3, v0, v10
	v_xor_b32_e32 v1, v1, v10
	s_delay_alu instid0(VALU_DEP_1) | instskip(NEXT) | instid1(VALU_DEP_3)
	v_sub_co_u32 v0, vcc_lo, v1, v10
	v_sub_co_ci_u32_e32 v1, vcc_lo, v3, v10, vcc_lo
.LBB30_9:                               ;   in Loop: Header=BB30_3 Depth=1
	s_and_not1_saveexec_b32 s0, s25
	s_cbranch_execz .LBB30_11
; %bb.10:                               ;   in Loop: Header=BB30_3 Depth=1
	v_cvt_f32_u32_e32 v0, s22
	s_sub_i32 s25, 0, s22
	s_delay_alu instid0(VALU_DEP_1) | instskip(SKIP_2) | instid1(VALU_DEP_1)
	v_rcp_iflag_f32_e32 v0, v0
	s_waitcnt_depctr 0xfff
	v_mul_f32_e32 v0, 0x4f7ffffe, v0
	v_cvt_u32_f32_e32 v0, v0
	s_delay_alu instid0(VALU_DEP_1) | instskip(NEXT) | instid1(VALU_DEP_1)
	v_mul_lo_u32 v1, s25, v0
	v_mul_hi_u32 v1, v0, v1
	s_delay_alu instid0(VALU_DEP_1) | instskip(NEXT) | instid1(VALU_DEP_1)
	v_add_nc_u32_e32 v0, v0, v1
	v_mul_hi_u32 v0, v8, v0
	s_delay_alu instid0(VALU_DEP_1) | instskip(SKIP_1) | instid1(VALU_DEP_2)
	v_mul_lo_u32 v1, v0, s22
	v_add_nc_u32_e32 v3, 1, v0
	v_sub_nc_u32_e32 v1, v8, v1
	s_delay_alu instid0(VALU_DEP_1) | instskip(SKIP_1) | instid1(VALU_DEP_2)
	v_subrev_nc_u32_e32 v4, s22, v1
	v_cmp_le_u32_e32 vcc_lo, s22, v1
	v_dual_cndmask_b32 v1, v1, v4 :: v_dual_cndmask_b32 v0, v0, v3
	s_delay_alu instid0(VALU_DEP_1) | instskip(NEXT) | instid1(VALU_DEP_2)
	v_cmp_le_u32_e32 vcc_lo, s22, v1
	v_add_nc_u32_e32 v3, 1, v0
	s_delay_alu instid0(VALU_DEP_1)
	v_dual_mov_b32 v1, v2 :: v_dual_cndmask_b32 v0, v0, v3
.LBB30_11:                              ;   in Loop: Header=BB30_3 Depth=1
	s_or_b32 exec_lo, exec_lo, s0
	v_mul_lo_u32 v5, v9, s2
	v_mul_lo_u32 v12, v8, s3
	v_mad_u64_u32 v[3:4], null, v8, s2, 0
	v_mul_lo_u32 v13, v1, s22
	v_mul_lo_u32 v14, v0, s23
	v_mad_u64_u32 v[10:11], null, v0, s22, 0
	s_mov_b32 s25, exec_lo
	s_delay_alu instid0(VALU_DEP_4) | instskip(SKIP_1) | instid1(VALU_DEP_3)
	v_add3_u32 v5, v4, v12, v5
	v_sub_co_u32 v4, vcc_lo, v6, v3
	v_add3_u32 v11, v11, v14, v13
	s_delay_alu instid0(VALU_DEP_3) | instskip(SKIP_1) | instid1(VALU_DEP_3)
	v_sub_co_ci_u32_e32 v5, vcc_lo, v7, v5, vcc_lo
	v_sub_co_u32 v3, vcc_lo, v8, v10
	v_sub_co_ci_u32_e32 v10, vcc_lo, v9, v11, vcc_lo
	s_delay_alu instid0(VALU_DEP_2) | instskip(NEXT) | instid1(VALU_DEP_2)
	v_sub_co_u32 v8, vcc_lo, v4, v3
	v_sub_co_ci_u32_e32 v9, vcc_lo, v5, v10, vcc_lo
	s_delay_alu instid0(VALU_DEP_2) | instskip(NEXT) | instid1(VALU_DEP_2)
	v_add_co_u32 v11, vcc_lo, v8, 1
	v_add_co_ci_u32_e32 v12, vcc_lo, 0, v9, vcc_lo
	s_delay_alu instid0(VALU_DEP_1)
	v_cmpx_lt_i64_e64 s[4:5], v[11:12]
	s_cbranch_execz .LBB30_2
; %bb.12:                               ;   in Loop: Header=BB30_3 Depth=1
	s_clause 0x1
	s_load_b64 s[28:29], s[10:11], 0x0
	s_load_b64 s[30:31], s[12:13], 0x0
	s_and_not1_b32 vcc_lo, exec_lo, s1
	s_mov_b64 s[34:35], s[16:17]
	s_waitcnt lgkmcnt(0)
	v_mul_lo_u32 v11, s29, v4
	v_mul_lo_u32 v14, s28, v5
	v_mad_u64_u32 v[12:13], null, s28, v4, 0
	s_mov_b64 s[28:29], s[20:21]
	s_delay_alu instid0(VALU_DEP_1) | instskip(SKIP_1) | instid1(VALU_DEP_2)
	v_add3_u32 v13, v13, v14, v11
	v_mul_lo_u32 v14, s30, v10
	v_mad_u64_u32 v[10:11], null, s30, v3, v[12:13]
	v_mul_lo_u32 v3, s31, v3
	s_mov_b64 s[30:31], s[18:19]
	s_delay_alu instid0(VALU_DEP_1) | instskip(NEXT) | instid1(VALU_DEP_1)
	v_add3_u32 v11, v3, v11, v14
	v_dual_mov_b32 v15, v11 :: v_dual_mov_b32 v14, v10
	s_cbranch_vccz .LBB30_16
.LBB30_13:                              ;   in Loop: Header=BB30_3 Depth=1
	s_load_b64 s[28:29], s[14:15], 0x0
	v_cmp_lt_i64_e64 s0, s[4:5], v[8:9]
	s_waitcnt lgkmcnt(0)
	v_cmp_gt_i64_e32 vcc_lo, s[28:29], v[4:5]
	s_delay_alu instid0(VALU_DEP_2) | instskip(NEXT) | instid1(SALU_CYCLE_1)
	s_and_b32 s0, vcc_lo, s0
	s_and_b32 exec_lo, exec_lo, s0
	s_cbranch_execz .LBB30_2
; %bb.14:                               ;   in Loop: Header=BB30_3 Depth=1
	v_lshlrev_b64 v[0:1], 4, v[14:15]
	v_mov_b32_e32 v3, v2
	v_mov_b32_e32 v4, v2
	;; [unrolled: 1-line block ×3, first 2 shown]
	s_delay_alu instid0(VALU_DEP_4)
	v_add_co_u32 v0, vcc_lo, s8, v0
	v_add_co_ci_u32_e32 v1, vcc_lo, s9, v1, vcc_lo
	global_store_b128 v[0:1], v[2:5], off
	s_branch .LBB30_2
.LBB30_15:                              ;   in Loop: Header=BB30_16 Depth=2
	s_or_b32 exec_lo, exec_lo, s0
	s_load_b64 s[38:39], s[34:35], 0x0
	s_delay_alu instid0(VALU_DEP_1)
	v_mul_lo_u32 v3, v13, s36
	v_mul_lo_u32 v17, v12, s37
	v_mad_u64_u32 v[14:15], null, v12, s36, 0
	s_add_u32 s34, s34, -8
	s_addc_u32 s35, s35, -1
	s_add_u32 s30, s30, -8
	s_addc_u32 s31, s31, -1
	s_add_u32 s28, s28, -1
	s_addc_u32 s29, s29, -1
	s_delay_alu instid0(VALU_DEP_1) | instskip(SKIP_2) | instid1(VALU_DEP_3)
	v_add3_u32 v3, v15, v17, v3
	v_sub_co_u32 v0, vcc_lo, v0, v14
	v_cmp_gt_i64_e64 s0, s[28:29], 0
	v_sub_co_ci_u32_e32 v1, vcc_lo, v1, v3, vcc_lo
	s_delay_alu instid0(VALU_DEP_2) | instskip(SKIP_1) | instid1(VALU_DEP_1)
	s_and_b32 vcc_lo, exec_lo, s0
	s_waitcnt lgkmcnt(0)
	v_mul_lo_u32 v1, s38, v1
	v_mul_lo_u32 v3, s39, v0
	v_mad_u64_u32 v[14:15], null, s38, v0, v[10:11]
	s_delay_alu instid0(VALU_DEP_1) | instskip(NEXT) | instid1(VALU_DEP_2)
	v_add3_u32 v15, v3, v15, v1
	v_mov_b32_e32 v10, v14
	v_dual_mov_b32 v0, v12 :: v_dual_mov_b32 v1, v13
	s_delay_alu instid0(VALU_DEP_3)
	v_mov_b32_e32 v11, v15
	s_cbranch_vccz .LBB30_13
.LBB30_16:                              ;   Parent Loop BB30_3 Depth=1
                                        ; =>  This Inner Loop Header: Depth=2
	s_load_b64 s[36:37], s[30:31], 0x0
                                        ; implicit-def: $vgpr12_vgpr13
	s_mov_b32 s0, exec_lo
	s_waitcnt lgkmcnt(0)
	v_or_b32_e32 v3, s37, v1
	s_delay_alu instid0(VALU_DEP_1)
	v_cmpx_ne_u64_e32 0, v[2:3]
	s_xor_b32 s27, exec_lo, s0
	s_cbranch_execz .LBB30_18
; %bb.17:                               ;   in Loop: Header=BB30_16 Depth=2
	s_ashr_i32 s38, s37, 31
	s_delay_alu instid0(SALU_CYCLE_1) | instskip(SKIP_2) | instid1(SALU_CYCLE_1)
	s_add_u32 s40, s36, s38
	s_mov_b32 s39, s38
	s_addc_u32 s41, s37, s38
	s_xor_b64 s[40:41], s[40:41], s[38:39]
	s_delay_alu instid0(SALU_CYCLE_1) | instskip(SKIP_3) | instid1(VALU_DEP_1)
	v_cvt_f32_u32_e32 v3, s40
	v_cvt_f32_u32_e32 v12, s41
	s_sub_u32 s0, 0, s40
	s_subb_u32 s39, 0, s41
	v_fmac_f32_e32 v3, 0x4f800000, v12
	s_delay_alu instid0(VALU_DEP_1) | instskip(SKIP_2) | instid1(VALU_DEP_1)
	v_rcp_f32_e32 v3, v3
	s_waitcnt_depctr 0xfff
	v_mul_f32_e32 v3, 0x5f7ffffc, v3
	v_mul_f32_e32 v12, 0x2f800000, v3
	s_delay_alu instid0(VALU_DEP_1) | instskip(NEXT) | instid1(VALU_DEP_1)
	v_trunc_f32_e32 v12, v12
	v_fmac_f32_e32 v3, 0xcf800000, v12
	v_cvt_u32_f32_e32 v12, v12
	s_delay_alu instid0(VALU_DEP_2) | instskip(NEXT) | instid1(VALU_DEP_2)
	v_cvt_u32_f32_e32 v3, v3
	v_mul_lo_u32 v13, s0, v12
	s_delay_alu instid0(VALU_DEP_2) | instskip(SKIP_1) | instid1(VALU_DEP_2)
	v_mul_hi_u32 v14, s0, v3
	v_mul_lo_u32 v15, s39, v3
	v_add_nc_u32_e32 v13, v14, v13
	v_mul_lo_u32 v14, s0, v3
	s_delay_alu instid0(VALU_DEP_2) | instskip(NEXT) | instid1(VALU_DEP_2)
	v_add_nc_u32_e32 v13, v13, v15
	v_mul_hi_u32 v15, v3, v14
	s_delay_alu instid0(VALU_DEP_2)
	v_mul_lo_u32 v17, v3, v13
	v_mul_hi_u32 v18, v3, v13
	v_mul_hi_u32 v19, v12, v14
	v_mul_lo_u32 v14, v12, v14
	v_mul_hi_u32 v20, v12, v13
	v_mul_lo_u32 v13, v12, v13
	v_add_co_u32 v15, vcc_lo, v15, v17
	v_add_co_ci_u32_e32 v17, vcc_lo, 0, v18, vcc_lo
	s_delay_alu instid0(VALU_DEP_2) | instskip(NEXT) | instid1(VALU_DEP_2)
	v_add_co_u32 v14, vcc_lo, v15, v14
	v_add_co_ci_u32_e32 v14, vcc_lo, v17, v19, vcc_lo
	v_add_co_ci_u32_e32 v15, vcc_lo, 0, v20, vcc_lo
	v_ashrrev_i32_e32 v19, 31, v1
	s_delay_alu instid0(VALU_DEP_3) | instskip(NEXT) | instid1(VALU_DEP_3)
	v_add_co_u32 v13, vcc_lo, v14, v13
	v_add_co_ci_u32_e32 v14, vcc_lo, 0, v15, vcc_lo
	s_delay_alu instid0(VALU_DEP_2) | instskip(NEXT) | instid1(VALU_DEP_2)
	v_add_co_u32 v3, vcc_lo, v3, v13
	v_add_co_ci_u32_e32 v12, vcc_lo, v12, v14, vcc_lo
	s_delay_alu instid0(VALU_DEP_2) | instskip(SKIP_1) | instid1(VALU_DEP_3)
	v_mul_hi_u32 v13, s0, v3
	v_mul_lo_u32 v15, s39, v3
	v_mul_lo_u32 v14, s0, v12
	s_delay_alu instid0(VALU_DEP_1) | instskip(SKIP_1) | instid1(VALU_DEP_2)
	v_add_nc_u32_e32 v13, v13, v14
	v_mul_lo_u32 v14, s0, v3
	v_add_nc_u32_e32 v13, v13, v15
	s_delay_alu instid0(VALU_DEP_2) | instskip(NEXT) | instid1(VALU_DEP_2)
	v_mul_hi_u32 v15, v3, v14
	v_mul_lo_u32 v17, v3, v13
	v_mul_hi_u32 v18, v3, v13
	v_mul_hi_u32 v20, v12, v14
	v_mul_lo_u32 v14, v12, v14
	v_mul_hi_u32 v21, v12, v13
	v_mul_lo_u32 v13, v12, v13
	v_add_co_u32 v15, vcc_lo, v15, v17
	v_add_co_ci_u32_e32 v17, vcc_lo, 0, v18, vcc_lo
	s_delay_alu instid0(VALU_DEP_2) | instskip(NEXT) | instid1(VALU_DEP_2)
	v_add_co_u32 v14, vcc_lo, v15, v14
	v_add_co_ci_u32_e32 v14, vcc_lo, v17, v20, vcc_lo
	v_add_co_ci_u32_e32 v15, vcc_lo, 0, v21, vcc_lo
	v_add_co_u32 v17, vcc_lo, v0, v19
	v_add_co_ci_u32_e32 v18, vcc_lo, v1, v19, vcc_lo
	s_delay_alu instid0(VALU_DEP_4) | instskip(NEXT) | instid1(VALU_DEP_4)
	v_add_co_u32 v13, vcc_lo, v14, v13
	v_add_co_ci_u32_e32 v14, vcc_lo, 0, v15, vcc_lo
	s_delay_alu instid0(VALU_DEP_4) | instskip(NEXT) | instid1(VALU_DEP_3)
	v_xor_b32_e32 v20, v17, v19
	v_add_co_u32 v3, vcc_lo, v3, v13
	s_delay_alu instid0(VALU_DEP_3) | instskip(SKIP_1) | instid1(VALU_DEP_3)
	v_add_co_ci_u32_e32 v21, vcc_lo, v12, v14, vcc_lo
	v_xor_b32_e32 v22, v18, v19
	v_mul_hi_u32 v23, v20, v3
	s_delay_alu instid0(VALU_DEP_3) | instskip(NEXT) | instid1(VALU_DEP_3)
	v_mad_u64_u32 v[12:13], null, v20, v21, 0
	v_mad_u64_u32 v[14:15], null, v22, v3, 0
	;; [unrolled: 1-line block ×3, first 2 shown]
	s_delay_alu instid0(VALU_DEP_3) | instskip(NEXT) | instid1(VALU_DEP_4)
	v_add_co_u32 v3, vcc_lo, v23, v12
	v_add_co_ci_u32_e32 v12, vcc_lo, 0, v13, vcc_lo
	s_delay_alu instid0(VALU_DEP_2) | instskip(NEXT) | instid1(VALU_DEP_2)
	v_add_co_u32 v3, vcc_lo, v3, v14
	v_add_co_ci_u32_e32 v3, vcc_lo, v12, v15, vcc_lo
	v_add_co_ci_u32_e32 v12, vcc_lo, 0, v18, vcc_lo
	s_delay_alu instid0(VALU_DEP_2) | instskip(NEXT) | instid1(VALU_DEP_2)
	v_add_co_u32 v3, vcc_lo, v3, v17
	v_add_co_ci_u32_e32 v14, vcc_lo, 0, v12, vcc_lo
	s_delay_alu instid0(VALU_DEP_2) | instskip(SKIP_1) | instid1(VALU_DEP_3)
	v_mul_lo_u32 v15, s41, v3
	v_mad_u64_u32 v[12:13], null, s40, v3, 0
	v_mul_lo_u32 v17, s40, v14
	s_delay_alu instid0(VALU_DEP_2) | instskip(NEXT) | instid1(VALU_DEP_2)
	v_sub_co_u32 v12, vcc_lo, v20, v12
	v_add3_u32 v13, v13, v17, v15
	s_delay_alu instid0(VALU_DEP_1) | instskip(NEXT) | instid1(VALU_DEP_1)
	v_sub_nc_u32_e32 v15, v22, v13
	v_subrev_co_ci_u32_e64 v15, s0, s41, v15, vcc_lo
	v_add_co_u32 v17, s0, v3, 2
	s_delay_alu instid0(VALU_DEP_1) | instskip(SKIP_3) | instid1(VALU_DEP_3)
	v_add_co_ci_u32_e64 v18, s0, 0, v14, s0
	v_sub_co_u32 v20, s0, v12, s40
	v_sub_co_ci_u32_e32 v13, vcc_lo, v22, v13, vcc_lo
	v_subrev_co_ci_u32_e64 v15, s0, 0, v15, s0
	v_cmp_le_u32_e32 vcc_lo, s40, v20
	s_delay_alu instid0(VALU_DEP_3) | instskip(SKIP_1) | instid1(VALU_DEP_4)
	v_cmp_eq_u32_e64 s0, s41, v13
	v_cndmask_b32_e64 v20, 0, -1, vcc_lo
	v_cmp_le_u32_e32 vcc_lo, s41, v15
	v_cndmask_b32_e64 v21, 0, -1, vcc_lo
	v_cmp_le_u32_e32 vcc_lo, s40, v12
	;; [unrolled: 2-line block ×3, first 2 shown]
	v_cndmask_b32_e64 v22, 0, -1, vcc_lo
	v_cmp_eq_u32_e32 vcc_lo, s41, v15
	s_delay_alu instid0(VALU_DEP_2) | instskip(SKIP_3) | instid1(VALU_DEP_3)
	v_cndmask_b32_e64 v12, v22, v12, s0
	v_cndmask_b32_e32 v15, v21, v20, vcc_lo
	v_add_co_u32 v20, vcc_lo, v3, 1
	v_add_co_ci_u32_e32 v21, vcc_lo, 0, v14, vcc_lo
	v_cmp_ne_u32_e32 vcc_lo, 0, v15
	s_delay_alu instid0(VALU_DEP_2) | instskip(NEXT) | instid1(VALU_DEP_4)
	v_cndmask_b32_e32 v13, v21, v18, vcc_lo
	v_cndmask_b32_e32 v15, v20, v17, vcc_lo
	v_cmp_ne_u32_e32 vcc_lo, 0, v12
	v_xor_b32_e32 v17, s38, v19
	s_delay_alu instid0(VALU_DEP_3) | instskip(NEXT) | instid1(VALU_DEP_1)
	v_dual_cndmask_b32 v3, v3, v15 :: v_dual_cndmask_b32 v12, v14, v13
	v_xor_b32_e32 v3, v3, v17
	s_delay_alu instid0(VALU_DEP_2) | instskip(NEXT) | instid1(VALU_DEP_2)
	v_xor_b32_e32 v13, v12, v17
	v_sub_co_u32 v12, vcc_lo, v3, v17
	s_delay_alu instid0(VALU_DEP_2)
	v_sub_co_ci_u32_e32 v13, vcc_lo, v13, v17, vcc_lo
.LBB30_18:                              ;   in Loop: Header=BB30_16 Depth=2
	s_and_not1_saveexec_b32 s0, s27
	s_cbranch_execz .LBB30_15
; %bb.19:                               ;   in Loop: Header=BB30_16 Depth=2
	v_cvt_f32_u32_e32 v3, s36
	s_sub_i32 s27, 0, s36
	s_delay_alu instid0(VALU_DEP_1) | instskip(SKIP_2) | instid1(VALU_DEP_1)
	v_rcp_iflag_f32_e32 v3, v3
	s_waitcnt_depctr 0xfff
	v_mul_f32_e32 v3, 0x4f7ffffe, v3
	v_cvt_u32_f32_e32 v3, v3
	s_delay_alu instid0(VALU_DEP_1) | instskip(NEXT) | instid1(VALU_DEP_1)
	v_mul_lo_u32 v12, s27, v3
	v_mul_hi_u32 v12, v3, v12
	s_delay_alu instid0(VALU_DEP_1) | instskip(NEXT) | instid1(VALU_DEP_1)
	v_add_nc_u32_e32 v3, v3, v12
	v_mul_hi_u32 v3, v0, v3
	s_delay_alu instid0(VALU_DEP_1) | instskip(SKIP_1) | instid1(VALU_DEP_2)
	v_mul_lo_u32 v12, v3, s36
	v_add_nc_u32_e32 v13, 1, v3
	v_sub_nc_u32_e32 v12, v0, v12
	s_delay_alu instid0(VALU_DEP_1) | instskip(SKIP_1) | instid1(VALU_DEP_2)
	v_subrev_nc_u32_e32 v14, s36, v12
	v_cmp_le_u32_e32 vcc_lo, s36, v12
	v_dual_cndmask_b32 v12, v12, v14 :: v_dual_cndmask_b32 v3, v3, v13
	s_delay_alu instid0(VALU_DEP_1) | instskip(NEXT) | instid1(VALU_DEP_2)
	v_cmp_le_u32_e32 vcc_lo, s36, v12
	v_add_nc_u32_e32 v13, 1, v3
	s_delay_alu instid0(VALU_DEP_1)
	v_dual_cndmask_b32 v12, v3, v13 :: v_dual_mov_b32 v13, v2
	s_branch .LBB30_15
.LBB30_20:
	s_nop 0
	s_sendmsg sendmsg(MSG_DEALLOC_VGPRS)
	s_endpgm
	.section	.rodata,"a",@progbits
	.p2align	6, 0x0
	.amdhsa_kernel _ZN2at6native16triu_tril_kernelIN3c107complexIdEElLb0ELi1ELb1EEEvNS_4cuda6detail10TensorInfoIT_T0_EENS7_IKS8_S9_EEllS9_
		.amdhsa_group_segment_fixed_size 0
		.amdhsa_private_segment_fixed_size 0
		.amdhsa_kernarg_size 1112
		.amdhsa_user_sgpr_count 15
		.amdhsa_user_sgpr_dispatch_ptr 0
		.amdhsa_user_sgpr_queue_ptr 0
		.amdhsa_user_sgpr_kernarg_segment_ptr 1
		.amdhsa_user_sgpr_dispatch_id 0
		.amdhsa_user_sgpr_private_segment_size 0
		.amdhsa_wavefront_size32 1
		.amdhsa_uses_dynamic_stack 0
		.amdhsa_enable_private_segment 0
		.amdhsa_system_sgpr_workgroup_id_x 1
		.amdhsa_system_sgpr_workgroup_id_y 0
		.amdhsa_system_sgpr_workgroup_id_z 0
		.amdhsa_system_sgpr_workgroup_info 0
		.amdhsa_system_vgpr_workitem_id 0
		.amdhsa_next_free_vgpr 24
		.amdhsa_next_free_sgpr 43
		.amdhsa_reserve_vcc 1
		.amdhsa_float_round_mode_32 0
		.amdhsa_float_round_mode_16_64 0
		.amdhsa_float_denorm_mode_32 3
		.amdhsa_float_denorm_mode_16_64 3
		.amdhsa_dx10_clamp 1
		.amdhsa_ieee_mode 1
		.amdhsa_fp16_overflow 0
		.amdhsa_workgroup_processor_mode 1
		.amdhsa_memory_ordered 1
		.amdhsa_forward_progress 0
		.amdhsa_shared_vgpr_count 0
		.amdhsa_exception_fp_ieee_invalid_op 0
		.amdhsa_exception_fp_denorm_src 0
		.amdhsa_exception_fp_ieee_div_zero 0
		.amdhsa_exception_fp_ieee_overflow 0
		.amdhsa_exception_fp_ieee_underflow 0
		.amdhsa_exception_fp_ieee_inexact 0
		.amdhsa_exception_int_div_zero 0
	.end_amdhsa_kernel
	.section	.text._ZN2at6native16triu_tril_kernelIN3c107complexIdEElLb0ELi1ELb1EEEvNS_4cuda6detail10TensorInfoIT_T0_EENS7_IKS8_S9_EEllS9_,"axG",@progbits,_ZN2at6native16triu_tril_kernelIN3c107complexIdEElLb0ELi1ELb1EEEvNS_4cuda6detail10TensorInfoIT_T0_EENS7_IKS8_S9_EEllS9_,comdat
.Lfunc_end30:
	.size	_ZN2at6native16triu_tril_kernelIN3c107complexIdEElLb0ELi1ELb1EEEvNS_4cuda6detail10TensorInfoIT_T0_EENS7_IKS8_S9_EEllS9_, .Lfunc_end30-_ZN2at6native16triu_tril_kernelIN3c107complexIdEElLb0ELi1ELb1EEEvNS_4cuda6detail10TensorInfoIT_T0_EENS7_IKS8_S9_EEllS9_
                                        ; -- End function
	.section	.AMDGPU.csdata,"",@progbits
; Kernel info:
; codeLenInByte = 3828
; NumSgprs: 45
; NumVgprs: 24
; ScratchSize: 0
; MemoryBound: 0
; FloatMode: 240
; IeeeMode: 1
; LDSByteSize: 0 bytes/workgroup (compile time only)
; SGPRBlocks: 5
; VGPRBlocks: 2
; NumSGPRsForWavesPerEU: 45
; NumVGPRsForWavesPerEU: 24
; Occupancy: 16
; WaveLimiterHint : 0
; COMPUTE_PGM_RSRC2:SCRATCH_EN: 0
; COMPUTE_PGM_RSRC2:USER_SGPR: 15
; COMPUTE_PGM_RSRC2:TRAP_HANDLER: 0
; COMPUTE_PGM_RSRC2:TGID_X_EN: 1
; COMPUTE_PGM_RSRC2:TGID_Y_EN: 0
; COMPUTE_PGM_RSRC2:TGID_Z_EN: 0
; COMPUTE_PGM_RSRC2:TIDIG_COMP_CNT: 0
	.section	.text._ZN2at6native16triu_tril_kernelIN3c107complexIdEElLb0ELi1ELb0EEEvNS_4cuda6detail10TensorInfoIT_T0_EENS7_IKS8_S9_EEllS9_,"axG",@progbits,_ZN2at6native16triu_tril_kernelIN3c107complexIdEElLb0ELi1ELb0EEEvNS_4cuda6detail10TensorInfoIT_T0_EENS7_IKS8_S9_EEllS9_,comdat
	.protected	_ZN2at6native16triu_tril_kernelIN3c107complexIdEElLb0ELi1ELb0EEEvNS_4cuda6detail10TensorInfoIT_T0_EENS7_IKS8_S9_EEllS9_ ; -- Begin function _ZN2at6native16triu_tril_kernelIN3c107complexIdEElLb0ELi1ELb0EEEvNS_4cuda6detail10TensorInfoIT_T0_EENS7_IKS8_S9_EEllS9_
	.globl	_ZN2at6native16triu_tril_kernelIN3c107complexIdEElLb0ELi1ELb0EEEvNS_4cuda6detail10TensorInfoIT_T0_EENS7_IKS8_S9_EEllS9_
	.p2align	8
	.type	_ZN2at6native16triu_tril_kernelIN3c107complexIdEElLb0ELi1ELb0EEEvNS_4cuda6detail10TensorInfoIT_T0_EENS7_IKS8_S9_EEllS9_,@function
_ZN2at6native16triu_tril_kernelIN3c107complexIdEElLb0ELi1ELb0EEEvNS_4cuda6detail10TensorInfoIT_T0_EENS7_IKS8_S9_EEllS9_: ; @_ZN2at6native16triu_tril_kernelIN3c107complexIdEElLb0ELi1ELb0EEEvNS_4cuda6detail10TensorInfoIT_T0_EENS7_IKS8_S9_EEllS9_
; %bb.0:
	s_clause 0x1
	s_load_b32 s2, s[0:1], 0x364
	s_load_b128 s[4:7], s[0:1], 0x340
	v_mov_b32_e32 v4, 0
	s_add_u32 s8, s0, 0x358
	s_addc_u32 s9, s1, 0
	s_delay_alu instid0(VALU_DEP_1) | instskip(SKIP_3) | instid1(VALU_DEP_1)
	v_mov_b32_e32 v1, v4
	s_waitcnt lgkmcnt(0)
	s_and_b32 s24, s2, 0xffff
	s_mov_b32 s2, exec_lo
	v_mad_u64_u32 v[6:7], null, s24, s15, v[0:1]
	s_delay_alu instid0(VALU_DEP_1)
	v_cmpx_gt_i64_e64 s[6:7], v[6:7]
	s_cbranch_execz .LBB31_21
; %bb.1:
	s_clause 0x1
	s_load_b32 s26, s[0:1], 0x338
	s_load_b64 s[2:3], s[0:1], 0x350
	s_add_u32 s10, s0, 0x1a0
	s_addc_u32 s11, s1, 0
	s_load_b32 s25, s[8:9], 0x0
	s_clause 0x1
	s_load_b64 s[20:21], s[0:1], 0x1a0
	s_load_b64 s[22:23], s[0:1], 0x0
	s_mov_b32 s46, 0
	s_waitcnt lgkmcnt(0)
	s_ashr_i32 s27, s26, 31
	s_add_u32 s30, s0, 0x1a8
	s_addc_u32 s31, s1, 0
	s_lshl_b64 s[8:9], s[26:27], 3
	v_cvt_f32_u32_e32 v0, s2
	s_add_u32 s14, s8, -16
	s_addc_u32 s15, s9, -1
	s_add_u32 s8, s30, s14
	s_addc_u32 s9, s31, s15
	s_add_u32 s12, s10, s14
	s_addc_u32 s13, s11, s15
	;; [unrolled: 2-line block ×4, first 2 shown]
	s_clause 0x2
	s_load_b128 s[8:11], s[8:9], 0x0
	s_load_b128 s[12:15], s[12:13], 0xd0
	;; [unrolled: 1-line block ×3, first 2 shown]
	v_rcp_iflag_f32_e32 v0, v0
	s_add_i32 s28, s26, -3
	v_cmp_gt_i64_e64 s1, s[26:27], 2
	s_ashr_i32 s29, s28, 31
	s_mul_i32 s33, s25, s24
	s_lshl_b64 s[26:27], s[28:29], 3
	s_delay_alu instid0(SALU_CYCLE_1)
	s_add_u32 s24, s34, s26
	s_addc_u32 s25, s35, s27
	s_add_u32 s26, s30, s26
	s_waitcnt_depctr 0xfff
	v_mul_f32_e32 v0, 0x4f7ffffe, v0
	s_addc_u32 s27, s31, s27
	s_add_u32 s28, s28, 1
	s_addc_u32 s29, s29, 0
	s_ashr_i32 s30, s3, 31
	v_cvt_u32_f32_e32 v18, v0
	s_branch .LBB31_3
.LBB31_2:                               ;   in Loop: Header=BB31_3 Depth=1
	s_or_b32 exec_lo, exec_lo, s0
	v_add_co_u32 v6, vcc_lo, v6, s33
	v_add_co_ci_u32_e32 v7, vcc_lo, 0, v7, vcc_lo
	s_delay_alu instid0(VALU_DEP_1) | instskip(SKIP_1) | instid1(SALU_CYCLE_1)
	v_cmp_le_i64_e32 vcc_lo, s[6:7], v[6:7]
	s_or_b32 s46, vcc_lo, s46
	s_and_not1_b32 exec_lo, exec_lo, s46
	s_cbranch_execz .LBB31_21
.LBB31_3:                               ; =>This Loop Header: Depth=1
                                        ;     Child Loop BB31_17 Depth 2
	v_or_b32_e32 v5, s3, v7
                                        ; implicit-def: $vgpr8_vgpr9
	s_mov_b32 s0, exec_lo
	s_delay_alu instid0(VALU_DEP_1)
	v_cmpx_ne_u64_e32 0, v[4:5]
	s_xor_b32 s36, exec_lo, s0
	s_cbranch_execz .LBB31_5
; %bb.4:                                ;   in Loop: Header=BB31_3 Depth=1
	s_add_u32 s34, s2, s30
	s_mov_b32 s31, s30
	s_addc_u32 s35, s3, s30
	s_delay_alu instid0(SALU_CYCLE_1)
	s_xor_b64 s[34:35], s[34:35], s[30:31]
	s_waitcnt vmcnt(0)
	v_cvt_f32_u32_e32 v0, s34
	v_cvt_f32_u32_e32 v1, s35
	s_sub_u32 s0, 0, s34
	s_subb_u32 s31, 0, s35
	s_delay_alu instid0(VALU_DEP_1) | instskip(NEXT) | instid1(VALU_DEP_1)
	v_fmac_f32_e32 v0, 0x4f800000, v1
	v_rcp_f32_e32 v0, v0
	s_waitcnt_depctr 0xfff
	v_mul_f32_e32 v0, 0x5f7ffffc, v0
	s_delay_alu instid0(VALU_DEP_1) | instskip(NEXT) | instid1(VALU_DEP_1)
	v_mul_f32_e32 v1, 0x2f800000, v0
	v_trunc_f32_e32 v1, v1
	s_delay_alu instid0(VALU_DEP_1) | instskip(SKIP_1) | instid1(VALU_DEP_2)
	v_fmac_f32_e32 v0, 0xcf800000, v1
	v_cvt_u32_f32_e32 v1, v1
	v_cvt_u32_f32_e32 v0, v0
	s_delay_alu instid0(VALU_DEP_2) | instskip(NEXT) | instid1(VALU_DEP_2)
	v_mul_lo_u32 v2, s0, v1
	v_mul_hi_u32 v3, s0, v0
	v_mul_lo_u32 v5, s31, v0
	s_delay_alu instid0(VALU_DEP_2) | instskip(SKIP_1) | instid1(VALU_DEP_2)
	v_add_nc_u32_e32 v2, v3, v2
	v_mul_lo_u32 v3, s0, v0
	v_add_nc_u32_e32 v2, v2, v5
	s_delay_alu instid0(VALU_DEP_2) | instskip(NEXT) | instid1(VALU_DEP_2)
	v_mul_hi_u32 v5, v0, v3
	v_mul_lo_u32 v8, v0, v2
	v_mul_hi_u32 v9, v0, v2
	v_mul_hi_u32 v10, v1, v3
	v_mul_lo_u32 v3, v1, v3
	v_mul_hi_u32 v11, v1, v2
	v_mul_lo_u32 v2, v1, v2
	v_add_co_u32 v5, vcc_lo, v5, v8
	v_add_co_ci_u32_e32 v8, vcc_lo, 0, v9, vcc_lo
	s_delay_alu instid0(VALU_DEP_2) | instskip(NEXT) | instid1(VALU_DEP_2)
	v_add_co_u32 v3, vcc_lo, v5, v3
	v_add_co_ci_u32_e32 v3, vcc_lo, v8, v10, vcc_lo
	v_add_co_ci_u32_e32 v5, vcc_lo, 0, v11, vcc_lo
	v_ashrrev_i32_e32 v10, 31, v7
	s_delay_alu instid0(VALU_DEP_3) | instskip(NEXT) | instid1(VALU_DEP_3)
	v_add_co_u32 v2, vcc_lo, v3, v2
	v_add_co_ci_u32_e32 v3, vcc_lo, 0, v5, vcc_lo
	s_delay_alu instid0(VALU_DEP_2) | instskip(NEXT) | instid1(VALU_DEP_2)
	v_add_co_u32 v0, vcc_lo, v0, v2
	v_add_co_ci_u32_e32 v1, vcc_lo, v1, v3, vcc_lo
	s_delay_alu instid0(VALU_DEP_2) | instskip(SKIP_1) | instid1(VALU_DEP_3)
	v_mul_hi_u32 v2, s0, v0
	v_mul_lo_u32 v5, s31, v0
	v_mul_lo_u32 v3, s0, v1
	s_delay_alu instid0(VALU_DEP_1) | instskip(SKIP_1) | instid1(VALU_DEP_2)
	v_add_nc_u32_e32 v2, v2, v3
	v_mul_lo_u32 v3, s0, v0
	v_add_nc_u32_e32 v2, v2, v5
	s_delay_alu instid0(VALU_DEP_2) | instskip(NEXT) | instid1(VALU_DEP_2)
	v_mul_hi_u32 v5, v0, v3
	v_mul_lo_u32 v8, v0, v2
	v_mul_hi_u32 v9, v0, v2
	v_mul_hi_u32 v11, v1, v3
	v_mul_lo_u32 v3, v1, v3
	v_mul_hi_u32 v12, v1, v2
	v_mul_lo_u32 v2, v1, v2
	v_add_co_u32 v5, vcc_lo, v5, v8
	v_add_co_ci_u32_e32 v8, vcc_lo, 0, v9, vcc_lo
	s_delay_alu instid0(VALU_DEP_2) | instskip(NEXT) | instid1(VALU_DEP_2)
	v_add_co_u32 v3, vcc_lo, v5, v3
	v_add_co_ci_u32_e32 v3, vcc_lo, v8, v11, vcc_lo
	v_add_co_ci_u32_e32 v5, vcc_lo, 0, v12, vcc_lo
	v_add_co_u32 v8, vcc_lo, v6, v10
	v_add_co_ci_u32_e32 v9, vcc_lo, v7, v10, vcc_lo
	s_delay_alu instid0(VALU_DEP_4) | instskip(NEXT) | instid1(VALU_DEP_4)
	v_add_co_u32 v2, vcc_lo, v3, v2
	v_add_co_ci_u32_e32 v3, vcc_lo, 0, v5, vcc_lo
	s_delay_alu instid0(VALU_DEP_4) | instskip(NEXT) | instid1(VALU_DEP_3)
	v_xor_b32_e32 v5, v8, v10
	v_add_co_u32 v8, vcc_lo, v0, v2
	s_delay_alu instid0(VALU_DEP_3) | instskip(SKIP_1) | instid1(VALU_DEP_3)
	v_add_co_ci_u32_e32 v11, vcc_lo, v1, v3, vcc_lo
	v_xor_b32_e32 v12, v9, v10
	v_mul_hi_u32 v13, v5, v8
	s_delay_alu instid0(VALU_DEP_3) | instskip(NEXT) | instid1(VALU_DEP_3)
	v_mad_u64_u32 v[0:1], null, v5, v11, 0
	v_mad_u64_u32 v[2:3], null, v12, v8, 0
	;; [unrolled: 1-line block ×3, first 2 shown]
	s_delay_alu instid0(VALU_DEP_3) | instskip(NEXT) | instid1(VALU_DEP_4)
	v_add_co_u32 v0, vcc_lo, v13, v0
	v_add_co_ci_u32_e32 v1, vcc_lo, 0, v1, vcc_lo
	s_delay_alu instid0(VALU_DEP_2) | instskip(NEXT) | instid1(VALU_DEP_2)
	v_add_co_u32 v0, vcc_lo, v0, v2
	v_add_co_ci_u32_e32 v0, vcc_lo, v1, v3, vcc_lo
	v_add_co_ci_u32_e32 v1, vcc_lo, 0, v9, vcc_lo
	s_delay_alu instid0(VALU_DEP_2) | instskip(NEXT) | instid1(VALU_DEP_2)
	v_add_co_u32 v2, vcc_lo, v0, v8
	v_add_co_ci_u32_e32 v3, vcc_lo, 0, v1, vcc_lo
	s_delay_alu instid0(VALU_DEP_2) | instskip(SKIP_1) | instid1(VALU_DEP_3)
	v_mul_lo_u32 v8, s35, v2
	v_mad_u64_u32 v[0:1], null, s34, v2, 0
	v_mul_lo_u32 v9, s34, v3
	s_delay_alu instid0(VALU_DEP_2) | instskip(NEXT) | instid1(VALU_DEP_2)
	v_sub_co_u32 v0, vcc_lo, v5, v0
	v_add3_u32 v1, v1, v9, v8
	s_delay_alu instid0(VALU_DEP_1) | instskip(NEXT) | instid1(VALU_DEP_1)
	v_sub_nc_u32_e32 v8, v12, v1
	v_subrev_co_ci_u32_e64 v5, s0, s35, v8, vcc_lo
	v_add_co_u32 v8, s0, v2, 2
	s_delay_alu instid0(VALU_DEP_1) | instskip(SKIP_3) | instid1(VALU_DEP_3)
	v_add_co_ci_u32_e64 v9, s0, 0, v3, s0
	v_sub_co_u32 v11, s0, v0, s34
	v_sub_co_ci_u32_e32 v1, vcc_lo, v12, v1, vcc_lo
	v_subrev_co_ci_u32_e64 v5, s0, 0, v5, s0
	v_cmp_le_u32_e32 vcc_lo, s34, v11
	s_delay_alu instid0(VALU_DEP_3) | instskip(SKIP_1) | instid1(VALU_DEP_4)
	v_cmp_eq_u32_e64 s0, s35, v1
	v_cndmask_b32_e64 v11, 0, -1, vcc_lo
	v_cmp_le_u32_e32 vcc_lo, s35, v5
	v_cndmask_b32_e64 v12, 0, -1, vcc_lo
	v_cmp_le_u32_e32 vcc_lo, s34, v0
	;; [unrolled: 2-line block ×3, first 2 shown]
	v_cndmask_b32_e64 v13, 0, -1, vcc_lo
	v_cmp_eq_u32_e32 vcc_lo, s35, v5
	s_delay_alu instid0(VALU_DEP_2) | instskip(SKIP_3) | instid1(VALU_DEP_3)
	v_cndmask_b32_e64 v0, v13, v0, s0
	v_cndmask_b32_e32 v5, v12, v11, vcc_lo
	v_add_co_u32 v11, vcc_lo, v2, 1
	v_add_co_ci_u32_e32 v12, vcc_lo, 0, v3, vcc_lo
	v_cmp_ne_u32_e32 vcc_lo, 0, v5
	s_delay_alu instid0(VALU_DEP_2) | instskip(NEXT) | instid1(VALU_DEP_4)
	v_cndmask_b32_e32 v1, v12, v9, vcc_lo
	v_cndmask_b32_e32 v5, v11, v8, vcc_lo
	v_cmp_ne_u32_e32 vcc_lo, 0, v0
	v_xor_b32_e32 v0, s30, v10
	s_delay_alu instid0(VALU_DEP_4) | instskip(NEXT) | instid1(VALU_DEP_4)
	v_cndmask_b32_e32 v1, v3, v1, vcc_lo
	v_cndmask_b32_e32 v2, v2, v5, vcc_lo
	s_delay_alu instid0(VALU_DEP_2) | instskip(NEXT) | instid1(VALU_DEP_2)
	v_xor_b32_e32 v1, v1, v0
	v_xor_b32_e32 v2, v2, v0
	s_delay_alu instid0(VALU_DEP_1) | instskip(NEXT) | instid1(VALU_DEP_3)
	v_sub_co_u32 v8, vcc_lo, v2, v0
	v_sub_co_ci_u32_e32 v9, vcc_lo, v1, v0, vcc_lo
.LBB31_5:                               ;   in Loop: Header=BB31_3 Depth=1
	s_and_not1_saveexec_b32 s0, s36
	s_cbranch_execz .LBB31_7
; %bb.6:                                ;   in Loop: Header=BB31_3 Depth=1
	s_sub_i32 s31, 0, s2
	v_mov_b32_e32 v9, v4
	s_waitcnt vmcnt(0)
	v_mul_lo_u32 v0, s31, v18
	s_delay_alu instid0(VALU_DEP_1) | instskip(NEXT) | instid1(VALU_DEP_1)
	v_mul_hi_u32 v0, v18, v0
	v_add_nc_u32_e32 v0, v18, v0
	s_delay_alu instid0(VALU_DEP_1) | instskip(NEXT) | instid1(VALU_DEP_1)
	v_mul_hi_u32 v0, v6, v0
	v_mul_lo_u32 v1, v0, s2
	v_add_nc_u32_e32 v2, 1, v0
	s_delay_alu instid0(VALU_DEP_2) | instskip(NEXT) | instid1(VALU_DEP_1)
	v_sub_nc_u32_e32 v1, v6, v1
	v_subrev_nc_u32_e32 v3, s2, v1
	v_cmp_le_u32_e32 vcc_lo, s2, v1
	s_delay_alu instid0(VALU_DEP_2) | instskip(NEXT) | instid1(VALU_DEP_1)
	v_dual_cndmask_b32 v1, v1, v3 :: v_dual_cndmask_b32 v0, v0, v2
	v_cmp_le_u32_e32 vcc_lo, s2, v1
	s_delay_alu instid0(VALU_DEP_2) | instskip(NEXT) | instid1(VALU_DEP_1)
	v_add_nc_u32_e32 v2, 1, v0
	v_cndmask_b32_e32 v8, v0, v2, vcc_lo
.LBB31_7:                               ;   in Loop: Header=BB31_3 Depth=1
	s_or_b32 exec_lo, exec_lo, s0
	s_waitcnt lgkmcnt(0)
	v_or_b32_e32 v5, s9, v9
                                        ; implicit-def: $vgpr0_vgpr1
	s_mov_b32 s0, exec_lo
	s_delay_alu instid0(VALU_DEP_1)
	v_cmpx_ne_u64_e32 0, v[4:5]
	s_xor_b32 s31, exec_lo, s0
	s_cbranch_execz .LBB31_9
; %bb.8:                                ;   in Loop: Header=BB31_3 Depth=1
	s_ashr_i32 s34, s9, 31
	s_delay_alu instid0(SALU_CYCLE_1) | instskip(SKIP_2) | instid1(SALU_CYCLE_1)
	s_add_u32 s36, s8, s34
	s_mov_b32 s35, s34
	s_addc_u32 s37, s9, s34
	s_xor_b64 s[36:37], s[36:37], s[34:35]
	s_waitcnt vmcnt(0)
	v_cvt_f32_u32_e32 v0, s36
	v_cvt_f32_u32_e32 v1, s37
	s_sub_u32 s0, 0, s36
	s_subb_u32 s35, 0, s37
	s_delay_alu instid0(VALU_DEP_1) | instskip(NEXT) | instid1(VALU_DEP_1)
	v_fmac_f32_e32 v0, 0x4f800000, v1
	v_rcp_f32_e32 v0, v0
	s_waitcnt_depctr 0xfff
	v_mul_f32_e32 v0, 0x5f7ffffc, v0
	s_delay_alu instid0(VALU_DEP_1) | instskip(NEXT) | instid1(VALU_DEP_1)
	v_mul_f32_e32 v1, 0x2f800000, v0
	v_trunc_f32_e32 v1, v1
	s_delay_alu instid0(VALU_DEP_1) | instskip(SKIP_1) | instid1(VALU_DEP_2)
	v_fmac_f32_e32 v0, 0xcf800000, v1
	v_cvt_u32_f32_e32 v1, v1
	v_cvt_u32_f32_e32 v0, v0
	s_delay_alu instid0(VALU_DEP_2) | instskip(NEXT) | instid1(VALU_DEP_2)
	v_mul_lo_u32 v2, s0, v1
	v_mul_hi_u32 v3, s0, v0
	v_mul_lo_u32 v5, s35, v0
	s_delay_alu instid0(VALU_DEP_2) | instskip(SKIP_1) | instid1(VALU_DEP_2)
	v_add_nc_u32_e32 v2, v3, v2
	v_mul_lo_u32 v3, s0, v0
	v_add_nc_u32_e32 v2, v2, v5
	s_delay_alu instid0(VALU_DEP_2) | instskip(NEXT) | instid1(VALU_DEP_2)
	v_mul_hi_u32 v5, v0, v3
	v_mul_lo_u32 v10, v0, v2
	v_mul_hi_u32 v11, v0, v2
	v_mul_hi_u32 v12, v1, v3
	v_mul_lo_u32 v3, v1, v3
	v_mul_hi_u32 v13, v1, v2
	v_mul_lo_u32 v2, v1, v2
	v_add_co_u32 v5, vcc_lo, v5, v10
	v_add_co_ci_u32_e32 v10, vcc_lo, 0, v11, vcc_lo
	s_delay_alu instid0(VALU_DEP_2) | instskip(NEXT) | instid1(VALU_DEP_2)
	v_add_co_u32 v3, vcc_lo, v5, v3
	v_add_co_ci_u32_e32 v3, vcc_lo, v10, v12, vcc_lo
	v_add_co_ci_u32_e32 v5, vcc_lo, 0, v13, vcc_lo
	v_ashrrev_i32_e32 v12, 31, v9
	s_delay_alu instid0(VALU_DEP_3) | instskip(NEXT) | instid1(VALU_DEP_3)
	v_add_co_u32 v2, vcc_lo, v3, v2
	v_add_co_ci_u32_e32 v3, vcc_lo, 0, v5, vcc_lo
	s_delay_alu instid0(VALU_DEP_2) | instskip(NEXT) | instid1(VALU_DEP_2)
	v_add_co_u32 v0, vcc_lo, v0, v2
	v_add_co_ci_u32_e32 v1, vcc_lo, v1, v3, vcc_lo
	s_delay_alu instid0(VALU_DEP_2) | instskip(SKIP_1) | instid1(VALU_DEP_3)
	v_mul_hi_u32 v2, s0, v0
	v_mul_lo_u32 v5, s35, v0
	v_mul_lo_u32 v3, s0, v1
	s_delay_alu instid0(VALU_DEP_1) | instskip(SKIP_1) | instid1(VALU_DEP_2)
	v_add_nc_u32_e32 v2, v2, v3
	v_mul_lo_u32 v3, s0, v0
	v_add_nc_u32_e32 v2, v2, v5
	s_delay_alu instid0(VALU_DEP_2) | instskip(NEXT) | instid1(VALU_DEP_2)
	v_mul_hi_u32 v5, v0, v3
	v_mul_lo_u32 v10, v0, v2
	v_mul_hi_u32 v11, v0, v2
	v_mul_hi_u32 v13, v1, v3
	v_mul_lo_u32 v3, v1, v3
	v_mul_hi_u32 v14, v1, v2
	v_mul_lo_u32 v2, v1, v2
	v_add_co_u32 v5, vcc_lo, v5, v10
	v_add_co_ci_u32_e32 v10, vcc_lo, 0, v11, vcc_lo
	s_delay_alu instid0(VALU_DEP_2) | instskip(NEXT) | instid1(VALU_DEP_2)
	v_add_co_u32 v3, vcc_lo, v5, v3
	v_add_co_ci_u32_e32 v3, vcc_lo, v10, v13, vcc_lo
	v_add_co_ci_u32_e32 v5, vcc_lo, 0, v14, vcc_lo
	v_add_co_u32 v10, vcc_lo, v8, v12
	v_add_co_ci_u32_e32 v11, vcc_lo, v9, v12, vcc_lo
	s_delay_alu instid0(VALU_DEP_4) | instskip(NEXT) | instid1(VALU_DEP_4)
	v_add_co_u32 v2, vcc_lo, v3, v2
	v_add_co_ci_u32_e32 v3, vcc_lo, 0, v5, vcc_lo
	s_delay_alu instid0(VALU_DEP_4) | instskip(NEXT) | instid1(VALU_DEP_3)
	v_xor_b32_e32 v5, v10, v12
	v_add_co_u32 v10, vcc_lo, v0, v2
	s_delay_alu instid0(VALU_DEP_3) | instskip(SKIP_1) | instid1(VALU_DEP_3)
	v_add_co_ci_u32_e32 v13, vcc_lo, v1, v3, vcc_lo
	v_xor_b32_e32 v14, v11, v12
	v_mul_hi_u32 v15, v5, v10
	s_delay_alu instid0(VALU_DEP_3) | instskip(NEXT) | instid1(VALU_DEP_3)
	v_mad_u64_u32 v[0:1], null, v5, v13, 0
	v_mad_u64_u32 v[2:3], null, v14, v10, 0
	;; [unrolled: 1-line block ×3, first 2 shown]
	s_delay_alu instid0(VALU_DEP_3) | instskip(NEXT) | instid1(VALU_DEP_4)
	v_add_co_u32 v0, vcc_lo, v15, v0
	v_add_co_ci_u32_e32 v1, vcc_lo, 0, v1, vcc_lo
	s_delay_alu instid0(VALU_DEP_2) | instskip(NEXT) | instid1(VALU_DEP_2)
	v_add_co_u32 v0, vcc_lo, v0, v2
	v_add_co_ci_u32_e32 v0, vcc_lo, v1, v3, vcc_lo
	v_add_co_ci_u32_e32 v1, vcc_lo, 0, v11, vcc_lo
	s_delay_alu instid0(VALU_DEP_2) | instskip(NEXT) | instid1(VALU_DEP_2)
	v_add_co_u32 v2, vcc_lo, v0, v10
	v_add_co_ci_u32_e32 v3, vcc_lo, 0, v1, vcc_lo
	s_delay_alu instid0(VALU_DEP_2) | instskip(SKIP_1) | instid1(VALU_DEP_3)
	v_mul_lo_u32 v10, s37, v2
	v_mad_u64_u32 v[0:1], null, s36, v2, 0
	v_mul_lo_u32 v11, s36, v3
	s_delay_alu instid0(VALU_DEP_2) | instskip(NEXT) | instid1(VALU_DEP_2)
	v_sub_co_u32 v0, vcc_lo, v5, v0
	v_add3_u32 v1, v1, v11, v10
	s_delay_alu instid0(VALU_DEP_1) | instskip(NEXT) | instid1(VALU_DEP_1)
	v_sub_nc_u32_e32 v10, v14, v1
	v_subrev_co_ci_u32_e64 v5, s0, s37, v10, vcc_lo
	v_add_co_u32 v10, s0, v2, 2
	s_delay_alu instid0(VALU_DEP_1) | instskip(SKIP_3) | instid1(VALU_DEP_3)
	v_add_co_ci_u32_e64 v11, s0, 0, v3, s0
	v_sub_co_u32 v13, s0, v0, s36
	v_sub_co_ci_u32_e32 v1, vcc_lo, v14, v1, vcc_lo
	v_subrev_co_ci_u32_e64 v5, s0, 0, v5, s0
	v_cmp_le_u32_e32 vcc_lo, s36, v13
	s_delay_alu instid0(VALU_DEP_3) | instskip(SKIP_1) | instid1(VALU_DEP_4)
	v_cmp_eq_u32_e64 s0, s37, v1
	v_cndmask_b32_e64 v13, 0, -1, vcc_lo
	v_cmp_le_u32_e32 vcc_lo, s37, v5
	v_cndmask_b32_e64 v14, 0, -1, vcc_lo
	v_cmp_le_u32_e32 vcc_lo, s36, v0
	;; [unrolled: 2-line block ×3, first 2 shown]
	v_cndmask_b32_e64 v15, 0, -1, vcc_lo
	v_cmp_eq_u32_e32 vcc_lo, s37, v5
	s_delay_alu instid0(VALU_DEP_2) | instskip(SKIP_3) | instid1(VALU_DEP_3)
	v_cndmask_b32_e64 v0, v15, v0, s0
	v_cndmask_b32_e32 v5, v14, v13, vcc_lo
	v_add_co_u32 v13, vcc_lo, v2, 1
	v_add_co_ci_u32_e32 v14, vcc_lo, 0, v3, vcc_lo
	v_cmp_ne_u32_e32 vcc_lo, 0, v5
	s_delay_alu instid0(VALU_DEP_3) | instskip(NEXT) | instid1(VALU_DEP_3)
	v_cndmask_b32_e32 v5, v13, v10, vcc_lo
	v_cndmask_b32_e32 v1, v14, v11, vcc_lo
	v_cmp_ne_u32_e32 vcc_lo, 0, v0
	v_xor_b32_e32 v10, s34, v12
	s_delay_alu instid0(VALU_DEP_3) | instskip(SKIP_1) | instid1(VALU_DEP_2)
	v_cndmask_b32_e32 v0, v3, v1, vcc_lo
	v_cndmask_b32_e32 v1, v2, v5, vcc_lo
	v_xor_b32_e32 v2, v0, v10
	s_delay_alu instid0(VALU_DEP_2) | instskip(NEXT) | instid1(VALU_DEP_1)
	v_xor_b32_e32 v1, v1, v10
	v_sub_co_u32 v0, vcc_lo, v1, v10
	s_delay_alu instid0(VALU_DEP_3)
	v_sub_co_ci_u32_e32 v1, vcc_lo, v2, v10, vcc_lo
.LBB31_9:                               ;   in Loop: Header=BB31_3 Depth=1
	s_and_not1_saveexec_b32 s0, s31
	s_cbranch_execz .LBB31_11
; %bb.10:                               ;   in Loop: Header=BB31_3 Depth=1
	s_waitcnt vmcnt(0)
	v_cvt_f32_u32_e32 v0, s8
	s_sub_i32 s31, 0, s8
	s_delay_alu instid0(VALU_DEP_1) | instskip(SKIP_2) | instid1(VALU_DEP_1)
	v_rcp_iflag_f32_e32 v0, v0
	s_waitcnt_depctr 0xfff
	v_mul_f32_e32 v0, 0x4f7ffffe, v0
	v_cvt_u32_f32_e32 v0, v0
	s_delay_alu instid0(VALU_DEP_1) | instskip(NEXT) | instid1(VALU_DEP_1)
	v_mul_lo_u32 v1, s31, v0
	v_mul_hi_u32 v1, v0, v1
	s_delay_alu instid0(VALU_DEP_1) | instskip(NEXT) | instid1(VALU_DEP_1)
	v_add_nc_u32_e32 v0, v0, v1
	v_mul_hi_u32 v0, v8, v0
	s_delay_alu instid0(VALU_DEP_1) | instskip(SKIP_1) | instid1(VALU_DEP_2)
	v_mul_lo_u32 v1, v0, s8
	v_add_nc_u32_e32 v2, 1, v0
	v_sub_nc_u32_e32 v1, v8, v1
	s_delay_alu instid0(VALU_DEP_1) | instskip(SKIP_1) | instid1(VALU_DEP_2)
	v_subrev_nc_u32_e32 v3, s8, v1
	v_cmp_le_u32_e32 vcc_lo, s8, v1
	v_dual_cndmask_b32 v1, v1, v3 :: v_dual_cndmask_b32 v0, v0, v2
	s_delay_alu instid0(VALU_DEP_1) | instskip(NEXT) | instid1(VALU_DEP_2)
	v_cmp_le_u32_e32 vcc_lo, s8, v1
	v_dual_mov_b32 v1, v4 :: v_dual_add_nc_u32 v2, 1, v0
	s_delay_alu instid0(VALU_DEP_1)
	v_cndmask_b32_e32 v0, v0, v2, vcc_lo
.LBB31_11:                              ;   in Loop: Header=BB31_3 Depth=1
	s_or_b32 exec_lo, exec_lo, s0
	v_mul_lo_u32 v5, v9, s2
	v_mul_lo_u32 v12, v8, s3
	s_waitcnt vmcnt(0)
	v_mad_u64_u32 v[2:3], null, v8, s2, 0
	v_mul_lo_u32 v13, v1, s8
	v_mul_lo_u32 v14, v0, s9
	v_mad_u64_u32 v[10:11], null, v0, s8, 0
	s_mov_b64 s[34:35], s[28:29]
	s_mov_b64 s[36:37], s[26:27]
	s_delay_alu instid0(VALU_DEP_4) | instskip(SKIP_2) | instid1(VALU_DEP_3)
	v_add3_u32 v3, v3, v12, v5
	v_sub_co_u32 v2, vcc_lo, v6, v2
	s_mov_b64 s[38:39], s[24:25]
	v_add3_u32 v5, v11, v14, v13
	s_delay_alu instid0(VALU_DEP_3) | instskip(NEXT) | instid1(VALU_DEP_3)
	v_sub_co_ci_u32_e32 v3, vcc_lo, v7, v3, vcc_lo
	v_mul_lo_u32 v11, s15, v2
	v_mul_lo_u32 v12, s19, v2
	v_mad_u64_u32 v[14:15], null, s18, v2, 0
	s_delay_alu instid0(VALU_DEP_4)
	v_mul_lo_u32 v13, s14, v3
	v_mul_lo_u32 v16, s18, v3
	v_mad_u64_u32 v[21:22], null, s14, v2, 0
	v_sub_co_u32 v19, vcc_lo, v8, v10
	v_sub_co_ci_u32_e32 v20, vcc_lo, v9, v5, vcc_lo
	s_and_b32 vcc_lo, exec_lo, s1
	s_delay_alu instid0(VALU_DEP_4) | instskip(NEXT) | instid1(VALU_DEP_4)
	v_add3_u32 v15, v15, v16, v12
	v_add3_u32 v22, v22, v13, v11
	v_mul_lo_u32 v5, s13, v19
	v_mul_lo_u32 v8, s12, v20
	;; [unrolled: 1-line block ×3, first 2 shown]
	v_mad_u64_u32 v[12:13], null, s16, v19, v[14:15]
	v_mul_lo_u32 v10, s17, v19
	v_mad_u64_u32 v[16:17], null, s12, v19, v[21:22]
	s_delay_alu instid0(VALU_DEP_2) | instskip(NEXT) | instid1(VALU_DEP_2)
	v_add3_u32 v13, v10, v13, v9
	v_add3_u32 v17, v5, v17, v8
	v_mov_b32_e32 v8, v12
	s_delay_alu instid0(VALU_DEP_3) | instskip(NEXT) | instid1(VALU_DEP_3)
	v_dual_mov_b32 v10, v16 :: v_dual_mov_b32 v9, v13
	v_mov_b32_e32 v11, v17
	s_cbranch_vccnz .LBB31_17
.LBB31_12:                              ;   in Loop: Header=BB31_3 Depth=1
	v_sub_co_u32 v8, vcc_lo, v2, v19
	v_sub_co_ci_u32_e32 v9, vcc_lo, v3, v20, vcc_lo
	v_mov_b32_e32 v0, 0
	v_mov_b32_e32 v1, 0
	v_cmp_gt_i64_e32 vcc_lo, s[10:11], v[2:3]
	s_delay_alu instid0(VALU_DEP_4) | instskip(NEXT) | instid1(VALU_DEP_3)
	v_cmp_ge_i64_e64 s0, s[4:5], v[8:9]
	v_dual_mov_b32 v3, v1 :: v_dual_mov_b32 v2, v0
	s_delay_alu instid0(VALU_DEP_2) | instskip(NEXT) | instid1(SALU_CYCLE_1)
	s_and_b32 s0, s0, vcc_lo
	s_and_saveexec_b32 s31, s0
	s_cbranch_execz .LBB31_14
; %bb.13:                               ;   in Loop: Header=BB31_3 Depth=1
	v_lshlrev_b64 v[0:1], 4, v[16:17]
	s_delay_alu instid0(VALU_DEP_1) | instskip(NEXT) | instid1(VALU_DEP_1)
	v_add_co_u32 v0, s0, s20, v0
	v_add_co_ci_u32_e64 v1, s0, s21, v1, s0
	global_load_b128 v[0:3], v[0:1], off
.LBB31_14:                              ;   in Loop: Header=BB31_3 Depth=1
	s_or_b32 exec_lo, exec_lo, s31
	s_and_saveexec_b32 s0, vcc_lo
	s_cbranch_execz .LBB31_2
; %bb.15:                               ;   in Loop: Header=BB31_3 Depth=1
	v_lshlrev_b64 v[8:9], 4, v[12:13]
	s_delay_alu instid0(VALU_DEP_1) | instskip(NEXT) | instid1(VALU_DEP_2)
	v_add_co_u32 v8, vcc_lo, s22, v8
	v_add_co_ci_u32_e32 v9, vcc_lo, s23, v9, vcc_lo
	s_waitcnt vmcnt(0)
	global_store_b128 v[8:9], v[0:3], off
	s_branch .LBB31_2
.LBB31_16:                              ;   in Loop: Header=BB31_17 Depth=2
	s_or_b32 exec_lo, exec_lo, s0
	s_delay_alu instid0(VALU_DEP_1) | instskip(NEXT) | instid1(VALU_DEP_2)
	v_mul_lo_u32 v5, v15, s40
	v_mul_lo_u32 v16, v14, s41
	s_load_b64 s[42:43], s[36:37], 0xc8
	v_mad_u64_u32 v[12:13], null, v14, s40, 0
	s_load_b64 s[40:41], s[38:39], 0x0
	s_add_u32 s38, s38, -8
	s_addc_u32 s39, s39, -1
	s_add_u32 s36, s36, -8
	s_addc_u32 s37, s37, -1
	s_add_u32 s34, s34, -1
	s_delay_alu instid0(VALU_DEP_1) | instskip(SKIP_2) | instid1(VALU_DEP_2)
	v_add3_u32 v5, v13, v16, v5
	v_sub_co_u32 v0, vcc_lo, v0, v12
	s_addc_u32 s35, s35, -1
	v_sub_co_ci_u32_e32 v1, vcc_lo, v1, v5, vcc_lo
	v_cmp_lt_i64_e64 s0, s[34:35], 1
	s_waitcnt lgkmcnt(0)
	s_delay_alu instid0(VALU_DEP_2)
	v_mul_lo_u32 v5, s42, v1
	v_mul_lo_u32 v21, s43, v0
	v_mad_u64_u32 v[16:17], null, s42, v0, v[10:11]
	v_mul_lo_u32 v1, s40, v1
	v_mul_lo_u32 v10, s41, v0
	v_mad_u64_u32 v[12:13], null, s40, v0, v[8:9]
	s_and_b32 vcc_lo, exec_lo, s0
	s_delay_alu instid0(VALU_DEP_4) | instskip(NEXT) | instid1(VALU_DEP_2)
	v_add3_u32 v17, v21, v17, v5
	v_add3_u32 v13, v10, v13, v1
	v_dual_mov_b32 v0, v14 :: v_dual_mov_b32 v1, v15
	s_delay_alu instid0(VALU_DEP_4) | instskip(NEXT) | instid1(VALU_DEP_4)
	v_mov_b32_e32 v8, v12
	v_dual_mov_b32 v10, v16 :: v_dual_mov_b32 v11, v17
	s_delay_alu instid0(VALU_DEP_4)
	v_mov_b32_e32 v9, v13
	s_cbranch_vccnz .LBB31_12
.LBB31_17:                              ;   Parent Loop BB31_3 Depth=1
                                        ; =>  This Inner Loop Header: Depth=2
	s_load_b64 s[40:41], s[36:37], 0x0
                                        ; implicit-def: $vgpr14_vgpr15
	s_mov_b32 s0, exec_lo
	s_waitcnt lgkmcnt(0)
	v_or_b32_e32 v5, s41, v1
	s_delay_alu instid0(VALU_DEP_1)
	v_cmpx_ne_u64_e32 0, v[4:5]
	s_xor_b32 s31, exec_lo, s0
	s_cbranch_execz .LBB31_19
; %bb.18:                               ;   in Loop: Header=BB31_17 Depth=2
	s_ashr_i32 s42, s41, 31
	s_delay_alu instid0(SALU_CYCLE_1) | instskip(SKIP_2) | instid1(SALU_CYCLE_1)
	s_add_u32 s44, s40, s42
	s_mov_b32 s43, s42
	s_addc_u32 s45, s41, s42
	s_xor_b64 s[44:45], s[44:45], s[42:43]
	s_delay_alu instid0(SALU_CYCLE_1) | instskip(SKIP_3) | instid1(VALU_DEP_1)
	v_cvt_f32_u32_e32 v5, s44
	v_cvt_f32_u32_e32 v12, s45
	s_sub_u32 s0, 0, s44
	s_subb_u32 s43, 0, s45
	v_fmac_f32_e32 v5, 0x4f800000, v12
	s_delay_alu instid0(VALU_DEP_1) | instskip(SKIP_2) | instid1(VALU_DEP_1)
	v_rcp_f32_e32 v5, v5
	s_waitcnt_depctr 0xfff
	v_mul_f32_e32 v5, 0x5f7ffffc, v5
	v_mul_f32_e32 v12, 0x2f800000, v5
	s_delay_alu instid0(VALU_DEP_1) | instskip(NEXT) | instid1(VALU_DEP_1)
	v_trunc_f32_e32 v12, v12
	v_fmac_f32_e32 v5, 0xcf800000, v12
	v_cvt_u32_f32_e32 v12, v12
	s_delay_alu instid0(VALU_DEP_2) | instskip(NEXT) | instid1(VALU_DEP_2)
	v_cvt_u32_f32_e32 v5, v5
	v_mul_lo_u32 v13, s0, v12
	s_delay_alu instid0(VALU_DEP_2) | instskip(SKIP_1) | instid1(VALU_DEP_2)
	v_mul_hi_u32 v14, s0, v5
	v_mul_lo_u32 v15, s43, v5
	v_add_nc_u32_e32 v13, v14, v13
	v_mul_lo_u32 v14, s0, v5
	s_delay_alu instid0(VALU_DEP_2) | instskip(NEXT) | instid1(VALU_DEP_2)
	v_add_nc_u32_e32 v13, v13, v15
	v_mul_hi_u32 v15, v5, v14
	s_delay_alu instid0(VALU_DEP_2)
	v_mul_lo_u32 v16, v5, v13
	v_mul_hi_u32 v17, v5, v13
	v_mul_hi_u32 v21, v12, v14
	v_mul_lo_u32 v14, v12, v14
	v_mul_hi_u32 v22, v12, v13
	v_mul_lo_u32 v13, v12, v13
	v_add_co_u32 v15, vcc_lo, v15, v16
	v_add_co_ci_u32_e32 v16, vcc_lo, 0, v17, vcc_lo
	s_delay_alu instid0(VALU_DEP_2) | instskip(NEXT) | instid1(VALU_DEP_2)
	v_add_co_u32 v14, vcc_lo, v15, v14
	v_add_co_ci_u32_e32 v14, vcc_lo, v16, v21, vcc_lo
	v_add_co_ci_u32_e32 v15, vcc_lo, 0, v22, vcc_lo
	v_ashrrev_i32_e32 v21, 31, v1
	s_delay_alu instid0(VALU_DEP_3) | instskip(NEXT) | instid1(VALU_DEP_3)
	v_add_co_u32 v13, vcc_lo, v14, v13
	v_add_co_ci_u32_e32 v14, vcc_lo, 0, v15, vcc_lo
	s_delay_alu instid0(VALU_DEP_2) | instskip(NEXT) | instid1(VALU_DEP_2)
	v_add_co_u32 v5, vcc_lo, v5, v13
	v_add_co_ci_u32_e32 v12, vcc_lo, v12, v14, vcc_lo
	s_delay_alu instid0(VALU_DEP_2) | instskip(SKIP_1) | instid1(VALU_DEP_3)
	v_mul_hi_u32 v13, s0, v5
	v_mul_lo_u32 v15, s43, v5
	v_mul_lo_u32 v14, s0, v12
	s_delay_alu instid0(VALU_DEP_1) | instskip(SKIP_1) | instid1(VALU_DEP_2)
	v_add_nc_u32_e32 v13, v13, v14
	v_mul_lo_u32 v14, s0, v5
	v_add_nc_u32_e32 v13, v13, v15
	s_delay_alu instid0(VALU_DEP_2) | instskip(NEXT) | instid1(VALU_DEP_2)
	v_mul_hi_u32 v15, v5, v14
	v_mul_lo_u32 v16, v5, v13
	v_mul_hi_u32 v17, v5, v13
	v_mul_hi_u32 v22, v12, v14
	v_mul_lo_u32 v14, v12, v14
	v_mul_hi_u32 v23, v12, v13
	v_mul_lo_u32 v13, v12, v13
	v_add_co_u32 v15, vcc_lo, v15, v16
	v_add_co_ci_u32_e32 v16, vcc_lo, 0, v17, vcc_lo
	s_delay_alu instid0(VALU_DEP_2) | instskip(NEXT) | instid1(VALU_DEP_2)
	v_add_co_u32 v14, vcc_lo, v15, v14
	v_add_co_ci_u32_e32 v14, vcc_lo, v16, v22, vcc_lo
	v_add_co_ci_u32_e32 v15, vcc_lo, 0, v23, vcc_lo
	v_add_co_u32 v16, vcc_lo, v0, v21
	v_add_co_ci_u32_e32 v17, vcc_lo, v1, v21, vcc_lo
	s_delay_alu instid0(VALU_DEP_4) | instskip(NEXT) | instid1(VALU_DEP_4)
	v_add_co_u32 v13, vcc_lo, v14, v13
	v_add_co_ci_u32_e32 v14, vcc_lo, 0, v15, vcc_lo
	s_delay_alu instid0(VALU_DEP_4) | instskip(NEXT) | instid1(VALU_DEP_3)
	v_xor_b32_e32 v22, v16, v21
	v_add_co_u32 v5, vcc_lo, v5, v13
	s_delay_alu instid0(VALU_DEP_3) | instskip(SKIP_1) | instid1(VALU_DEP_3)
	v_add_co_ci_u32_e32 v23, vcc_lo, v12, v14, vcc_lo
	v_xor_b32_e32 v24, v17, v21
	v_mul_hi_u32 v25, v22, v5
	s_delay_alu instid0(VALU_DEP_3) | instskip(NEXT) | instid1(VALU_DEP_3)
	v_mad_u64_u32 v[12:13], null, v22, v23, 0
	v_mad_u64_u32 v[14:15], null, v24, v5, 0
	;; [unrolled: 1-line block ×3, first 2 shown]
	s_delay_alu instid0(VALU_DEP_3) | instskip(NEXT) | instid1(VALU_DEP_4)
	v_add_co_u32 v5, vcc_lo, v25, v12
	v_add_co_ci_u32_e32 v12, vcc_lo, 0, v13, vcc_lo
	s_delay_alu instid0(VALU_DEP_2) | instskip(NEXT) | instid1(VALU_DEP_2)
	v_add_co_u32 v5, vcc_lo, v5, v14
	v_add_co_ci_u32_e32 v5, vcc_lo, v12, v15, vcc_lo
	v_add_co_ci_u32_e32 v12, vcc_lo, 0, v17, vcc_lo
	s_delay_alu instid0(VALU_DEP_2) | instskip(NEXT) | instid1(VALU_DEP_2)
	v_add_co_u32 v5, vcc_lo, v5, v16
	v_add_co_ci_u32_e32 v14, vcc_lo, 0, v12, vcc_lo
	s_delay_alu instid0(VALU_DEP_2) | instskip(SKIP_1) | instid1(VALU_DEP_3)
	v_mul_lo_u32 v15, s45, v5
	v_mad_u64_u32 v[12:13], null, s44, v5, 0
	v_mul_lo_u32 v16, s44, v14
	s_delay_alu instid0(VALU_DEP_2) | instskip(NEXT) | instid1(VALU_DEP_2)
	v_sub_co_u32 v12, vcc_lo, v22, v12
	v_add3_u32 v13, v13, v16, v15
	s_delay_alu instid0(VALU_DEP_1) | instskip(NEXT) | instid1(VALU_DEP_1)
	v_sub_nc_u32_e32 v15, v24, v13
	v_subrev_co_ci_u32_e64 v15, s0, s45, v15, vcc_lo
	v_add_co_u32 v16, s0, v5, 2
	s_delay_alu instid0(VALU_DEP_1) | instskip(SKIP_3) | instid1(VALU_DEP_3)
	v_add_co_ci_u32_e64 v17, s0, 0, v14, s0
	v_sub_co_u32 v22, s0, v12, s44
	v_sub_co_ci_u32_e32 v13, vcc_lo, v24, v13, vcc_lo
	v_subrev_co_ci_u32_e64 v15, s0, 0, v15, s0
	v_cmp_le_u32_e32 vcc_lo, s44, v22
	s_delay_alu instid0(VALU_DEP_3) | instskip(SKIP_1) | instid1(VALU_DEP_4)
	v_cmp_eq_u32_e64 s0, s45, v13
	v_cndmask_b32_e64 v22, 0, -1, vcc_lo
	v_cmp_le_u32_e32 vcc_lo, s45, v15
	v_cndmask_b32_e64 v23, 0, -1, vcc_lo
	v_cmp_le_u32_e32 vcc_lo, s44, v12
	;; [unrolled: 2-line block ×3, first 2 shown]
	v_cndmask_b32_e64 v24, 0, -1, vcc_lo
	v_cmp_eq_u32_e32 vcc_lo, s45, v15
	s_delay_alu instid0(VALU_DEP_2) | instskip(SKIP_3) | instid1(VALU_DEP_3)
	v_cndmask_b32_e64 v12, v24, v12, s0
	v_cndmask_b32_e32 v15, v23, v22, vcc_lo
	v_add_co_u32 v22, vcc_lo, v5, 1
	v_add_co_ci_u32_e32 v23, vcc_lo, 0, v14, vcc_lo
	v_cmp_ne_u32_e32 vcc_lo, 0, v15
	s_delay_alu instid0(VALU_DEP_2) | instskip(NEXT) | instid1(VALU_DEP_4)
	v_cndmask_b32_e32 v13, v23, v17, vcc_lo
	v_cndmask_b32_e32 v15, v22, v16, vcc_lo
	v_cmp_ne_u32_e32 vcc_lo, 0, v12
	v_xor_b32_e32 v12, s42, v21
	s_delay_alu instid0(VALU_DEP_3) | instskip(SKIP_1) | instid1(VALU_DEP_2)
	v_cndmask_b32_e32 v5, v5, v15, vcc_lo
	v_cndmask_b32_e32 v13, v14, v13, vcc_lo
	v_xor_b32_e32 v5, v5, v12
	s_delay_alu instid0(VALU_DEP_2) | instskip(NEXT) | instid1(VALU_DEP_2)
	v_xor_b32_e32 v13, v13, v12
	v_sub_co_u32 v14, vcc_lo, v5, v12
	s_delay_alu instid0(VALU_DEP_2)
	v_sub_co_ci_u32_e32 v15, vcc_lo, v13, v12, vcc_lo
.LBB31_19:                              ;   in Loop: Header=BB31_17 Depth=2
	s_and_not1_saveexec_b32 s0, s31
	s_cbranch_execz .LBB31_16
; %bb.20:                               ;   in Loop: Header=BB31_17 Depth=2
	v_cvt_f32_u32_e32 v5, s40
	s_sub_i32 s31, 0, s40
	v_mov_b32_e32 v15, v4
	s_delay_alu instid0(VALU_DEP_2) | instskip(SKIP_2) | instid1(VALU_DEP_1)
	v_rcp_iflag_f32_e32 v5, v5
	s_waitcnt_depctr 0xfff
	v_mul_f32_e32 v5, 0x4f7ffffe, v5
	v_cvt_u32_f32_e32 v5, v5
	s_delay_alu instid0(VALU_DEP_1) | instskip(NEXT) | instid1(VALU_DEP_1)
	v_mul_lo_u32 v12, s31, v5
	v_mul_hi_u32 v12, v5, v12
	s_delay_alu instid0(VALU_DEP_1) | instskip(NEXT) | instid1(VALU_DEP_1)
	v_add_nc_u32_e32 v5, v5, v12
	v_mul_hi_u32 v5, v0, v5
	s_delay_alu instid0(VALU_DEP_1) | instskip(SKIP_1) | instid1(VALU_DEP_2)
	v_mul_lo_u32 v12, v5, s40
	v_add_nc_u32_e32 v13, 1, v5
	v_sub_nc_u32_e32 v12, v0, v12
	s_delay_alu instid0(VALU_DEP_1) | instskip(SKIP_1) | instid1(VALU_DEP_2)
	v_subrev_nc_u32_e32 v14, s40, v12
	v_cmp_le_u32_e32 vcc_lo, s40, v12
	v_dual_cndmask_b32 v12, v12, v14 :: v_dual_cndmask_b32 v5, v5, v13
	s_delay_alu instid0(VALU_DEP_1) | instskip(NEXT) | instid1(VALU_DEP_2)
	v_cmp_le_u32_e32 vcc_lo, s40, v12
	v_add_nc_u32_e32 v13, 1, v5
	s_delay_alu instid0(VALU_DEP_1)
	v_cndmask_b32_e32 v14, v5, v13, vcc_lo
	s_branch .LBB31_16
.LBB31_21:
	s_nop 0
	s_sendmsg sendmsg(MSG_DEALLOC_VGPRS)
	s_endpgm
	.section	.rodata,"a",@progbits
	.p2align	6, 0x0
	.amdhsa_kernel _ZN2at6native16triu_tril_kernelIN3c107complexIdEElLb0ELi1ELb0EEEvNS_4cuda6detail10TensorInfoIT_T0_EENS7_IKS8_S9_EEllS9_
		.amdhsa_group_segment_fixed_size 0
		.amdhsa_private_segment_fixed_size 0
		.amdhsa_kernarg_size 1112
		.amdhsa_user_sgpr_count 15
		.amdhsa_user_sgpr_dispatch_ptr 0
		.amdhsa_user_sgpr_queue_ptr 0
		.amdhsa_user_sgpr_kernarg_segment_ptr 1
		.amdhsa_user_sgpr_dispatch_id 0
		.amdhsa_user_sgpr_private_segment_size 0
		.amdhsa_wavefront_size32 1
		.amdhsa_uses_dynamic_stack 0
		.amdhsa_enable_private_segment 0
		.amdhsa_system_sgpr_workgroup_id_x 1
		.amdhsa_system_sgpr_workgroup_id_y 0
		.amdhsa_system_sgpr_workgroup_id_z 0
		.amdhsa_system_sgpr_workgroup_info 0
		.amdhsa_system_vgpr_workitem_id 0
		.amdhsa_next_free_vgpr 26
		.amdhsa_next_free_sgpr 47
		.amdhsa_reserve_vcc 1
		.amdhsa_float_round_mode_32 0
		.amdhsa_float_round_mode_16_64 0
		.amdhsa_float_denorm_mode_32 3
		.amdhsa_float_denorm_mode_16_64 3
		.amdhsa_dx10_clamp 1
		.amdhsa_ieee_mode 1
		.amdhsa_fp16_overflow 0
		.amdhsa_workgroup_processor_mode 1
		.amdhsa_memory_ordered 1
		.amdhsa_forward_progress 0
		.amdhsa_shared_vgpr_count 0
		.amdhsa_exception_fp_ieee_invalid_op 0
		.amdhsa_exception_fp_denorm_src 0
		.amdhsa_exception_fp_ieee_div_zero 0
		.amdhsa_exception_fp_ieee_overflow 0
		.amdhsa_exception_fp_ieee_underflow 0
		.amdhsa_exception_fp_ieee_inexact 0
		.amdhsa_exception_int_div_zero 0
	.end_amdhsa_kernel
	.section	.text._ZN2at6native16triu_tril_kernelIN3c107complexIdEElLb0ELi1ELb0EEEvNS_4cuda6detail10TensorInfoIT_T0_EENS7_IKS8_S9_EEllS9_,"axG",@progbits,_ZN2at6native16triu_tril_kernelIN3c107complexIdEElLb0ELi1ELb0EEEvNS_4cuda6detail10TensorInfoIT_T0_EENS7_IKS8_S9_EEllS9_,comdat
.Lfunc_end31:
	.size	_ZN2at6native16triu_tril_kernelIN3c107complexIdEElLb0ELi1ELb0EEEvNS_4cuda6detail10TensorInfoIT_T0_EENS7_IKS8_S9_EEllS9_, .Lfunc_end31-_ZN2at6native16triu_tril_kernelIN3c107complexIdEElLb0ELi1ELb0EEEvNS_4cuda6detail10TensorInfoIT_T0_EENS7_IKS8_S9_EEllS9_
                                        ; -- End function
	.section	.AMDGPU.csdata,"",@progbits
; Kernel info:
; codeLenInByte = 4000
; NumSgprs: 49
; NumVgprs: 26
; ScratchSize: 0
; MemoryBound: 1
; FloatMode: 240
; IeeeMode: 1
; LDSByteSize: 0 bytes/workgroup (compile time only)
; SGPRBlocks: 6
; VGPRBlocks: 3
; NumSGPRsForWavesPerEU: 49
; NumVGPRsForWavesPerEU: 26
; Occupancy: 16
; WaveLimiterHint : 0
; COMPUTE_PGM_RSRC2:SCRATCH_EN: 0
; COMPUTE_PGM_RSRC2:USER_SGPR: 15
; COMPUTE_PGM_RSRC2:TRAP_HANDLER: 0
; COMPUTE_PGM_RSRC2:TGID_X_EN: 1
; COMPUTE_PGM_RSRC2:TGID_Y_EN: 0
; COMPUTE_PGM_RSRC2:TGID_Z_EN: 0
; COMPUTE_PGM_RSRC2:TIDIG_COMP_CNT: 0
	.section	.text._ZN2at6native16triu_tril_kernelIN3c107complexIfEEiLb0ELi2ELb1EEEvNS_4cuda6detail10TensorInfoIT_T0_EENS7_IKS8_S9_EEllS9_,"axG",@progbits,_ZN2at6native16triu_tril_kernelIN3c107complexIfEEiLb0ELi2ELb1EEEvNS_4cuda6detail10TensorInfoIT_T0_EENS7_IKS8_S9_EEllS9_,comdat
	.protected	_ZN2at6native16triu_tril_kernelIN3c107complexIfEEiLb0ELi2ELb1EEEvNS_4cuda6detail10TensorInfoIT_T0_EENS7_IKS8_S9_EEllS9_ ; -- Begin function _ZN2at6native16triu_tril_kernelIN3c107complexIfEEiLb0ELi2ELb1EEEvNS_4cuda6detail10TensorInfoIT_T0_EENS7_IKS8_S9_EEllS9_
	.globl	_ZN2at6native16triu_tril_kernelIN3c107complexIfEEiLb0ELi2ELb1EEEvNS_4cuda6detail10TensorInfoIT_T0_EENS7_IKS8_S9_EEllS9_
	.p2align	8
	.type	_ZN2at6native16triu_tril_kernelIN3c107complexIfEEiLb0ELi2ELb1EEEvNS_4cuda6detail10TensorInfoIT_T0_EENS7_IKS8_S9_EEllS9_,@function
_ZN2at6native16triu_tril_kernelIN3c107complexIfEEiLb0ELi2ELb1EEEvNS_4cuda6detail10TensorInfoIT_T0_EENS7_IKS8_S9_EEllS9_: ; @_ZN2at6native16triu_tril_kernelIN3c107complexIfEEiLb0ELi2ELb1EEEvNS_4cuda6detail10TensorInfoIT_T0_EENS7_IKS8_S9_EEllS9_
; %bb.0:
	s_clause 0x1
	s_load_b32 s2, s[0:1], 0x1d4
	s_load_b128 s[4:7], s[0:1], 0x1b0
	v_mov_b32_e32 v2, 0
	s_add_u32 s8, s0, 0x1c8
	s_addc_u32 s9, s1, 0
	s_delay_alu instid0(VALU_DEP_1) | instskip(SKIP_3) | instid1(VALU_DEP_1)
	v_mov_b32_e32 v1, v2
	s_waitcnt lgkmcnt(0)
	s_and_b32 s14, s2, 0xffff
	s_mov_b32 s2, exec_lo
	v_mad_u64_u32 v[3:4], null, s14, s15, v[0:1]
	s_delay_alu instid0(VALU_DEP_1) | instskip(NEXT) | instid1(VALU_DEP_1)
	v_lshlrev_b64 v[0:1], 1, v[3:4]
	v_cmpx_gt_i64_e64 s[6:7], v[0:1]
	s_cbranch_execz .LBB32_64
; %bb.1:
	s_clause 0x2
	s_load_b32 s24, s[0:1], 0x1c0
	s_load_b32 s16, s[0:1], 0x1a8
	s_load_b64 s[2:3], s[0:1], 0x0
	s_load_b32 s19, s[8:9], 0x0
	s_mov_b32 s38, 0
	s_waitcnt lgkmcnt(0)
	s_ashr_i32 s25, s24, 31
	s_ashr_i32 s17, s16, 31
	s_add_u32 s26, s0, 0xe0
	s_addc_u32 s27, s1, 0
	s_lshl_b64 s[10:11], s[16:17], 2
	v_cvt_f32_u32_e32 v3, s24
	s_add_u32 s15, s10, -8
	s_addc_u32 s18, s11, -1
	s_add_u32 s12, s26, s15
	s_addc_u32 s13, s27, s18
	v_rcp_iflag_f32_e32 v3, v3
	s_load_b32 s28, s[12:13], 0x0
	s_mul_i32 s19, s19, s14
	v_cmp_gt_i64_e64 s37, s[16:17], 2
	s_waitcnt_depctr 0xfff
	v_mul_f32_e32 v3, 0x4f7ffffe, v3
	s_delay_alu instid0(VALU_DEP_1)
	v_cvt_u32_f32_e32 v3, v3
	s_waitcnt lgkmcnt(0)
	s_ashr_i32 s29, s28, 31
	s_add_u32 s12, s10, -4
	s_addc_u32 s13, s11, -1
	s_add_u32 s30, s0, 0x6c
	s_addc_u32 s1, s1, 0
	s_add_u32 s8, s30, s12
	s_addc_u32 s9, s1, s13
	s_add_u32 s10, s30, s15
	s_addc_u32 s11, s1, s18
	s_add_i32 s31, s16, -3
	s_add_u32 s12, s26, s12
	s_addc_u32 s13, s27, s13
	s_add_i32 s0, s16, 6
	s_lshl_b32 s34, s19, 1
	s_and_b32 s33, s0, 7
	s_mov_b32 s15, 0
	s_cmp_lg_u32 s33, 0
	s_cselect_b32 s35, -1, 0
	s_cmp_gt_u32 s31, 6
	s_cselect_b32 s36, -1, 0
	s_sub_i32 s0, 0, s24
	s_delay_alu instid0(SALU_CYCLE_1) | instskip(NEXT) | instid1(VALU_DEP_1)
	v_mul_lo_u32 v4, s0, v3
	v_mul_hi_u32 v4, v3, v4
	s_delay_alu instid0(VALU_DEP_1)
	v_add_nc_u32_e32 v25, v3, v4
	s_branch .LBB32_3
.LBB32_2:                               ;   in Loop: Header=BB32_3 Depth=1
	s_or_b32 exec_lo, exec_lo, s39
	v_add_co_u32 v0, vcc_lo, v0, s34
	v_add_co_ci_u32_e32 v1, vcc_lo, 0, v1, vcc_lo
	s_delay_alu instid0(VALU_DEP_1) | instskip(SKIP_1) | instid1(SALU_CYCLE_1)
	v_cmp_le_i64_e32 vcc_lo, s[6:7], v[0:1]
	s_or_b32 s38, vcc_lo, s38
	s_and_not1_b32 exec_lo, exec_lo, s38
	s_cbranch_execz .LBB32_64
.LBB32_3:                               ; =>This Loop Header: Depth=1
                                        ;     Child Loop BB32_15 Depth 2
                                        ;     Child Loop BB32_24 Depth 2
	v_or_b32_e32 v3, s25, v1
                                        ; implicit-def: $vgpr4_vgpr5
	s_mov_b32 s0, exec_lo
	s_delay_alu instid0(VALU_DEP_1)
	v_cmpx_ne_u64_e32 0, v[2:3]
	s_xor_b32 s14, exec_lo, s0
	s_cbranch_execz .LBB32_5
; %bb.4:                                ;   in Loop: Header=BB32_3 Depth=1
	s_add_u32 s18, s24, s25
	s_mov_b32 s16, s25
	s_mov_b32 s17, s25
	s_addc_u32 s19, s25, s25
	s_delay_alu instid0(SALU_CYCLE_1) | instskip(NEXT) | instid1(SALU_CYCLE_1)
	s_xor_b64 s[18:19], s[18:19], s[16:17]
	v_cvt_f32_u32_e32 v3, s18
	v_cvt_f32_u32_e32 v4, s19
	s_sub_u32 s0, 0, s18
	s_subb_u32 s20, 0, s19
	s_delay_alu instid0(VALU_DEP_1) | instskip(NEXT) | instid1(VALU_DEP_1)
	v_fmac_f32_e32 v3, 0x4f800000, v4
	v_rcp_f32_e32 v3, v3
	s_waitcnt_depctr 0xfff
	v_mul_f32_e32 v3, 0x5f7ffffc, v3
	s_delay_alu instid0(VALU_DEP_1) | instskip(NEXT) | instid1(VALU_DEP_1)
	v_mul_f32_e32 v4, 0x2f800000, v3
	v_trunc_f32_e32 v4, v4
	s_delay_alu instid0(VALU_DEP_1) | instskip(SKIP_1) | instid1(VALU_DEP_2)
	v_fmac_f32_e32 v3, 0xcf800000, v4
	v_cvt_u32_f32_e32 v4, v4
	v_cvt_u32_f32_e32 v3, v3
	s_delay_alu instid0(VALU_DEP_2) | instskip(NEXT) | instid1(VALU_DEP_2)
	v_mul_lo_u32 v5, s0, v4
	v_mul_hi_u32 v6, s0, v3
	v_mul_lo_u32 v7, s20, v3
	s_delay_alu instid0(VALU_DEP_2) | instskip(SKIP_1) | instid1(VALU_DEP_2)
	v_add_nc_u32_e32 v5, v6, v5
	v_mul_lo_u32 v6, s0, v3
	v_add_nc_u32_e32 v5, v5, v7
	s_delay_alu instid0(VALU_DEP_2) | instskip(NEXT) | instid1(VALU_DEP_2)
	v_mul_hi_u32 v7, v3, v6
	v_mul_lo_u32 v8, v3, v5
	v_mul_hi_u32 v9, v3, v5
	v_mul_hi_u32 v10, v4, v6
	v_mul_lo_u32 v6, v4, v6
	v_mul_hi_u32 v11, v4, v5
	v_mul_lo_u32 v5, v4, v5
	v_add_co_u32 v7, vcc_lo, v7, v8
	v_add_co_ci_u32_e32 v8, vcc_lo, 0, v9, vcc_lo
	s_delay_alu instid0(VALU_DEP_2) | instskip(NEXT) | instid1(VALU_DEP_2)
	v_add_co_u32 v6, vcc_lo, v7, v6
	v_add_co_ci_u32_e32 v6, vcc_lo, v8, v10, vcc_lo
	v_add_co_ci_u32_e32 v7, vcc_lo, 0, v11, vcc_lo
	v_ashrrev_i32_e32 v10, 31, v1
	s_delay_alu instid0(VALU_DEP_3) | instskip(NEXT) | instid1(VALU_DEP_3)
	v_add_co_u32 v5, vcc_lo, v6, v5
	v_add_co_ci_u32_e32 v6, vcc_lo, 0, v7, vcc_lo
	s_delay_alu instid0(VALU_DEP_2) | instskip(NEXT) | instid1(VALU_DEP_2)
	v_add_co_u32 v3, vcc_lo, v3, v5
	v_add_co_ci_u32_e32 v4, vcc_lo, v4, v6, vcc_lo
	s_delay_alu instid0(VALU_DEP_2) | instskip(SKIP_1) | instid1(VALU_DEP_3)
	v_mul_hi_u32 v5, s0, v3
	v_mul_lo_u32 v7, s20, v3
	v_mul_lo_u32 v6, s0, v4
	s_delay_alu instid0(VALU_DEP_1) | instskip(SKIP_1) | instid1(VALU_DEP_2)
	v_add_nc_u32_e32 v5, v5, v6
	v_mul_lo_u32 v6, s0, v3
	v_add_nc_u32_e32 v5, v5, v7
	s_delay_alu instid0(VALU_DEP_2) | instskip(NEXT) | instid1(VALU_DEP_2)
	v_mul_hi_u32 v7, v3, v6
	v_mul_lo_u32 v8, v3, v5
	v_mul_hi_u32 v9, v3, v5
	v_mul_hi_u32 v11, v4, v6
	v_mul_lo_u32 v6, v4, v6
	v_mul_hi_u32 v12, v4, v5
	v_mul_lo_u32 v5, v4, v5
	v_add_co_u32 v7, vcc_lo, v7, v8
	v_add_co_ci_u32_e32 v8, vcc_lo, 0, v9, vcc_lo
	s_delay_alu instid0(VALU_DEP_2) | instskip(NEXT) | instid1(VALU_DEP_2)
	v_add_co_u32 v6, vcc_lo, v7, v6
	v_add_co_ci_u32_e32 v6, vcc_lo, v8, v11, vcc_lo
	v_add_co_ci_u32_e32 v7, vcc_lo, 0, v12, vcc_lo
	v_add_co_u32 v8, vcc_lo, v0, v10
	v_add_co_ci_u32_e32 v9, vcc_lo, v1, v10, vcc_lo
	s_delay_alu instid0(VALU_DEP_4) | instskip(NEXT) | instid1(VALU_DEP_4)
	v_add_co_u32 v5, vcc_lo, v6, v5
	v_add_co_ci_u32_e32 v6, vcc_lo, 0, v7, vcc_lo
	s_delay_alu instid0(VALU_DEP_4) | instskip(NEXT) | instid1(VALU_DEP_3)
	v_xor_b32_e32 v11, v8, v10
	v_add_co_u32 v7, vcc_lo, v3, v5
	s_delay_alu instid0(VALU_DEP_3) | instskip(SKIP_1) | instid1(VALU_DEP_3)
	v_add_co_ci_u32_e32 v12, vcc_lo, v4, v6, vcc_lo
	v_xor_b32_e32 v9, v9, v10
	v_mul_hi_u32 v13, v11, v7
	s_delay_alu instid0(VALU_DEP_3) | instskip(NEXT) | instid1(VALU_DEP_3)
	v_mad_u64_u32 v[3:4], null, v11, v12, 0
	v_mad_u64_u32 v[5:6], null, v9, v7, 0
	;; [unrolled: 1-line block ×3, first 2 shown]
	s_delay_alu instid0(VALU_DEP_3) | instskip(NEXT) | instid1(VALU_DEP_4)
	v_add_co_u32 v3, vcc_lo, v13, v3
	v_add_co_ci_u32_e32 v4, vcc_lo, 0, v4, vcc_lo
	s_delay_alu instid0(VALU_DEP_2) | instskip(NEXT) | instid1(VALU_DEP_2)
	v_add_co_u32 v3, vcc_lo, v3, v5
	v_add_co_ci_u32_e32 v3, vcc_lo, v4, v6, vcc_lo
	v_add_co_ci_u32_e32 v4, vcc_lo, 0, v8, vcc_lo
	s_delay_alu instid0(VALU_DEP_2) | instskip(NEXT) | instid1(VALU_DEP_2)
	v_add_co_u32 v5, vcc_lo, v3, v7
	v_add_co_ci_u32_e32 v6, vcc_lo, 0, v4, vcc_lo
	s_delay_alu instid0(VALU_DEP_2) | instskip(SKIP_1) | instid1(VALU_DEP_3)
	v_mul_lo_u32 v7, s19, v5
	v_mad_u64_u32 v[3:4], null, s18, v5, 0
	v_mul_lo_u32 v8, s18, v6
	s_delay_alu instid0(VALU_DEP_2) | instskip(NEXT) | instid1(VALU_DEP_2)
	v_sub_co_u32 v3, vcc_lo, v11, v3
	v_add3_u32 v4, v4, v8, v7
	s_delay_alu instid0(VALU_DEP_1) | instskip(NEXT) | instid1(VALU_DEP_1)
	v_sub_nc_u32_e32 v7, v9, v4
	v_subrev_co_ci_u32_e64 v7, s0, s19, v7, vcc_lo
	v_add_co_u32 v8, s0, v5, 2
	s_delay_alu instid0(VALU_DEP_1) | instskip(SKIP_3) | instid1(VALU_DEP_3)
	v_add_co_ci_u32_e64 v11, s0, 0, v6, s0
	v_sub_co_u32 v12, s0, v3, s18
	v_sub_co_ci_u32_e32 v4, vcc_lo, v9, v4, vcc_lo
	v_subrev_co_ci_u32_e64 v7, s0, 0, v7, s0
	v_cmp_le_u32_e32 vcc_lo, s18, v12
	s_delay_alu instid0(VALU_DEP_3) | instskip(SKIP_1) | instid1(VALU_DEP_4)
	v_cmp_eq_u32_e64 s0, s19, v4
	v_cndmask_b32_e64 v9, 0, -1, vcc_lo
	v_cmp_le_u32_e32 vcc_lo, s19, v7
	v_cndmask_b32_e64 v12, 0, -1, vcc_lo
	v_cmp_le_u32_e32 vcc_lo, s18, v3
	;; [unrolled: 2-line block ×3, first 2 shown]
	v_cndmask_b32_e64 v13, 0, -1, vcc_lo
	v_cmp_eq_u32_e32 vcc_lo, s19, v7
	s_delay_alu instid0(VALU_DEP_2) | instskip(SKIP_3) | instid1(VALU_DEP_3)
	v_cndmask_b32_e64 v3, v13, v3, s0
	v_cndmask_b32_e32 v7, v12, v9, vcc_lo
	v_add_co_u32 v9, vcc_lo, v5, 1
	v_add_co_ci_u32_e32 v12, vcc_lo, 0, v6, vcc_lo
	v_cmp_ne_u32_e32 vcc_lo, 0, v7
	s_delay_alu instid0(VALU_DEP_2) | instskip(SKIP_2) | instid1(VALU_DEP_3)
	v_dual_cndmask_b32 v4, v12, v11 :: v_dual_cndmask_b32 v7, v9, v8
	v_cmp_ne_u32_e32 vcc_lo, 0, v3
	v_xor_b32_e32 v3, s16, v10
	v_dual_cndmask_b32 v5, v5, v7 :: v_dual_cndmask_b32 v4, v6, v4
	v_xor_b32_e32 v6, s17, v10
	s_delay_alu instid0(VALU_DEP_2) | instskip(NEXT) | instid1(VALU_DEP_2)
	v_xor_b32_e32 v5, v5, v3
	v_xor_b32_e32 v7, v4, v6
	s_delay_alu instid0(VALU_DEP_2) | instskip(NEXT) | instid1(VALU_DEP_2)
	v_sub_co_u32 v4, vcc_lo, v5, v3
	v_sub_co_ci_u32_e32 v5, vcc_lo, v7, v6, vcc_lo
.LBB32_5:                               ;   in Loop: Header=BB32_3 Depth=1
	s_and_not1_saveexec_b32 s0, s14
; %bb.6:                                ;   in Loop: Header=BB32_3 Depth=1
	v_mul_hi_u32 v3, v0, v25
	s_delay_alu instid0(VALU_DEP_1) | instskip(NEXT) | instid1(VALU_DEP_1)
	v_mul_lo_u32 v4, v3, s24
	v_sub_nc_u32_e32 v4, v0, v4
	s_delay_alu instid0(VALU_DEP_1) | instskip(SKIP_1) | instid1(VALU_DEP_2)
	v_subrev_nc_u32_e32 v6, s24, v4
	v_cmp_le_u32_e32 vcc_lo, s24, v4
	v_dual_cndmask_b32 v4, v4, v6 :: v_dual_add_nc_u32 v5, 1, v3
	s_delay_alu instid0(VALU_DEP_1) | instskip(NEXT) | instid1(VALU_DEP_2)
	v_cndmask_b32_e32 v3, v3, v5, vcc_lo
	v_cmp_le_u32_e32 vcc_lo, s24, v4
	s_delay_alu instid0(VALU_DEP_2) | instskip(NEXT) | instid1(VALU_DEP_1)
	v_add_nc_u32_e32 v5, 1, v3
	v_dual_cndmask_b32 v4, v3, v5 :: v_dual_mov_b32 v5, v2
; %bb.7:                                ;   in Loop: Header=BB32_3 Depth=1
	s_or_b32 exec_lo, exec_lo, s0
	s_delay_alu instid0(VALU_DEP_1) | instskip(SKIP_1) | instid1(VALU_DEP_1)
	v_or_b32_e32 v3, s29, v5
                                        ; implicit-def: $vgpr7_vgpr8
	s_mov_b32 s0, exec_lo
	v_cmpx_ne_u64_e32 0, v[2:3]
	s_xor_b32 s14, exec_lo, s0
	s_cbranch_execz .LBB32_9
; %bb.8:                                ;   in Loop: Header=BB32_3 Depth=1
	s_add_u32 s18, s28, s29
	s_mov_b32 s16, s29
	s_mov_b32 s17, s29
	s_addc_u32 s19, s29, s29
	s_delay_alu instid0(SALU_CYCLE_1) | instskip(NEXT) | instid1(SALU_CYCLE_1)
	s_xor_b64 s[18:19], s[18:19], s[16:17]
	v_cvt_f32_u32_e32 v3, s18
	v_cvt_f32_u32_e32 v6, s19
	s_sub_u32 s0, 0, s18
	s_subb_u32 s20, 0, s19
	s_delay_alu instid0(VALU_DEP_1) | instskip(NEXT) | instid1(VALU_DEP_1)
	v_fmac_f32_e32 v3, 0x4f800000, v6
	v_rcp_f32_e32 v3, v3
	s_waitcnt_depctr 0xfff
	v_mul_f32_e32 v3, 0x5f7ffffc, v3
	s_delay_alu instid0(VALU_DEP_1) | instskip(NEXT) | instid1(VALU_DEP_1)
	v_mul_f32_e32 v6, 0x2f800000, v3
	v_trunc_f32_e32 v6, v6
	s_delay_alu instid0(VALU_DEP_1) | instskip(SKIP_1) | instid1(VALU_DEP_2)
	v_fmac_f32_e32 v3, 0xcf800000, v6
	v_cvt_u32_f32_e32 v6, v6
	v_cvt_u32_f32_e32 v3, v3
	s_delay_alu instid0(VALU_DEP_2) | instskip(NEXT) | instid1(VALU_DEP_2)
	v_mul_lo_u32 v7, s0, v6
	v_mul_hi_u32 v8, s0, v3
	v_mul_lo_u32 v9, s20, v3
	s_delay_alu instid0(VALU_DEP_2) | instskip(SKIP_1) | instid1(VALU_DEP_2)
	v_add_nc_u32_e32 v7, v8, v7
	v_mul_lo_u32 v8, s0, v3
	v_add_nc_u32_e32 v7, v7, v9
	s_delay_alu instid0(VALU_DEP_2) | instskip(NEXT) | instid1(VALU_DEP_2)
	v_mul_hi_u32 v9, v3, v8
	v_mul_lo_u32 v10, v3, v7
	v_mul_hi_u32 v11, v3, v7
	v_mul_hi_u32 v12, v6, v8
	v_mul_lo_u32 v8, v6, v8
	v_mul_hi_u32 v13, v6, v7
	v_mul_lo_u32 v7, v6, v7
	v_add_co_u32 v9, vcc_lo, v9, v10
	v_add_co_ci_u32_e32 v10, vcc_lo, 0, v11, vcc_lo
	s_delay_alu instid0(VALU_DEP_2) | instskip(NEXT) | instid1(VALU_DEP_2)
	v_add_co_u32 v8, vcc_lo, v9, v8
	v_add_co_ci_u32_e32 v8, vcc_lo, v10, v12, vcc_lo
	v_add_co_ci_u32_e32 v9, vcc_lo, 0, v13, vcc_lo
	v_ashrrev_i32_e32 v12, 31, v5
	s_delay_alu instid0(VALU_DEP_3) | instskip(NEXT) | instid1(VALU_DEP_3)
	v_add_co_u32 v7, vcc_lo, v8, v7
	v_add_co_ci_u32_e32 v8, vcc_lo, 0, v9, vcc_lo
	s_delay_alu instid0(VALU_DEP_2) | instskip(NEXT) | instid1(VALU_DEP_2)
	v_add_co_u32 v3, vcc_lo, v3, v7
	v_add_co_ci_u32_e32 v6, vcc_lo, v6, v8, vcc_lo
	s_delay_alu instid0(VALU_DEP_2) | instskip(SKIP_1) | instid1(VALU_DEP_3)
	v_mul_hi_u32 v7, s0, v3
	v_mul_lo_u32 v9, s20, v3
	v_mul_lo_u32 v8, s0, v6
	s_delay_alu instid0(VALU_DEP_1) | instskip(SKIP_1) | instid1(VALU_DEP_2)
	v_add_nc_u32_e32 v7, v7, v8
	v_mul_lo_u32 v8, s0, v3
	v_add_nc_u32_e32 v7, v7, v9
	s_delay_alu instid0(VALU_DEP_2) | instskip(NEXT) | instid1(VALU_DEP_2)
	v_mul_hi_u32 v9, v3, v8
	v_mul_lo_u32 v10, v3, v7
	v_mul_hi_u32 v11, v3, v7
	v_mul_hi_u32 v13, v6, v8
	v_mul_lo_u32 v8, v6, v8
	v_mul_hi_u32 v14, v6, v7
	v_mul_lo_u32 v7, v6, v7
	v_add_co_u32 v9, vcc_lo, v9, v10
	v_add_co_ci_u32_e32 v10, vcc_lo, 0, v11, vcc_lo
	s_delay_alu instid0(VALU_DEP_2) | instskip(NEXT) | instid1(VALU_DEP_2)
	v_add_co_u32 v8, vcc_lo, v9, v8
	v_add_co_ci_u32_e32 v8, vcc_lo, v10, v13, vcc_lo
	v_add_co_ci_u32_e32 v9, vcc_lo, 0, v14, vcc_lo
	v_add_co_u32 v10, vcc_lo, v4, v12
	v_add_co_ci_u32_e32 v5, vcc_lo, v5, v12, vcc_lo
	s_delay_alu instid0(VALU_DEP_4) | instskip(NEXT) | instid1(VALU_DEP_4)
	v_add_co_u32 v7, vcc_lo, v8, v7
	v_add_co_ci_u32_e32 v8, vcc_lo, 0, v9, vcc_lo
	s_delay_alu instid0(VALU_DEP_4) | instskip(NEXT) | instid1(VALU_DEP_3)
	v_xor_b32_e32 v11, v10, v12
	v_add_co_u32 v3, vcc_lo, v3, v7
	s_delay_alu instid0(VALU_DEP_3) | instskip(SKIP_1) | instid1(VALU_DEP_3)
	v_add_co_ci_u32_e32 v13, vcc_lo, v6, v8, vcc_lo
	v_xor_b32_e32 v14, v5, v12
	v_mul_hi_u32 v15, v11, v3
	s_delay_alu instid0(VALU_DEP_3) | instskip(NEXT) | instid1(VALU_DEP_3)
	v_mad_u64_u32 v[5:6], null, v11, v13, 0
	v_mad_u64_u32 v[7:8], null, v14, v3, 0
	;; [unrolled: 1-line block ×3, first 2 shown]
	s_delay_alu instid0(VALU_DEP_3) | instskip(NEXT) | instid1(VALU_DEP_4)
	v_add_co_u32 v3, vcc_lo, v15, v5
	v_add_co_ci_u32_e32 v5, vcc_lo, 0, v6, vcc_lo
	s_delay_alu instid0(VALU_DEP_2) | instskip(NEXT) | instid1(VALU_DEP_2)
	v_add_co_u32 v3, vcc_lo, v3, v7
	v_add_co_ci_u32_e32 v3, vcc_lo, v5, v8, vcc_lo
	v_add_co_ci_u32_e32 v5, vcc_lo, 0, v10, vcc_lo
	s_delay_alu instid0(VALU_DEP_2) | instskip(NEXT) | instid1(VALU_DEP_2)
	v_add_co_u32 v3, vcc_lo, v3, v9
	v_add_co_ci_u32_e32 v7, vcc_lo, 0, v5, vcc_lo
	s_delay_alu instid0(VALU_DEP_2) | instskip(SKIP_1) | instid1(VALU_DEP_3)
	v_mul_lo_u32 v8, s19, v3
	v_mad_u64_u32 v[5:6], null, s18, v3, 0
	v_mul_lo_u32 v9, s18, v7
	s_delay_alu instid0(VALU_DEP_2) | instskip(NEXT) | instid1(VALU_DEP_2)
	v_sub_co_u32 v5, vcc_lo, v11, v5
	v_add3_u32 v6, v6, v9, v8
	s_delay_alu instid0(VALU_DEP_1) | instskip(NEXT) | instid1(VALU_DEP_1)
	v_sub_nc_u32_e32 v8, v14, v6
	v_subrev_co_ci_u32_e64 v8, s0, s19, v8, vcc_lo
	v_add_co_u32 v9, s0, v3, 2
	s_delay_alu instid0(VALU_DEP_1) | instskip(SKIP_3) | instid1(VALU_DEP_3)
	v_add_co_ci_u32_e64 v10, s0, 0, v7, s0
	v_sub_co_u32 v11, s0, v5, s18
	v_sub_co_ci_u32_e32 v6, vcc_lo, v14, v6, vcc_lo
	v_subrev_co_ci_u32_e64 v8, s0, 0, v8, s0
	v_cmp_le_u32_e32 vcc_lo, s18, v11
	s_delay_alu instid0(VALU_DEP_3) | instskip(SKIP_1) | instid1(VALU_DEP_4)
	v_cmp_eq_u32_e64 s0, s19, v6
	v_cndmask_b32_e64 v11, 0, -1, vcc_lo
	v_cmp_le_u32_e32 vcc_lo, s19, v8
	v_cndmask_b32_e64 v13, 0, -1, vcc_lo
	v_cmp_le_u32_e32 vcc_lo, s18, v5
	;; [unrolled: 2-line block ×3, first 2 shown]
	v_cndmask_b32_e64 v14, 0, -1, vcc_lo
	v_cmp_eq_u32_e32 vcc_lo, s19, v8
	s_delay_alu instid0(VALU_DEP_2) | instskip(SKIP_3) | instid1(VALU_DEP_3)
	v_cndmask_b32_e64 v5, v14, v5, s0
	v_cndmask_b32_e32 v8, v13, v11, vcc_lo
	v_add_co_u32 v11, vcc_lo, v3, 1
	v_add_co_ci_u32_e32 v13, vcc_lo, 0, v7, vcc_lo
	v_cmp_ne_u32_e32 vcc_lo, 0, v8
	s_delay_alu instid0(VALU_DEP_3) | instskip(NEXT) | instid1(VALU_DEP_3)
	v_cndmask_b32_e32 v8, v11, v9, vcc_lo
	v_cndmask_b32_e32 v6, v13, v10, vcc_lo
	v_cmp_ne_u32_e32 vcc_lo, 0, v5
	v_xor_b32_e32 v5, s16, v12
	s_delay_alu instid0(VALU_DEP_4) | instskip(NEXT) | instid1(VALU_DEP_4)
	v_cndmask_b32_e32 v3, v3, v8, vcc_lo
	v_cndmask_b32_e32 v6, v7, v6, vcc_lo
	v_xor_b32_e32 v8, s17, v12
	s_delay_alu instid0(VALU_DEP_3) | instskip(NEXT) | instid1(VALU_DEP_2)
	v_xor_b32_e32 v3, v3, v5
	v_xor_b32_e32 v6, v6, v8
	s_delay_alu instid0(VALU_DEP_2) | instskip(NEXT) | instid1(VALU_DEP_2)
	v_sub_co_u32 v7, vcc_lo, v3, v5
	v_sub_co_ci_u32_e32 v8, vcc_lo, v6, v8, vcc_lo
.LBB32_9:                               ;   in Loop: Header=BB32_3 Depth=1
	s_and_not1_saveexec_b32 s0, s14
	s_cbranch_execz .LBB32_11
; %bb.10:                               ;   in Loop: Header=BB32_3 Depth=1
	v_cvt_f32_u32_e32 v3, s28
	s_sub_i32 s14, 0, s28
	v_mov_b32_e32 v8, v2
	s_delay_alu instid0(VALU_DEP_2) | instskip(SKIP_2) | instid1(VALU_DEP_1)
	v_rcp_iflag_f32_e32 v3, v3
	s_waitcnt_depctr 0xfff
	v_mul_f32_e32 v3, 0x4f7ffffe, v3
	v_cvt_u32_f32_e32 v3, v3
	s_delay_alu instid0(VALU_DEP_1) | instskip(NEXT) | instid1(VALU_DEP_1)
	v_mul_lo_u32 v5, s14, v3
	v_mul_hi_u32 v5, v3, v5
	s_delay_alu instid0(VALU_DEP_1) | instskip(NEXT) | instid1(VALU_DEP_1)
	v_add_nc_u32_e32 v3, v3, v5
	v_mul_hi_u32 v3, v4, v3
	s_delay_alu instid0(VALU_DEP_1) | instskip(SKIP_1) | instid1(VALU_DEP_2)
	v_mul_lo_u32 v5, v3, s28
	v_add_nc_u32_e32 v6, 1, v3
	v_sub_nc_u32_e32 v5, v4, v5
	s_delay_alu instid0(VALU_DEP_1) | instskip(SKIP_1) | instid1(VALU_DEP_2)
	v_subrev_nc_u32_e32 v7, s28, v5
	v_cmp_le_u32_e32 vcc_lo, s28, v5
	v_cndmask_b32_e32 v5, v5, v7, vcc_lo
	v_cndmask_b32_e32 v3, v3, v6, vcc_lo
	s_delay_alu instid0(VALU_DEP_2) | instskip(NEXT) | instid1(VALU_DEP_2)
	v_cmp_le_u32_e32 vcc_lo, s28, v5
	v_add_nc_u32_e32 v6, 1, v3
	s_delay_alu instid0(VALU_DEP_1)
	v_cndmask_b32_e32 v7, v3, v6, vcc_lo
.LBB32_11:                              ;   in Loop: Header=BB32_3 Depth=1
	s_or_b32 exec_lo, exec_lo, s0
	v_mad_u64_u32 v[5:6], null, v4, s24, 0
	s_delay_alu instid0(VALU_DEP_2) | instskip(SKIP_1) | instid1(VALU_DEP_2)
	v_mad_u64_u32 v[9:10], null, v7, s28, 0
	s_mov_b32 s39, exec_lo
	v_sub_co_u32 v27, null, v0, v5
	s_delay_alu instid0(VALU_DEP_2) | instskip(NEXT) | instid1(VALU_DEP_1)
	v_sub_co_u32 v26, null, v4, v9
	v_sub_nc_u32_e32 v6, v27, v26
	s_delay_alu instid0(VALU_DEP_1) | instskip(NEXT) | instid1(VALU_DEP_1)
	v_add_nc_u32_e32 v3, 2, v6
	v_ashrrev_i32_e32 v4, 31, v3
	s_delay_alu instid0(VALU_DEP_1)
	v_cmpx_lt_i64_e64 s[4:5], v[3:4]
	s_cbranch_execz .LBB32_2
; %bb.12:                               ;   in Loop: Header=BB32_3 Depth=1
	s_clause 0x1
	s_load_b32 s40, s[8:9], 0x0
	s_load_b32 s0, s[10:11], 0x0
	s_and_not1_b32 vcc_lo, exec_lo, s37
	s_waitcnt lgkmcnt(0)
	v_mul_lo_u32 v3, s40, v27
	s_delay_alu instid0(VALU_DEP_1)
	v_mad_u64_u32 v[4:5], null, s0, v26, v[3:4]
	s_cbranch_vccnz .LBB32_58
; %bb.13:                               ;   in Loop: Header=BB32_3 Depth=1
	s_and_not1_b32 vcc_lo, exec_lo, s35
	s_cbranch_vccnz .LBB32_21
; %bb.14:                               ;   in Loop: Header=BB32_3 Depth=1
	v_dual_mov_b32 v10, v8 :: v_dual_mov_b32 v9, v7
	s_mov_b32 s22, s33
	s_mov_b32 s14, s31
.LBB32_15:                              ;   Parent Loop BB32_3 Depth=1
                                        ; =>  This Inner Loop Header: Depth=2
	s_delay_alu instid0(SALU_CYCLE_1) | instskip(NEXT) | instid1(SALU_CYCLE_1)
	s_lshl_b64 s[16:17], s[14:15], 2
                                        ; implicit-def: $vgpr7_vgpr8
	s_add_u32 s18, s26, s16
	s_addc_u32 s19, s27, s17
	s_load_b32 s23, s[18:19], 0x0
	s_mov_b32 s18, exec_lo
	s_waitcnt lgkmcnt(0)
	s_ashr_i32 s0, s23, 31
	s_delay_alu instid0(SALU_CYCLE_1) | instskip(NEXT) | instid1(VALU_DEP_1)
	v_or_b32_e32 v3, s0, v10
	v_cmpx_ne_u64_e32 0, v[2:3]
	s_xor_b32 s41, exec_lo, s18
	s_cbranch_execz .LBB32_17
; %bb.16:                               ;   in Loop: Header=BB32_15 Depth=2
	s_add_u32 s20, s23, s0
	s_mov_b32 s18, s0
	s_mov_b32 s19, s0
	s_addc_u32 s21, s0, s0
	s_delay_alu instid0(SALU_CYCLE_1) | instskip(NEXT) | instid1(SALU_CYCLE_1)
	s_xor_b64 s[20:21], s[20:21], s[18:19]
	v_cvt_f32_u32_e32 v3, s20
	v_cvt_f32_u32_e32 v5, s21
	s_sub_u32 s0, 0, s20
	s_subb_u32 s42, 0, s21
	s_delay_alu instid0(VALU_DEP_1) | instskip(NEXT) | instid1(VALU_DEP_1)
	v_fmac_f32_e32 v3, 0x4f800000, v5
	v_rcp_f32_e32 v3, v3
	s_waitcnt_depctr 0xfff
	v_mul_f32_e32 v3, 0x5f7ffffc, v3
	s_delay_alu instid0(VALU_DEP_1) | instskip(NEXT) | instid1(VALU_DEP_1)
	v_mul_f32_e32 v5, 0x2f800000, v3
	v_trunc_f32_e32 v5, v5
	s_delay_alu instid0(VALU_DEP_1) | instskip(SKIP_1) | instid1(VALU_DEP_2)
	v_fmac_f32_e32 v3, 0xcf800000, v5
	v_cvt_u32_f32_e32 v5, v5
	v_cvt_u32_f32_e32 v3, v3
	s_delay_alu instid0(VALU_DEP_2) | instskip(NEXT) | instid1(VALU_DEP_2)
	v_mul_lo_u32 v7, s0, v5
	v_mul_hi_u32 v8, s0, v3
	v_mul_lo_u32 v11, s42, v3
	s_delay_alu instid0(VALU_DEP_2) | instskip(SKIP_1) | instid1(VALU_DEP_2)
	v_add_nc_u32_e32 v7, v8, v7
	v_mul_lo_u32 v8, s0, v3
	v_add_nc_u32_e32 v7, v7, v11
	s_delay_alu instid0(VALU_DEP_2) | instskip(NEXT) | instid1(VALU_DEP_2)
	v_mul_hi_u32 v11, v3, v8
	v_mul_lo_u32 v12, v3, v7
	v_mul_hi_u32 v13, v3, v7
	v_mul_hi_u32 v14, v5, v8
	v_mul_lo_u32 v8, v5, v8
	v_mul_hi_u32 v15, v5, v7
	v_mul_lo_u32 v7, v5, v7
	v_add_co_u32 v11, vcc_lo, v11, v12
	v_add_co_ci_u32_e32 v12, vcc_lo, 0, v13, vcc_lo
	s_delay_alu instid0(VALU_DEP_2) | instskip(NEXT) | instid1(VALU_DEP_2)
	v_add_co_u32 v8, vcc_lo, v11, v8
	v_add_co_ci_u32_e32 v8, vcc_lo, v12, v14, vcc_lo
	v_add_co_ci_u32_e32 v11, vcc_lo, 0, v15, vcc_lo
	v_ashrrev_i32_e32 v14, 31, v10
	s_delay_alu instid0(VALU_DEP_3) | instskip(NEXT) | instid1(VALU_DEP_3)
	v_add_co_u32 v7, vcc_lo, v8, v7
	v_add_co_ci_u32_e32 v8, vcc_lo, 0, v11, vcc_lo
	s_delay_alu instid0(VALU_DEP_2) | instskip(NEXT) | instid1(VALU_DEP_2)
	v_add_co_u32 v3, vcc_lo, v3, v7
	v_add_co_ci_u32_e32 v5, vcc_lo, v5, v8, vcc_lo
	s_delay_alu instid0(VALU_DEP_2) | instskip(SKIP_1) | instid1(VALU_DEP_3)
	v_mul_hi_u32 v7, s0, v3
	v_mul_lo_u32 v11, s42, v3
	v_mul_lo_u32 v8, s0, v5
	s_delay_alu instid0(VALU_DEP_1) | instskip(SKIP_1) | instid1(VALU_DEP_2)
	v_add_nc_u32_e32 v7, v7, v8
	v_mul_lo_u32 v8, s0, v3
	v_add_nc_u32_e32 v7, v7, v11
	s_delay_alu instid0(VALU_DEP_2) | instskip(NEXT) | instid1(VALU_DEP_2)
	v_mul_hi_u32 v11, v3, v8
	v_mul_lo_u32 v12, v3, v7
	v_mul_hi_u32 v13, v3, v7
	v_mul_hi_u32 v15, v5, v8
	v_mul_lo_u32 v8, v5, v8
	v_mul_hi_u32 v16, v5, v7
	v_mul_lo_u32 v7, v5, v7
	v_add_co_u32 v11, vcc_lo, v11, v12
	v_add_co_ci_u32_e32 v12, vcc_lo, 0, v13, vcc_lo
	s_delay_alu instid0(VALU_DEP_2) | instskip(NEXT) | instid1(VALU_DEP_2)
	v_add_co_u32 v8, vcc_lo, v11, v8
	v_add_co_ci_u32_e32 v8, vcc_lo, v12, v15, vcc_lo
	v_add_co_ci_u32_e32 v11, vcc_lo, 0, v16, vcc_lo
	v_add_co_u32 v12, vcc_lo, v9, v14
	v_add_co_ci_u32_e32 v10, vcc_lo, v10, v14, vcc_lo
	s_delay_alu instid0(VALU_DEP_4) | instskip(NEXT) | instid1(VALU_DEP_4)
	v_add_co_u32 v7, vcc_lo, v8, v7
	v_add_co_ci_u32_e32 v8, vcc_lo, 0, v11, vcc_lo
	s_delay_alu instid0(VALU_DEP_4) | instskip(NEXT) | instid1(VALU_DEP_3)
	v_xor_b32_e32 v15, v12, v14
	v_add_co_u32 v3, vcc_lo, v3, v7
	s_delay_alu instid0(VALU_DEP_3) | instskip(SKIP_1) | instid1(VALU_DEP_3)
	v_add_co_ci_u32_e32 v5, vcc_lo, v5, v8, vcc_lo
	v_xor_b32_e32 v16, v10, v14
	v_mul_hi_u32 v17, v15, v3
	s_delay_alu instid0(VALU_DEP_3) | instskip(NEXT) | instid1(VALU_DEP_3)
	v_mad_u64_u32 v[7:8], null, v15, v5, 0
	v_mad_u64_u32 v[10:11], null, v16, v3, 0
	v_mad_u64_u32 v[12:13], null, v16, v5, 0
	s_delay_alu instid0(VALU_DEP_3) | instskip(NEXT) | instid1(VALU_DEP_4)
	v_add_co_u32 v3, vcc_lo, v17, v7
	v_add_co_ci_u32_e32 v5, vcc_lo, 0, v8, vcc_lo
	s_delay_alu instid0(VALU_DEP_2) | instskip(NEXT) | instid1(VALU_DEP_2)
	v_add_co_u32 v3, vcc_lo, v3, v10
	v_add_co_ci_u32_e32 v3, vcc_lo, v5, v11, vcc_lo
	v_add_co_ci_u32_e32 v5, vcc_lo, 0, v13, vcc_lo
	s_delay_alu instid0(VALU_DEP_2) | instskip(NEXT) | instid1(VALU_DEP_2)
	v_add_co_u32 v3, vcc_lo, v3, v12
	v_add_co_ci_u32_e32 v5, vcc_lo, 0, v5, vcc_lo
	s_delay_alu instid0(VALU_DEP_2) | instskip(SKIP_1) | instid1(VALU_DEP_3)
	v_mul_lo_u32 v10, s21, v3
	v_mad_u64_u32 v[7:8], null, s20, v3, 0
	v_mul_lo_u32 v11, s20, v5
	s_delay_alu instid0(VALU_DEP_2) | instskip(NEXT) | instid1(VALU_DEP_2)
	v_sub_co_u32 v7, vcc_lo, v15, v7
	v_add3_u32 v8, v8, v11, v10
	s_delay_alu instid0(VALU_DEP_1) | instskip(NEXT) | instid1(VALU_DEP_1)
	v_sub_nc_u32_e32 v10, v16, v8
	v_subrev_co_ci_u32_e64 v10, s0, s21, v10, vcc_lo
	v_add_co_u32 v11, s0, v3, 2
	s_delay_alu instid0(VALU_DEP_1) | instskip(SKIP_3) | instid1(VALU_DEP_3)
	v_add_co_ci_u32_e64 v12, s0, 0, v5, s0
	v_sub_co_u32 v13, s0, v7, s20
	v_sub_co_ci_u32_e32 v8, vcc_lo, v16, v8, vcc_lo
	v_subrev_co_ci_u32_e64 v10, s0, 0, v10, s0
	v_cmp_le_u32_e32 vcc_lo, s20, v13
	s_delay_alu instid0(VALU_DEP_3) | instskip(SKIP_1) | instid1(VALU_DEP_4)
	v_cmp_eq_u32_e64 s0, s21, v8
	v_cndmask_b32_e64 v13, 0, -1, vcc_lo
	v_cmp_le_u32_e32 vcc_lo, s21, v10
	v_cndmask_b32_e64 v15, 0, -1, vcc_lo
	v_cmp_le_u32_e32 vcc_lo, s20, v7
	;; [unrolled: 2-line block ×3, first 2 shown]
	v_cndmask_b32_e64 v16, 0, -1, vcc_lo
	v_cmp_eq_u32_e32 vcc_lo, s21, v10
	s_delay_alu instid0(VALU_DEP_2) | instskip(SKIP_3) | instid1(VALU_DEP_3)
	v_cndmask_b32_e64 v7, v16, v7, s0
	v_cndmask_b32_e32 v10, v15, v13, vcc_lo
	v_add_co_u32 v13, vcc_lo, v3, 1
	v_add_co_ci_u32_e32 v15, vcc_lo, 0, v5, vcc_lo
	v_cmp_ne_u32_e32 vcc_lo, 0, v10
	s_delay_alu instid0(VALU_DEP_3) | instskip(NEXT) | instid1(VALU_DEP_3)
	v_cndmask_b32_e32 v10, v13, v11, vcc_lo
	v_cndmask_b32_e32 v8, v15, v12, vcc_lo
	v_cmp_ne_u32_e32 vcc_lo, 0, v7
	v_xor_b32_e32 v7, s18, v14
	s_delay_alu instid0(VALU_DEP_4) | instskip(NEXT) | instid1(VALU_DEP_4)
	v_cndmask_b32_e32 v3, v3, v10, vcc_lo
	v_cndmask_b32_e32 v5, v5, v8, vcc_lo
	v_xor_b32_e32 v8, s19, v14
	s_delay_alu instid0(VALU_DEP_3) | instskip(NEXT) | instid1(VALU_DEP_2)
	v_xor_b32_e32 v3, v3, v7
	v_xor_b32_e32 v5, v5, v8
	s_delay_alu instid0(VALU_DEP_2) | instskip(NEXT) | instid1(VALU_DEP_2)
	v_sub_co_u32 v7, vcc_lo, v3, v7
	v_sub_co_ci_u32_e32 v8, vcc_lo, v5, v8, vcc_lo
.LBB32_17:                              ;   in Loop: Header=BB32_15 Depth=2
	s_and_not1_saveexec_b32 s0, s41
	s_cbranch_execz .LBB32_19
; %bb.18:                               ;   in Loop: Header=BB32_15 Depth=2
	v_cvt_f32_u32_e32 v3, s23
	s_sub_i32 s18, 0, s23
	s_delay_alu instid0(VALU_DEP_1) | instskip(SKIP_2) | instid1(VALU_DEP_1)
	v_rcp_iflag_f32_e32 v3, v3
	s_waitcnt_depctr 0xfff
	v_mul_f32_e32 v3, 0x4f7ffffe, v3
	v_cvt_u32_f32_e32 v3, v3
	s_delay_alu instid0(VALU_DEP_1) | instskip(NEXT) | instid1(VALU_DEP_1)
	v_mul_lo_u32 v5, s18, v3
	v_mul_hi_u32 v5, v3, v5
	s_delay_alu instid0(VALU_DEP_1) | instskip(NEXT) | instid1(VALU_DEP_1)
	v_add_nc_u32_e32 v3, v3, v5
	v_mul_hi_u32 v3, v9, v3
	s_delay_alu instid0(VALU_DEP_1) | instskip(SKIP_1) | instid1(VALU_DEP_2)
	v_mul_lo_u32 v5, v3, s23
	v_add_nc_u32_e32 v7, 1, v3
	v_sub_nc_u32_e32 v5, v9, v5
	s_delay_alu instid0(VALU_DEP_1) | instskip(SKIP_1) | instid1(VALU_DEP_2)
	v_subrev_nc_u32_e32 v8, s23, v5
	v_cmp_le_u32_e32 vcc_lo, s23, v5
	v_dual_cndmask_b32 v5, v5, v8 :: v_dual_mov_b32 v8, v2
	v_cndmask_b32_e32 v3, v3, v7, vcc_lo
	s_delay_alu instid0(VALU_DEP_2) | instskip(NEXT) | instid1(VALU_DEP_2)
	v_cmp_le_u32_e32 vcc_lo, s23, v5
	v_add_nc_u32_e32 v7, 1, v3
	s_delay_alu instid0(VALU_DEP_1)
	v_cndmask_b32_e32 v7, v3, v7, vcc_lo
.LBB32_19:                              ;   in Loop: Header=BB32_15 Depth=2
	s_or_b32 exec_lo, exec_lo, s0
	s_add_u32 s16, s30, s16
	s_addc_u32 s17, s1, s17
	s_delay_alu instid0(VALU_DEP_1) | instskip(SKIP_4) | instid1(VALU_DEP_1)
	v_mul_lo_u32 v3, v7, s23
	s_load_b32 s0, s[16:17], 0x0
	s_add_i32 s22, s22, -1
	s_add_i32 s14, s14, -1
	s_cmp_lg_u32 s22, 0
	v_sub_nc_u32_e32 v3, v9, v3
	s_waitcnt lgkmcnt(0)
	s_delay_alu instid0(VALU_DEP_1) | instskip(NEXT) | instid1(VALU_DEP_1)
	v_mad_u64_u32 v[9:10], null, s0, v3, v[4:5]
	v_mov_b32_e32 v4, v9
	s_cbranch_scc0 .LBB32_22
; %bb.20:                               ;   in Loop: Header=BB32_15 Depth=2
	v_dual_mov_b32 v10, v8 :: v_dual_mov_b32 v9, v7
	s_branch .LBB32_15
.LBB32_21:                              ;   in Loop: Header=BB32_3 Depth=1
	s_mov_b32 s14, s31
.LBB32_22:                              ;   in Loop: Header=BB32_3 Depth=1
	s_and_not1_b32 vcc_lo, exec_lo, s36
	s_cbranch_vccnz .LBB32_58
; %bb.23:                               ;   in Loop: Header=BB32_3 Depth=1
	s_add_i32 s16, s14, -7
.LBB32_24:                              ;   Parent Loop BB32_3 Depth=1
                                        ; =>  This Inner Loop Header: Depth=2
	s_delay_alu instid0(SALU_CYCLE_1) | instskip(NEXT) | instid1(SALU_CYCLE_1)
	s_add_i32 s14, s16, 7
                                        ; implicit-def: $vgpr9_vgpr10
	s_lshl_b64 s[18:19], s[14:15], 2
	s_mov_b32 s14, exec_lo
	s_add_u32 s20, s26, s18
	s_addc_u32 s21, s27, s19
	s_load_b32 s41, s[20:21], 0x0
	s_waitcnt lgkmcnt(0)
	s_ashr_i32 s0, s41, 31
	s_delay_alu instid0(SALU_CYCLE_1) | instskip(NEXT) | instid1(VALU_DEP_1)
	v_or_b32_e32 v3, s0, v8
	v_cmpx_ne_u64_e32 0, v[2:3]
	s_xor_b32 s14, exec_lo, s14
	s_cbranch_execz .LBB32_26
; %bb.25:                               ;   in Loop: Header=BB32_24 Depth=2
	s_add_u32 s22, s41, s0
	s_mov_b32 s20, s0
	s_mov_b32 s21, s0
	s_addc_u32 s23, s0, s0
	s_delay_alu instid0(SALU_CYCLE_1) | instskip(NEXT) | instid1(SALU_CYCLE_1)
	s_xor_b64 s[22:23], s[22:23], s[20:21]
	v_cvt_f32_u32_e32 v3, s22
	v_cvt_f32_u32_e32 v5, s23
	s_sub_u32 s0, 0, s22
	s_subb_u32 s17, 0, s23
	s_delay_alu instid0(VALU_DEP_1) | instskip(NEXT) | instid1(VALU_DEP_1)
	v_fmac_f32_e32 v3, 0x4f800000, v5
	v_rcp_f32_e32 v3, v3
	s_waitcnt_depctr 0xfff
	v_mul_f32_e32 v3, 0x5f7ffffc, v3
	s_delay_alu instid0(VALU_DEP_1) | instskip(NEXT) | instid1(VALU_DEP_1)
	v_mul_f32_e32 v5, 0x2f800000, v3
	v_trunc_f32_e32 v5, v5
	s_delay_alu instid0(VALU_DEP_1) | instskip(SKIP_1) | instid1(VALU_DEP_2)
	v_fmac_f32_e32 v3, 0xcf800000, v5
	v_cvt_u32_f32_e32 v5, v5
	v_cvt_u32_f32_e32 v3, v3
	s_delay_alu instid0(VALU_DEP_2) | instskip(NEXT) | instid1(VALU_DEP_2)
	v_mul_lo_u32 v9, s0, v5
	v_mul_hi_u32 v10, s0, v3
	v_mul_lo_u32 v11, s17, v3
	s_delay_alu instid0(VALU_DEP_2) | instskip(SKIP_1) | instid1(VALU_DEP_2)
	v_add_nc_u32_e32 v9, v10, v9
	v_mul_lo_u32 v10, s0, v3
	v_add_nc_u32_e32 v9, v9, v11
	s_delay_alu instid0(VALU_DEP_2) | instskip(NEXT) | instid1(VALU_DEP_2)
	v_mul_hi_u32 v11, v3, v10
	v_mul_lo_u32 v12, v3, v9
	v_mul_hi_u32 v13, v3, v9
	v_mul_hi_u32 v14, v5, v10
	v_mul_lo_u32 v10, v5, v10
	v_mul_hi_u32 v15, v5, v9
	v_mul_lo_u32 v9, v5, v9
	v_add_co_u32 v11, vcc_lo, v11, v12
	v_add_co_ci_u32_e32 v12, vcc_lo, 0, v13, vcc_lo
	s_delay_alu instid0(VALU_DEP_2) | instskip(NEXT) | instid1(VALU_DEP_2)
	v_add_co_u32 v10, vcc_lo, v11, v10
	v_add_co_ci_u32_e32 v10, vcc_lo, v12, v14, vcc_lo
	v_add_co_ci_u32_e32 v11, vcc_lo, 0, v15, vcc_lo
	v_ashrrev_i32_e32 v14, 31, v8
	s_delay_alu instid0(VALU_DEP_3) | instskip(NEXT) | instid1(VALU_DEP_3)
	v_add_co_u32 v9, vcc_lo, v10, v9
	v_add_co_ci_u32_e32 v10, vcc_lo, 0, v11, vcc_lo
	s_delay_alu instid0(VALU_DEP_2) | instskip(NEXT) | instid1(VALU_DEP_2)
	v_add_co_u32 v3, vcc_lo, v3, v9
	v_add_co_ci_u32_e32 v5, vcc_lo, v5, v10, vcc_lo
	s_delay_alu instid0(VALU_DEP_2) | instskip(SKIP_1) | instid1(VALU_DEP_3)
	v_mul_hi_u32 v9, s0, v3
	v_mul_lo_u32 v11, s17, v3
	v_mul_lo_u32 v10, s0, v5
	s_delay_alu instid0(VALU_DEP_1) | instskip(SKIP_1) | instid1(VALU_DEP_2)
	v_add_nc_u32_e32 v9, v9, v10
	v_mul_lo_u32 v10, s0, v3
	v_add_nc_u32_e32 v9, v9, v11
	s_delay_alu instid0(VALU_DEP_2) | instskip(NEXT) | instid1(VALU_DEP_2)
	v_mul_hi_u32 v11, v3, v10
	v_mul_lo_u32 v12, v3, v9
	v_mul_hi_u32 v13, v3, v9
	v_mul_hi_u32 v15, v5, v10
	v_mul_lo_u32 v10, v5, v10
	v_mul_hi_u32 v16, v5, v9
	v_mul_lo_u32 v9, v5, v9
	v_add_co_u32 v11, vcc_lo, v11, v12
	v_add_co_ci_u32_e32 v12, vcc_lo, 0, v13, vcc_lo
	s_delay_alu instid0(VALU_DEP_2) | instskip(NEXT) | instid1(VALU_DEP_2)
	v_add_co_u32 v10, vcc_lo, v11, v10
	v_add_co_ci_u32_e32 v10, vcc_lo, v12, v15, vcc_lo
	v_add_co_ci_u32_e32 v11, vcc_lo, 0, v16, vcc_lo
	v_add_co_u32 v12, vcc_lo, v7, v14
	v_add_co_ci_u32_e32 v8, vcc_lo, v8, v14, vcc_lo
	s_delay_alu instid0(VALU_DEP_4) | instskip(NEXT) | instid1(VALU_DEP_4)
	v_add_co_u32 v9, vcc_lo, v10, v9
	v_add_co_ci_u32_e32 v10, vcc_lo, 0, v11, vcc_lo
	s_delay_alu instid0(VALU_DEP_4) | instskip(NEXT) | instid1(VALU_DEP_3)
	v_xor_b32_e32 v15, v12, v14
	v_add_co_u32 v3, vcc_lo, v3, v9
	s_delay_alu instid0(VALU_DEP_3) | instskip(SKIP_1) | instid1(VALU_DEP_3)
	v_add_co_ci_u32_e32 v5, vcc_lo, v5, v10, vcc_lo
	v_xor_b32_e32 v16, v8, v14
	v_mul_hi_u32 v17, v15, v3
	s_delay_alu instid0(VALU_DEP_3) | instskip(NEXT) | instid1(VALU_DEP_3)
	v_mad_u64_u32 v[8:9], null, v15, v5, 0
	v_mad_u64_u32 v[10:11], null, v16, v3, 0
	;; [unrolled: 1-line block ×3, first 2 shown]
	s_delay_alu instid0(VALU_DEP_3) | instskip(NEXT) | instid1(VALU_DEP_4)
	v_add_co_u32 v3, vcc_lo, v17, v8
	v_add_co_ci_u32_e32 v5, vcc_lo, 0, v9, vcc_lo
	s_delay_alu instid0(VALU_DEP_2) | instskip(NEXT) | instid1(VALU_DEP_2)
	v_add_co_u32 v3, vcc_lo, v3, v10
	v_add_co_ci_u32_e32 v3, vcc_lo, v5, v11, vcc_lo
	v_add_co_ci_u32_e32 v5, vcc_lo, 0, v13, vcc_lo
	s_delay_alu instid0(VALU_DEP_2) | instskip(NEXT) | instid1(VALU_DEP_2)
	v_add_co_u32 v3, vcc_lo, v3, v12
	v_add_co_ci_u32_e32 v5, vcc_lo, 0, v5, vcc_lo
	s_delay_alu instid0(VALU_DEP_2) | instskip(SKIP_1) | instid1(VALU_DEP_3)
	v_mul_lo_u32 v10, s23, v3
	v_mad_u64_u32 v[8:9], null, s22, v3, 0
	v_mul_lo_u32 v11, s22, v5
	s_delay_alu instid0(VALU_DEP_2) | instskip(NEXT) | instid1(VALU_DEP_2)
	v_sub_co_u32 v8, vcc_lo, v15, v8
	v_add3_u32 v9, v9, v11, v10
	s_delay_alu instid0(VALU_DEP_1) | instskip(NEXT) | instid1(VALU_DEP_1)
	v_sub_nc_u32_e32 v10, v16, v9
	v_subrev_co_ci_u32_e64 v10, s0, s23, v10, vcc_lo
	v_add_co_u32 v11, s0, v3, 2
	s_delay_alu instid0(VALU_DEP_1) | instskip(SKIP_3) | instid1(VALU_DEP_3)
	v_add_co_ci_u32_e64 v12, s0, 0, v5, s0
	v_sub_co_u32 v13, s0, v8, s22
	v_sub_co_ci_u32_e32 v9, vcc_lo, v16, v9, vcc_lo
	v_subrev_co_ci_u32_e64 v10, s0, 0, v10, s0
	v_cmp_le_u32_e32 vcc_lo, s22, v13
	s_delay_alu instid0(VALU_DEP_3) | instskip(SKIP_1) | instid1(VALU_DEP_4)
	v_cmp_eq_u32_e64 s0, s23, v9
	v_cndmask_b32_e64 v13, 0, -1, vcc_lo
	v_cmp_le_u32_e32 vcc_lo, s23, v10
	v_cndmask_b32_e64 v15, 0, -1, vcc_lo
	v_cmp_le_u32_e32 vcc_lo, s22, v8
	;; [unrolled: 2-line block ×3, first 2 shown]
	v_cndmask_b32_e64 v16, 0, -1, vcc_lo
	v_cmp_eq_u32_e32 vcc_lo, s23, v10
	s_delay_alu instid0(VALU_DEP_2) | instskip(SKIP_3) | instid1(VALU_DEP_3)
	v_cndmask_b32_e64 v8, v16, v8, s0
	v_cndmask_b32_e32 v10, v15, v13, vcc_lo
	v_add_co_u32 v13, vcc_lo, v3, 1
	v_add_co_ci_u32_e32 v15, vcc_lo, 0, v5, vcc_lo
	v_cmp_ne_u32_e32 vcc_lo, 0, v10
	s_delay_alu instid0(VALU_DEP_2) | instskip(SKIP_2) | instid1(VALU_DEP_3)
	v_dual_cndmask_b32 v9, v15, v12 :: v_dual_cndmask_b32 v10, v13, v11
	v_cmp_ne_u32_e32 vcc_lo, 0, v8
	v_xor_b32_e32 v8, s20, v14
	v_cndmask_b32_e32 v3, v3, v10, vcc_lo
	s_delay_alu instid0(VALU_DEP_4) | instskip(SKIP_1) | instid1(VALU_DEP_3)
	v_cndmask_b32_e32 v5, v5, v9, vcc_lo
	v_xor_b32_e32 v10, s21, v14
	v_xor_b32_e32 v3, v3, v8
	s_delay_alu instid0(VALU_DEP_2) | instskip(NEXT) | instid1(VALU_DEP_2)
	v_xor_b32_e32 v5, v5, v10
	v_sub_co_u32 v9, vcc_lo, v3, v8
	s_delay_alu instid0(VALU_DEP_2)
	v_sub_co_ci_u32_e32 v10, vcc_lo, v5, v10, vcc_lo
.LBB32_26:                              ;   in Loop: Header=BB32_24 Depth=2
	s_and_not1_saveexec_b32 s0, s14
	s_cbranch_execz .LBB32_28
; %bb.27:                               ;   in Loop: Header=BB32_24 Depth=2
	v_cvt_f32_u32_e32 v3, s41
	s_sub_i32 s14, 0, s41
	v_mov_b32_e32 v10, v2
	s_delay_alu instid0(VALU_DEP_2) | instskip(SKIP_2) | instid1(VALU_DEP_1)
	v_rcp_iflag_f32_e32 v3, v3
	s_waitcnt_depctr 0xfff
	v_mul_f32_e32 v3, 0x4f7ffffe, v3
	v_cvt_u32_f32_e32 v3, v3
	s_delay_alu instid0(VALU_DEP_1) | instskip(NEXT) | instid1(VALU_DEP_1)
	v_mul_lo_u32 v5, s14, v3
	v_mul_hi_u32 v5, v3, v5
	s_delay_alu instid0(VALU_DEP_1) | instskip(NEXT) | instid1(VALU_DEP_1)
	v_add_nc_u32_e32 v3, v3, v5
	v_mul_hi_u32 v3, v7, v3
	s_delay_alu instid0(VALU_DEP_1) | instskip(NEXT) | instid1(VALU_DEP_1)
	v_mul_lo_u32 v5, v3, s41
	v_sub_nc_u32_e32 v5, v7, v5
	s_delay_alu instid0(VALU_DEP_1) | instskip(SKIP_1) | instid1(VALU_DEP_2)
	v_subrev_nc_u32_e32 v9, s41, v5
	v_cmp_le_u32_e32 vcc_lo, s41, v5
	v_dual_cndmask_b32 v5, v5, v9 :: v_dual_add_nc_u32 v8, 1, v3
	s_delay_alu instid0(VALU_DEP_1) | instskip(NEXT) | instid1(VALU_DEP_2)
	v_cndmask_b32_e32 v3, v3, v8, vcc_lo
	v_cmp_le_u32_e32 vcc_lo, s41, v5
	s_delay_alu instid0(VALU_DEP_2) | instskip(NEXT) | instid1(VALU_DEP_1)
	v_add_nc_u32_e32 v8, 1, v3
	v_cndmask_b32_e32 v9, v3, v8, vcc_lo
.LBB32_28:                              ;   in Loop: Header=BB32_24 Depth=2
	s_or_b32 exec_lo, exec_lo, s0
	s_add_u32 s20, s30, s18
	s_addc_u32 s21, s1, s19
	s_add_i32 s14, s16, 6
                                        ; implicit-def: $vgpr11_vgpr12
	s_delay_alu instid0(SALU_CYCLE_1)
	s_lshl_b64 s[18:19], s[14:15], 2
	s_mov_b32 s14, exec_lo
	s_add_u32 s22, s26, s18
	s_addc_u32 s23, s27, s19
	s_clause 0x1
	s_load_b32 s43, s[22:23], 0x0
	s_load_b32 s42, s[20:21], 0x0
	s_waitcnt lgkmcnt(0)
	s_ashr_i32 s0, s43, 31
	s_delay_alu instid0(SALU_CYCLE_1) | instskip(NEXT) | instid1(VALU_DEP_1)
	v_or_b32_e32 v3, s0, v10
	v_cmpx_ne_u64_e32 0, v[2:3]
	s_xor_b32 s14, exec_lo, s14
	s_cbranch_execz .LBB32_30
; %bb.29:                               ;   in Loop: Header=BB32_24 Depth=2
	s_add_u32 s22, s43, s0
	s_mov_b32 s20, s0
	s_mov_b32 s21, s0
	s_addc_u32 s23, s0, s0
	s_delay_alu instid0(SALU_CYCLE_1) | instskip(NEXT) | instid1(SALU_CYCLE_1)
	s_xor_b64 s[22:23], s[22:23], s[20:21]
	v_cvt_f32_u32_e32 v3, s22
	v_cvt_f32_u32_e32 v5, s23
	s_sub_u32 s0, 0, s22
	s_subb_u32 s17, 0, s23
	s_delay_alu instid0(VALU_DEP_1) | instskip(NEXT) | instid1(VALU_DEP_1)
	v_fmac_f32_e32 v3, 0x4f800000, v5
	v_rcp_f32_e32 v3, v3
	s_waitcnt_depctr 0xfff
	v_mul_f32_e32 v3, 0x5f7ffffc, v3
	s_delay_alu instid0(VALU_DEP_1) | instskip(NEXT) | instid1(VALU_DEP_1)
	v_mul_f32_e32 v5, 0x2f800000, v3
	v_trunc_f32_e32 v5, v5
	s_delay_alu instid0(VALU_DEP_1) | instskip(SKIP_1) | instid1(VALU_DEP_2)
	v_fmac_f32_e32 v3, 0xcf800000, v5
	v_cvt_u32_f32_e32 v5, v5
	v_cvt_u32_f32_e32 v3, v3
	s_delay_alu instid0(VALU_DEP_2) | instskip(NEXT) | instid1(VALU_DEP_2)
	v_mul_lo_u32 v8, s0, v5
	v_mul_hi_u32 v11, s0, v3
	v_mul_lo_u32 v12, s17, v3
	s_delay_alu instid0(VALU_DEP_2) | instskip(SKIP_1) | instid1(VALU_DEP_2)
	v_add_nc_u32_e32 v8, v11, v8
	v_mul_lo_u32 v11, s0, v3
	v_add_nc_u32_e32 v8, v8, v12
	s_delay_alu instid0(VALU_DEP_2) | instskip(NEXT) | instid1(VALU_DEP_2)
	v_mul_hi_u32 v12, v3, v11
	v_mul_lo_u32 v13, v3, v8
	v_mul_hi_u32 v14, v3, v8
	v_mul_hi_u32 v15, v5, v11
	v_mul_lo_u32 v11, v5, v11
	v_mul_hi_u32 v16, v5, v8
	v_mul_lo_u32 v8, v5, v8
	v_add_co_u32 v12, vcc_lo, v12, v13
	v_add_co_ci_u32_e32 v13, vcc_lo, 0, v14, vcc_lo
	s_delay_alu instid0(VALU_DEP_2) | instskip(NEXT) | instid1(VALU_DEP_2)
	v_add_co_u32 v11, vcc_lo, v12, v11
	v_add_co_ci_u32_e32 v11, vcc_lo, v13, v15, vcc_lo
	v_add_co_ci_u32_e32 v12, vcc_lo, 0, v16, vcc_lo
	v_ashrrev_i32_e32 v16, 31, v10
	s_delay_alu instid0(VALU_DEP_3) | instskip(NEXT) | instid1(VALU_DEP_3)
	v_add_co_u32 v8, vcc_lo, v11, v8
	v_add_co_ci_u32_e32 v11, vcc_lo, 0, v12, vcc_lo
	s_delay_alu instid0(VALU_DEP_2) | instskip(NEXT) | instid1(VALU_DEP_2)
	v_add_co_u32 v3, vcc_lo, v3, v8
	v_add_co_ci_u32_e32 v5, vcc_lo, v5, v11, vcc_lo
	s_delay_alu instid0(VALU_DEP_2) | instskip(SKIP_1) | instid1(VALU_DEP_3)
	v_mul_hi_u32 v8, s0, v3
	v_mul_lo_u32 v12, s17, v3
	v_mul_lo_u32 v11, s0, v5
	s_delay_alu instid0(VALU_DEP_1) | instskip(SKIP_1) | instid1(VALU_DEP_2)
	v_add_nc_u32_e32 v8, v8, v11
	v_mul_lo_u32 v11, s0, v3
	v_add_nc_u32_e32 v8, v8, v12
	s_delay_alu instid0(VALU_DEP_2) | instskip(NEXT) | instid1(VALU_DEP_2)
	v_mul_hi_u32 v12, v3, v11
	v_mul_lo_u32 v13, v3, v8
	v_mul_hi_u32 v14, v3, v8
	v_mul_hi_u32 v15, v5, v11
	v_mul_lo_u32 v11, v5, v11
	v_mul_hi_u32 v17, v5, v8
	v_mul_lo_u32 v8, v5, v8
	v_add_co_u32 v12, vcc_lo, v12, v13
	v_add_co_ci_u32_e32 v13, vcc_lo, 0, v14, vcc_lo
	s_delay_alu instid0(VALU_DEP_2) | instskip(NEXT) | instid1(VALU_DEP_2)
	v_add_co_u32 v11, vcc_lo, v12, v11
	v_add_co_ci_u32_e32 v11, vcc_lo, v13, v15, vcc_lo
	v_add_co_ci_u32_e32 v12, vcc_lo, 0, v17, vcc_lo
	v_add_co_u32 v13, vcc_lo, v9, v16
	v_add_co_ci_u32_e32 v10, vcc_lo, v10, v16, vcc_lo
	s_delay_alu instid0(VALU_DEP_4) | instskip(NEXT) | instid1(VALU_DEP_4)
	v_add_co_u32 v8, vcc_lo, v11, v8
	v_add_co_ci_u32_e32 v11, vcc_lo, 0, v12, vcc_lo
	s_delay_alu instid0(VALU_DEP_4) | instskip(NEXT) | instid1(VALU_DEP_3)
	v_xor_b32_e32 v17, v13, v16
	v_add_co_u32 v3, vcc_lo, v3, v8
	s_delay_alu instid0(VALU_DEP_3) | instskip(SKIP_1) | instid1(VALU_DEP_3)
	v_add_co_ci_u32_e32 v5, vcc_lo, v5, v11, vcc_lo
	v_xor_b32_e32 v8, v10, v16
	v_mul_hi_u32 v18, v17, v3
	s_delay_alu instid0(VALU_DEP_3) | instskip(NEXT) | instid1(VALU_DEP_3)
	v_mad_u64_u32 v[10:11], null, v17, v5, 0
	v_mad_u64_u32 v[12:13], null, v8, v3, 0
	;; [unrolled: 1-line block ×3, first 2 shown]
	s_delay_alu instid0(VALU_DEP_3) | instskip(NEXT) | instid1(VALU_DEP_4)
	v_add_co_u32 v3, vcc_lo, v18, v10
	v_add_co_ci_u32_e32 v5, vcc_lo, 0, v11, vcc_lo
	s_delay_alu instid0(VALU_DEP_2) | instskip(NEXT) | instid1(VALU_DEP_2)
	v_add_co_u32 v3, vcc_lo, v3, v12
	v_add_co_ci_u32_e32 v3, vcc_lo, v5, v13, vcc_lo
	v_add_co_ci_u32_e32 v5, vcc_lo, 0, v15, vcc_lo
	s_delay_alu instid0(VALU_DEP_2) | instskip(NEXT) | instid1(VALU_DEP_2)
	v_add_co_u32 v3, vcc_lo, v3, v14
	v_add_co_ci_u32_e32 v5, vcc_lo, 0, v5, vcc_lo
	s_delay_alu instid0(VALU_DEP_2) | instskip(SKIP_1) | instid1(VALU_DEP_3)
	v_mul_lo_u32 v12, s23, v3
	v_mad_u64_u32 v[10:11], null, s22, v3, 0
	v_mul_lo_u32 v13, s22, v5
	s_delay_alu instid0(VALU_DEP_2) | instskip(NEXT) | instid1(VALU_DEP_2)
	v_sub_co_u32 v10, vcc_lo, v17, v10
	v_add3_u32 v11, v11, v13, v12
	s_delay_alu instid0(VALU_DEP_1) | instskip(NEXT) | instid1(VALU_DEP_1)
	v_sub_nc_u32_e32 v12, v8, v11
	v_subrev_co_ci_u32_e64 v12, s0, s23, v12, vcc_lo
	v_add_co_u32 v13, s0, v3, 2
	s_delay_alu instid0(VALU_DEP_1) | instskip(SKIP_3) | instid1(VALU_DEP_3)
	v_add_co_ci_u32_e64 v14, s0, 0, v5, s0
	v_sub_co_u32 v15, s0, v10, s22
	v_sub_co_ci_u32_e32 v8, vcc_lo, v8, v11, vcc_lo
	v_subrev_co_ci_u32_e64 v12, s0, 0, v12, s0
	v_cmp_le_u32_e32 vcc_lo, s22, v15
	s_delay_alu instid0(VALU_DEP_3) | instskip(SKIP_1) | instid1(VALU_DEP_4)
	v_cmp_eq_u32_e64 s0, s23, v8
	v_cndmask_b32_e64 v11, 0, -1, vcc_lo
	v_cmp_le_u32_e32 vcc_lo, s23, v12
	v_cndmask_b32_e64 v15, 0, -1, vcc_lo
	v_cmp_le_u32_e32 vcc_lo, s22, v10
	;; [unrolled: 2-line block ×3, first 2 shown]
	v_cndmask_b32_e64 v17, 0, -1, vcc_lo
	v_cmp_eq_u32_e32 vcc_lo, s23, v12
	s_delay_alu instid0(VALU_DEP_2) | instskip(SKIP_3) | instid1(VALU_DEP_3)
	v_cndmask_b32_e64 v8, v17, v10, s0
	v_cndmask_b32_e32 v11, v15, v11, vcc_lo
	v_add_co_u32 v12, vcc_lo, v3, 1
	v_add_co_ci_u32_e32 v15, vcc_lo, 0, v5, vcc_lo
	v_cmp_ne_u32_e32 vcc_lo, 0, v11
	s_delay_alu instid0(VALU_DEP_2) | instskip(SKIP_2) | instid1(VALU_DEP_3)
	v_dual_cndmask_b32 v10, v15, v14 :: v_dual_cndmask_b32 v11, v12, v13
	v_cmp_ne_u32_e32 vcc_lo, 0, v8
	v_xor_b32_e32 v8, s20, v16
	v_cndmask_b32_e32 v3, v3, v11, vcc_lo
	s_delay_alu instid0(VALU_DEP_4) | instskip(SKIP_1) | instid1(VALU_DEP_3)
	v_cndmask_b32_e32 v5, v5, v10, vcc_lo
	v_xor_b32_e32 v10, s21, v16
	v_xor_b32_e32 v3, v3, v8
	s_delay_alu instid0(VALU_DEP_2) | instskip(NEXT) | instid1(VALU_DEP_2)
	v_xor_b32_e32 v5, v5, v10
	v_sub_co_u32 v11, vcc_lo, v3, v8
	s_delay_alu instid0(VALU_DEP_2)
	v_sub_co_ci_u32_e32 v12, vcc_lo, v5, v10, vcc_lo
.LBB32_30:                              ;   in Loop: Header=BB32_24 Depth=2
	s_and_not1_saveexec_b32 s0, s14
	s_cbranch_execz .LBB32_32
; %bb.31:                               ;   in Loop: Header=BB32_24 Depth=2
	v_cvt_f32_u32_e32 v3, s43
	s_sub_i32 s14, 0, s43
	v_mov_b32_e32 v12, v2
	s_delay_alu instid0(VALU_DEP_2) | instskip(SKIP_2) | instid1(VALU_DEP_1)
	v_rcp_iflag_f32_e32 v3, v3
	s_waitcnt_depctr 0xfff
	v_mul_f32_e32 v3, 0x4f7ffffe, v3
	v_cvt_u32_f32_e32 v3, v3
	s_delay_alu instid0(VALU_DEP_1) | instskip(NEXT) | instid1(VALU_DEP_1)
	v_mul_lo_u32 v5, s14, v3
	v_mul_hi_u32 v5, v3, v5
	s_delay_alu instid0(VALU_DEP_1) | instskip(NEXT) | instid1(VALU_DEP_1)
	v_add_nc_u32_e32 v3, v3, v5
	v_mul_hi_u32 v3, v9, v3
	s_delay_alu instid0(VALU_DEP_1) | instskip(NEXT) | instid1(VALU_DEP_1)
	v_mul_lo_u32 v5, v3, s43
	v_sub_nc_u32_e32 v5, v9, v5
	s_delay_alu instid0(VALU_DEP_1) | instskip(SKIP_1) | instid1(VALU_DEP_2)
	v_subrev_nc_u32_e32 v10, s43, v5
	v_cmp_le_u32_e32 vcc_lo, s43, v5
	v_dual_cndmask_b32 v5, v5, v10 :: v_dual_add_nc_u32 v8, 1, v3
	s_delay_alu instid0(VALU_DEP_1) | instskip(NEXT) | instid1(VALU_DEP_2)
	v_cndmask_b32_e32 v3, v3, v8, vcc_lo
	v_cmp_le_u32_e32 vcc_lo, s43, v5
	s_delay_alu instid0(VALU_DEP_2) | instskip(NEXT) | instid1(VALU_DEP_1)
	v_add_nc_u32_e32 v8, 1, v3
	v_cndmask_b32_e32 v11, v3, v8, vcc_lo
.LBB32_32:                              ;   in Loop: Header=BB32_24 Depth=2
	s_or_b32 exec_lo, exec_lo, s0
	s_add_u32 s20, s30, s18
	s_addc_u32 s21, s1, s19
	s_add_i32 s14, s16, 5
                                        ; implicit-def: $vgpr13_vgpr14
	s_delay_alu instid0(SALU_CYCLE_1)
	s_lshl_b64 s[18:19], s[14:15], 2
	s_mov_b32 s14, exec_lo
	s_add_u32 s22, s26, s18
	s_addc_u32 s23, s27, s19
	s_clause 0x1
	s_load_b32 s45, s[22:23], 0x0
	s_load_b32 s44, s[20:21], 0x0
	s_waitcnt lgkmcnt(0)
	s_ashr_i32 s0, s45, 31
	s_delay_alu instid0(SALU_CYCLE_1) | instskip(NEXT) | instid1(VALU_DEP_1)
	v_or_b32_e32 v3, s0, v12
	v_cmpx_ne_u64_e32 0, v[2:3]
	s_xor_b32 s14, exec_lo, s14
	s_cbranch_execz .LBB32_34
; %bb.33:                               ;   in Loop: Header=BB32_24 Depth=2
	s_add_u32 s22, s45, s0
	s_mov_b32 s20, s0
	s_mov_b32 s21, s0
	s_addc_u32 s23, s0, s0
	v_ashrrev_i32_e32 v18, 31, v12
	s_xor_b64 s[22:23], s[22:23], s[20:21]
	s_delay_alu instid0(SALU_CYCLE_1) | instskip(SKIP_3) | instid1(VALU_DEP_1)
	v_cvt_f32_u32_e32 v3, s22
	v_cvt_f32_u32_e32 v5, s23
	s_sub_u32 s0, 0, s22
	s_subb_u32 s17, 0, s23
	v_fmac_f32_e32 v3, 0x4f800000, v5
	s_delay_alu instid0(VALU_DEP_1) | instskip(SKIP_2) | instid1(VALU_DEP_1)
	v_rcp_f32_e32 v3, v3
	s_waitcnt_depctr 0xfff
	v_mul_f32_e32 v3, 0x5f7ffffc, v3
	v_mul_f32_e32 v5, 0x2f800000, v3
	s_delay_alu instid0(VALU_DEP_1) | instskip(NEXT) | instid1(VALU_DEP_1)
	v_trunc_f32_e32 v5, v5
	v_fmac_f32_e32 v3, 0xcf800000, v5
	v_cvt_u32_f32_e32 v5, v5
	s_delay_alu instid0(VALU_DEP_2) | instskip(NEXT) | instid1(VALU_DEP_2)
	v_cvt_u32_f32_e32 v3, v3
	v_mul_lo_u32 v8, s0, v5
	s_delay_alu instid0(VALU_DEP_2) | instskip(SKIP_1) | instid1(VALU_DEP_2)
	v_mul_hi_u32 v10, s0, v3
	v_mul_lo_u32 v13, s17, v3
	v_add_nc_u32_e32 v8, v10, v8
	v_mul_lo_u32 v10, s0, v3
	s_delay_alu instid0(VALU_DEP_2) | instskip(NEXT) | instid1(VALU_DEP_2)
	v_add_nc_u32_e32 v8, v8, v13
	v_mul_hi_u32 v13, v3, v10
	s_delay_alu instid0(VALU_DEP_2)
	v_mul_lo_u32 v14, v3, v8
	v_mul_hi_u32 v15, v3, v8
	v_mul_hi_u32 v16, v5, v10
	v_mul_lo_u32 v10, v5, v10
	v_mul_hi_u32 v17, v5, v8
	v_mul_lo_u32 v8, v5, v8
	v_add_co_u32 v13, vcc_lo, v13, v14
	v_add_co_ci_u32_e32 v14, vcc_lo, 0, v15, vcc_lo
	s_delay_alu instid0(VALU_DEP_2) | instskip(NEXT) | instid1(VALU_DEP_2)
	v_add_co_u32 v10, vcc_lo, v13, v10
	v_add_co_ci_u32_e32 v10, vcc_lo, v14, v16, vcc_lo
	v_add_co_ci_u32_e32 v13, vcc_lo, 0, v17, vcc_lo
	s_delay_alu instid0(VALU_DEP_2) | instskip(NEXT) | instid1(VALU_DEP_2)
	v_add_co_u32 v8, vcc_lo, v10, v8
	v_add_co_ci_u32_e32 v10, vcc_lo, 0, v13, vcc_lo
	s_delay_alu instid0(VALU_DEP_2) | instskip(NEXT) | instid1(VALU_DEP_2)
	v_add_co_u32 v3, vcc_lo, v3, v8
	v_add_co_ci_u32_e32 v5, vcc_lo, v5, v10, vcc_lo
	s_delay_alu instid0(VALU_DEP_2) | instskip(SKIP_1) | instid1(VALU_DEP_3)
	v_mul_hi_u32 v8, s0, v3
	v_mul_lo_u32 v13, s17, v3
	v_mul_lo_u32 v10, s0, v5
	s_delay_alu instid0(VALU_DEP_1) | instskip(SKIP_1) | instid1(VALU_DEP_2)
	v_add_nc_u32_e32 v8, v8, v10
	v_mul_lo_u32 v10, s0, v3
	v_add_nc_u32_e32 v8, v8, v13
	s_delay_alu instid0(VALU_DEP_2) | instskip(NEXT) | instid1(VALU_DEP_2)
	v_mul_hi_u32 v13, v3, v10
	v_mul_lo_u32 v14, v3, v8
	v_mul_hi_u32 v15, v3, v8
	v_mul_hi_u32 v16, v5, v10
	v_mul_lo_u32 v10, v5, v10
	v_mul_hi_u32 v17, v5, v8
	v_mul_lo_u32 v8, v5, v8
	v_add_co_u32 v13, vcc_lo, v13, v14
	v_add_co_ci_u32_e32 v14, vcc_lo, 0, v15, vcc_lo
	s_delay_alu instid0(VALU_DEP_2) | instskip(NEXT) | instid1(VALU_DEP_2)
	v_add_co_u32 v10, vcc_lo, v13, v10
	v_add_co_ci_u32_e32 v10, vcc_lo, v14, v16, vcc_lo
	v_add_co_ci_u32_e32 v13, vcc_lo, 0, v17, vcc_lo
	v_add_co_u32 v14, vcc_lo, v11, v18
	v_add_co_ci_u32_e32 v12, vcc_lo, v12, v18, vcc_lo
	s_delay_alu instid0(VALU_DEP_4) | instskip(NEXT) | instid1(VALU_DEP_4)
	v_add_co_u32 v8, vcc_lo, v10, v8
	v_add_co_ci_u32_e32 v10, vcc_lo, 0, v13, vcc_lo
	s_delay_alu instid0(VALU_DEP_4) | instskip(NEXT) | instid1(VALU_DEP_3)
	v_xor_b32_e32 v19, v14, v18
	v_add_co_u32 v3, vcc_lo, v3, v8
	s_delay_alu instid0(VALU_DEP_3) | instskip(SKIP_1) | instid1(VALU_DEP_3)
	v_add_co_ci_u32_e32 v5, vcc_lo, v5, v10, vcc_lo
	v_xor_b32_e32 v8, v12, v18
	v_mul_hi_u32 v10, v19, v3
	s_delay_alu instid0(VALU_DEP_3) | instskip(NEXT) | instid1(VALU_DEP_3)
	v_mad_u64_u32 v[12:13], null, v19, v5, 0
	v_mad_u64_u32 v[14:15], null, v8, v3, 0
	;; [unrolled: 1-line block ×3, first 2 shown]
	s_delay_alu instid0(VALU_DEP_3) | instskip(NEXT) | instid1(VALU_DEP_4)
	v_add_co_u32 v3, vcc_lo, v10, v12
	v_add_co_ci_u32_e32 v5, vcc_lo, 0, v13, vcc_lo
	s_delay_alu instid0(VALU_DEP_2) | instskip(NEXT) | instid1(VALU_DEP_2)
	v_add_co_u32 v3, vcc_lo, v3, v14
	v_add_co_ci_u32_e32 v3, vcc_lo, v5, v15, vcc_lo
	v_add_co_ci_u32_e32 v5, vcc_lo, 0, v17, vcc_lo
	s_delay_alu instid0(VALU_DEP_2) | instskip(NEXT) | instid1(VALU_DEP_2)
	v_add_co_u32 v3, vcc_lo, v3, v16
	v_add_co_ci_u32_e32 v5, vcc_lo, 0, v5, vcc_lo
	s_delay_alu instid0(VALU_DEP_2) | instskip(SKIP_1) | instid1(VALU_DEP_3)
	v_mul_lo_u32 v10, s23, v3
	v_mad_u64_u32 v[12:13], null, s22, v3, 0
	v_mul_lo_u32 v14, s22, v5
	s_delay_alu instid0(VALU_DEP_2) | instskip(NEXT) | instid1(VALU_DEP_2)
	v_sub_co_u32 v12, vcc_lo, v19, v12
	v_add3_u32 v10, v13, v14, v10
	s_delay_alu instid0(VALU_DEP_1) | instskip(NEXT) | instid1(VALU_DEP_1)
	v_sub_nc_u32_e32 v13, v8, v10
	v_subrev_co_ci_u32_e64 v13, s0, s23, v13, vcc_lo
	v_add_co_u32 v14, s0, v3, 2
	s_delay_alu instid0(VALU_DEP_1) | instskip(SKIP_3) | instid1(VALU_DEP_3)
	v_add_co_ci_u32_e64 v15, s0, 0, v5, s0
	v_sub_co_u32 v16, s0, v12, s22
	v_sub_co_ci_u32_e32 v8, vcc_lo, v8, v10, vcc_lo
	v_subrev_co_ci_u32_e64 v13, s0, 0, v13, s0
	v_cmp_le_u32_e32 vcc_lo, s22, v16
	s_delay_alu instid0(VALU_DEP_3) | instskip(SKIP_1) | instid1(VALU_DEP_4)
	v_cmp_eq_u32_e64 s0, s23, v8
	v_cndmask_b32_e64 v10, 0, -1, vcc_lo
	v_cmp_le_u32_e32 vcc_lo, s23, v13
	v_cndmask_b32_e64 v16, 0, -1, vcc_lo
	v_cmp_le_u32_e32 vcc_lo, s22, v12
	;; [unrolled: 2-line block ×3, first 2 shown]
	v_cndmask_b32_e64 v17, 0, -1, vcc_lo
	v_cmp_eq_u32_e32 vcc_lo, s23, v13
	s_delay_alu instid0(VALU_DEP_2) | instskip(SKIP_3) | instid1(VALU_DEP_3)
	v_cndmask_b32_e64 v8, v17, v12, s0
	v_cndmask_b32_e32 v10, v16, v10, vcc_lo
	v_add_co_u32 v13, vcc_lo, v3, 1
	v_add_co_ci_u32_e32 v16, vcc_lo, 0, v5, vcc_lo
	v_cmp_ne_u32_e32 vcc_lo, 0, v10
	s_delay_alu instid0(VALU_DEP_3) | instskip(NEXT) | instid1(VALU_DEP_3)
	v_cndmask_b32_e32 v12, v13, v14, vcc_lo
	v_cndmask_b32_e32 v10, v16, v15, vcc_lo
	v_cmp_ne_u32_e32 vcc_lo, 0, v8
	v_xor_b32_e32 v8, s20, v18
	s_delay_alu instid0(VALU_DEP_4) | instskip(NEXT) | instid1(VALU_DEP_4)
	v_cndmask_b32_e32 v3, v3, v12, vcc_lo
	v_cndmask_b32_e32 v5, v5, v10, vcc_lo
	v_xor_b32_e32 v10, s21, v18
	s_delay_alu instid0(VALU_DEP_3) | instskip(NEXT) | instid1(VALU_DEP_2)
	v_xor_b32_e32 v3, v3, v8
	v_xor_b32_e32 v5, v5, v10
	s_delay_alu instid0(VALU_DEP_2) | instskip(NEXT) | instid1(VALU_DEP_2)
	v_sub_co_u32 v13, vcc_lo, v3, v8
	v_sub_co_ci_u32_e32 v14, vcc_lo, v5, v10, vcc_lo
.LBB32_34:                              ;   in Loop: Header=BB32_24 Depth=2
	s_and_not1_saveexec_b32 s0, s14
	s_cbranch_execz .LBB32_36
; %bb.35:                               ;   in Loop: Header=BB32_24 Depth=2
	v_cvt_f32_u32_e32 v3, s45
	s_sub_i32 s14, 0, s45
	v_mov_b32_e32 v14, v2
	s_delay_alu instid0(VALU_DEP_2) | instskip(SKIP_2) | instid1(VALU_DEP_1)
	v_rcp_iflag_f32_e32 v3, v3
	s_waitcnt_depctr 0xfff
	v_mul_f32_e32 v3, 0x4f7ffffe, v3
	v_cvt_u32_f32_e32 v3, v3
	s_delay_alu instid0(VALU_DEP_1) | instskip(NEXT) | instid1(VALU_DEP_1)
	v_mul_lo_u32 v5, s14, v3
	v_mul_hi_u32 v5, v3, v5
	s_delay_alu instid0(VALU_DEP_1) | instskip(NEXT) | instid1(VALU_DEP_1)
	v_add_nc_u32_e32 v3, v3, v5
	v_mul_hi_u32 v3, v11, v3
	s_delay_alu instid0(VALU_DEP_1) | instskip(NEXT) | instid1(VALU_DEP_1)
	v_mul_lo_u32 v5, v3, s45
	v_sub_nc_u32_e32 v5, v11, v5
	s_delay_alu instid0(VALU_DEP_1) | instskip(SKIP_1) | instid1(VALU_DEP_2)
	v_subrev_nc_u32_e32 v10, s45, v5
	v_cmp_le_u32_e32 vcc_lo, s45, v5
	v_dual_cndmask_b32 v5, v5, v10 :: v_dual_add_nc_u32 v8, 1, v3
	s_delay_alu instid0(VALU_DEP_1) | instskip(NEXT) | instid1(VALU_DEP_2)
	v_cndmask_b32_e32 v3, v3, v8, vcc_lo
	v_cmp_le_u32_e32 vcc_lo, s45, v5
	s_delay_alu instid0(VALU_DEP_2) | instskip(NEXT) | instid1(VALU_DEP_1)
	v_add_nc_u32_e32 v8, 1, v3
	v_cndmask_b32_e32 v13, v3, v8, vcc_lo
.LBB32_36:                              ;   in Loop: Header=BB32_24 Depth=2
	s_or_b32 exec_lo, exec_lo, s0
	s_add_u32 s20, s30, s18
	s_addc_u32 s21, s1, s19
	s_add_i32 s14, s16, 4
                                        ; implicit-def: $vgpr15_vgpr16
	s_delay_alu instid0(SALU_CYCLE_1)
	s_lshl_b64 s[18:19], s[14:15], 2
	s_mov_b32 s14, exec_lo
	s_add_u32 s22, s26, s18
	s_addc_u32 s23, s27, s19
	s_clause 0x1
	s_load_b32 s47, s[22:23], 0x0
	s_load_b32 s46, s[20:21], 0x0
	s_waitcnt lgkmcnt(0)
	s_ashr_i32 s0, s47, 31
	s_delay_alu instid0(SALU_CYCLE_1) | instskip(NEXT) | instid1(VALU_DEP_1)
	v_or_b32_e32 v3, s0, v14
	v_cmpx_ne_u64_e32 0, v[2:3]
	s_xor_b32 s14, exec_lo, s14
	s_cbranch_execz .LBB32_38
; %bb.37:                               ;   in Loop: Header=BB32_24 Depth=2
	s_add_u32 s22, s47, s0
	s_mov_b32 s20, s0
	s_mov_b32 s21, s0
	s_addc_u32 s23, s0, s0
	v_ashrrev_i32_e32 v20, 31, v14
	s_xor_b64 s[22:23], s[22:23], s[20:21]
	s_delay_alu instid0(SALU_CYCLE_1) | instskip(SKIP_3) | instid1(VALU_DEP_1)
	v_cvt_f32_u32_e32 v3, s22
	v_cvt_f32_u32_e32 v5, s23
	s_sub_u32 s0, 0, s22
	s_subb_u32 s17, 0, s23
	v_fmac_f32_e32 v3, 0x4f800000, v5
	s_delay_alu instid0(VALU_DEP_1) | instskip(SKIP_2) | instid1(VALU_DEP_1)
	v_rcp_f32_e32 v3, v3
	s_waitcnt_depctr 0xfff
	v_mul_f32_e32 v3, 0x5f7ffffc, v3
	v_mul_f32_e32 v5, 0x2f800000, v3
	s_delay_alu instid0(VALU_DEP_1) | instskip(NEXT) | instid1(VALU_DEP_1)
	v_trunc_f32_e32 v5, v5
	v_fmac_f32_e32 v3, 0xcf800000, v5
	v_cvt_u32_f32_e32 v5, v5
	s_delay_alu instid0(VALU_DEP_2) | instskip(NEXT) | instid1(VALU_DEP_2)
	v_cvt_u32_f32_e32 v3, v3
	v_mul_lo_u32 v8, s0, v5
	s_delay_alu instid0(VALU_DEP_2) | instskip(SKIP_1) | instid1(VALU_DEP_2)
	v_mul_hi_u32 v10, s0, v3
	v_mul_lo_u32 v12, s17, v3
	v_add_nc_u32_e32 v8, v10, v8
	v_mul_lo_u32 v10, s0, v3
	s_delay_alu instid0(VALU_DEP_2) | instskip(NEXT) | instid1(VALU_DEP_2)
	v_add_nc_u32_e32 v8, v8, v12
	v_mul_hi_u32 v12, v3, v10
	s_delay_alu instid0(VALU_DEP_2)
	v_mul_lo_u32 v15, v3, v8
	v_mul_hi_u32 v16, v3, v8
	v_mul_hi_u32 v17, v5, v10
	v_mul_lo_u32 v10, v5, v10
	v_mul_hi_u32 v18, v5, v8
	v_mul_lo_u32 v8, v5, v8
	v_add_co_u32 v12, vcc_lo, v12, v15
	v_add_co_ci_u32_e32 v15, vcc_lo, 0, v16, vcc_lo
	s_delay_alu instid0(VALU_DEP_2) | instskip(NEXT) | instid1(VALU_DEP_2)
	v_add_co_u32 v10, vcc_lo, v12, v10
	v_add_co_ci_u32_e32 v10, vcc_lo, v15, v17, vcc_lo
	v_add_co_ci_u32_e32 v12, vcc_lo, 0, v18, vcc_lo
	s_delay_alu instid0(VALU_DEP_2) | instskip(NEXT) | instid1(VALU_DEP_2)
	v_add_co_u32 v8, vcc_lo, v10, v8
	v_add_co_ci_u32_e32 v10, vcc_lo, 0, v12, vcc_lo
	s_delay_alu instid0(VALU_DEP_2) | instskip(NEXT) | instid1(VALU_DEP_2)
	v_add_co_u32 v3, vcc_lo, v3, v8
	v_add_co_ci_u32_e32 v5, vcc_lo, v5, v10, vcc_lo
	s_delay_alu instid0(VALU_DEP_2) | instskip(SKIP_1) | instid1(VALU_DEP_3)
	v_mul_hi_u32 v8, s0, v3
	v_mul_lo_u32 v12, s17, v3
	v_mul_lo_u32 v10, s0, v5
	s_delay_alu instid0(VALU_DEP_1) | instskip(SKIP_1) | instid1(VALU_DEP_2)
	v_add_nc_u32_e32 v8, v8, v10
	v_mul_lo_u32 v10, s0, v3
	v_add_nc_u32_e32 v8, v8, v12
	s_delay_alu instid0(VALU_DEP_2) | instskip(NEXT) | instid1(VALU_DEP_2)
	v_mul_hi_u32 v12, v3, v10
	v_mul_lo_u32 v15, v3, v8
	v_mul_hi_u32 v16, v3, v8
	v_mul_hi_u32 v17, v5, v10
	v_mul_lo_u32 v10, v5, v10
	v_mul_hi_u32 v18, v5, v8
	v_mul_lo_u32 v8, v5, v8
	v_add_co_u32 v12, vcc_lo, v12, v15
	v_add_co_ci_u32_e32 v15, vcc_lo, 0, v16, vcc_lo
	s_delay_alu instid0(VALU_DEP_2) | instskip(NEXT) | instid1(VALU_DEP_2)
	v_add_co_u32 v10, vcc_lo, v12, v10
	v_add_co_ci_u32_e32 v10, vcc_lo, v15, v17, vcc_lo
	v_add_co_ci_u32_e32 v12, vcc_lo, 0, v18, vcc_lo
	v_add_co_u32 v15, vcc_lo, v13, v20
	v_add_co_ci_u32_e32 v14, vcc_lo, v14, v20, vcc_lo
	s_delay_alu instid0(VALU_DEP_4) | instskip(NEXT) | instid1(VALU_DEP_4)
	v_add_co_u32 v8, vcc_lo, v10, v8
	v_add_co_ci_u32_e32 v10, vcc_lo, 0, v12, vcc_lo
	s_delay_alu instid0(VALU_DEP_4) | instskip(NEXT) | instid1(VALU_DEP_3)
	v_xor_b32_e32 v12, v15, v20
	v_add_co_u32 v3, vcc_lo, v3, v8
	s_delay_alu instid0(VALU_DEP_3) | instskip(SKIP_1) | instid1(VALU_DEP_3)
	v_add_co_ci_u32_e32 v5, vcc_lo, v5, v10, vcc_lo
	v_xor_b32_e32 v8, v14, v20
	v_mul_hi_u32 v10, v12, v3
	s_delay_alu instid0(VALU_DEP_3) | instskip(NEXT) | instid1(VALU_DEP_3)
	v_mad_u64_u32 v[14:15], null, v12, v5, 0
	v_mad_u64_u32 v[16:17], null, v8, v3, 0
	v_mad_u64_u32 v[18:19], null, v8, v5, 0
	s_delay_alu instid0(VALU_DEP_3) | instskip(NEXT) | instid1(VALU_DEP_4)
	v_add_co_u32 v3, vcc_lo, v10, v14
	v_add_co_ci_u32_e32 v5, vcc_lo, 0, v15, vcc_lo
	s_delay_alu instid0(VALU_DEP_2) | instskip(NEXT) | instid1(VALU_DEP_2)
	v_add_co_u32 v3, vcc_lo, v3, v16
	v_add_co_ci_u32_e32 v3, vcc_lo, v5, v17, vcc_lo
	v_add_co_ci_u32_e32 v5, vcc_lo, 0, v19, vcc_lo
	s_delay_alu instid0(VALU_DEP_2) | instskip(NEXT) | instid1(VALU_DEP_2)
	v_add_co_u32 v3, vcc_lo, v3, v18
	v_add_co_ci_u32_e32 v5, vcc_lo, 0, v5, vcc_lo
	s_delay_alu instid0(VALU_DEP_2) | instskip(SKIP_1) | instid1(VALU_DEP_3)
	v_mul_lo_u32 v10, s23, v3
	v_mad_u64_u32 v[14:15], null, s22, v3, 0
	v_mul_lo_u32 v16, s22, v5
	s_delay_alu instid0(VALU_DEP_2) | instskip(NEXT) | instid1(VALU_DEP_2)
	v_sub_co_u32 v12, vcc_lo, v12, v14
	v_add3_u32 v10, v15, v16, v10
	s_delay_alu instid0(VALU_DEP_1) | instskip(NEXT) | instid1(VALU_DEP_1)
	v_sub_nc_u32_e32 v15, v8, v10
	v_subrev_co_ci_u32_e64 v14, s0, s23, v15, vcc_lo
	v_add_co_u32 v15, s0, v3, 2
	s_delay_alu instid0(VALU_DEP_1) | instskip(SKIP_3) | instid1(VALU_DEP_3)
	v_add_co_ci_u32_e64 v16, s0, 0, v5, s0
	v_sub_co_u32 v17, s0, v12, s22
	v_sub_co_ci_u32_e32 v8, vcc_lo, v8, v10, vcc_lo
	v_subrev_co_ci_u32_e64 v14, s0, 0, v14, s0
	v_cmp_le_u32_e32 vcc_lo, s22, v17
	s_delay_alu instid0(VALU_DEP_3) | instskip(SKIP_1) | instid1(VALU_DEP_4)
	v_cmp_eq_u32_e64 s0, s23, v8
	v_cndmask_b32_e64 v10, 0, -1, vcc_lo
	v_cmp_le_u32_e32 vcc_lo, s23, v14
	v_cndmask_b32_e64 v17, 0, -1, vcc_lo
	v_cmp_le_u32_e32 vcc_lo, s22, v12
	;; [unrolled: 2-line block ×3, first 2 shown]
	v_cndmask_b32_e64 v18, 0, -1, vcc_lo
	v_cmp_eq_u32_e32 vcc_lo, s23, v14
	s_delay_alu instid0(VALU_DEP_2) | instskip(SKIP_3) | instid1(VALU_DEP_3)
	v_cndmask_b32_e64 v8, v18, v12, s0
	v_cndmask_b32_e32 v10, v17, v10, vcc_lo
	v_add_co_u32 v14, vcc_lo, v3, 1
	v_add_co_ci_u32_e32 v17, vcc_lo, 0, v5, vcc_lo
	v_cmp_ne_u32_e32 vcc_lo, 0, v10
	s_delay_alu instid0(VALU_DEP_2) | instskip(NEXT) | instid1(VALU_DEP_4)
	v_cndmask_b32_e32 v10, v17, v16, vcc_lo
	v_cndmask_b32_e32 v12, v14, v15, vcc_lo
	v_cmp_ne_u32_e32 vcc_lo, 0, v8
	v_xor_b32_e32 v8, s20, v20
	s_delay_alu instid0(VALU_DEP_4) | instskip(NEXT) | instid1(VALU_DEP_4)
	v_cndmask_b32_e32 v5, v5, v10, vcc_lo
	v_cndmask_b32_e32 v3, v3, v12, vcc_lo
	v_xor_b32_e32 v10, s21, v20
	s_delay_alu instid0(VALU_DEP_2) | instskip(NEXT) | instid1(VALU_DEP_2)
	v_xor_b32_e32 v3, v3, v8
	v_xor_b32_e32 v5, v5, v10
	s_delay_alu instid0(VALU_DEP_2) | instskip(NEXT) | instid1(VALU_DEP_2)
	v_sub_co_u32 v15, vcc_lo, v3, v8
	v_sub_co_ci_u32_e32 v16, vcc_lo, v5, v10, vcc_lo
.LBB32_38:                              ;   in Loop: Header=BB32_24 Depth=2
	s_and_not1_saveexec_b32 s0, s14
	s_cbranch_execz .LBB32_40
; %bb.39:                               ;   in Loop: Header=BB32_24 Depth=2
	v_cvt_f32_u32_e32 v3, s47
	s_sub_i32 s14, 0, s47
	v_mov_b32_e32 v16, v2
	s_delay_alu instid0(VALU_DEP_2) | instskip(SKIP_2) | instid1(VALU_DEP_1)
	v_rcp_iflag_f32_e32 v3, v3
	s_waitcnt_depctr 0xfff
	v_mul_f32_e32 v3, 0x4f7ffffe, v3
	v_cvt_u32_f32_e32 v3, v3
	s_delay_alu instid0(VALU_DEP_1) | instskip(NEXT) | instid1(VALU_DEP_1)
	v_mul_lo_u32 v5, s14, v3
	v_mul_hi_u32 v5, v3, v5
	s_delay_alu instid0(VALU_DEP_1) | instskip(NEXT) | instid1(VALU_DEP_1)
	v_add_nc_u32_e32 v3, v3, v5
	v_mul_hi_u32 v3, v13, v3
	s_delay_alu instid0(VALU_DEP_1) | instskip(NEXT) | instid1(VALU_DEP_1)
	v_mul_lo_u32 v5, v3, s47
	v_sub_nc_u32_e32 v5, v13, v5
	s_delay_alu instid0(VALU_DEP_1) | instskip(SKIP_1) | instid1(VALU_DEP_2)
	v_subrev_nc_u32_e32 v10, s47, v5
	v_cmp_le_u32_e32 vcc_lo, s47, v5
	v_dual_cndmask_b32 v5, v5, v10 :: v_dual_add_nc_u32 v8, 1, v3
	s_delay_alu instid0(VALU_DEP_1) | instskip(NEXT) | instid1(VALU_DEP_2)
	v_cndmask_b32_e32 v3, v3, v8, vcc_lo
	v_cmp_le_u32_e32 vcc_lo, s47, v5
	s_delay_alu instid0(VALU_DEP_2) | instskip(NEXT) | instid1(VALU_DEP_1)
	v_add_nc_u32_e32 v8, 1, v3
	v_cndmask_b32_e32 v15, v3, v8, vcc_lo
.LBB32_40:                              ;   in Loop: Header=BB32_24 Depth=2
	s_or_b32 exec_lo, exec_lo, s0
	s_add_u32 s20, s30, s18
	s_addc_u32 s21, s1, s19
	s_add_i32 s14, s16, 3
                                        ; implicit-def: $vgpr17_vgpr18
	s_delay_alu instid0(SALU_CYCLE_1)
	s_lshl_b64 s[18:19], s[14:15], 2
	s_mov_b32 s14, exec_lo
	s_add_u32 s22, s26, s18
	s_addc_u32 s23, s27, s19
	s_clause 0x1
	s_load_b32 s49, s[22:23], 0x0
	s_load_b32 s48, s[20:21], 0x0
	s_waitcnt lgkmcnt(0)
	s_ashr_i32 s0, s49, 31
	s_delay_alu instid0(SALU_CYCLE_1) | instskip(NEXT) | instid1(VALU_DEP_1)
	v_or_b32_e32 v3, s0, v16
	v_cmpx_ne_u64_e32 0, v[2:3]
	s_xor_b32 s14, exec_lo, s14
	s_cbranch_execz .LBB32_42
; %bb.41:                               ;   in Loop: Header=BB32_24 Depth=2
	s_add_u32 s22, s49, s0
	s_mov_b32 s20, s0
	s_mov_b32 s21, s0
	s_addc_u32 s23, s0, s0
	v_ashrrev_i32_e32 v22, 31, v16
	s_xor_b64 s[22:23], s[22:23], s[20:21]
	s_delay_alu instid0(SALU_CYCLE_1) | instskip(SKIP_3) | instid1(VALU_DEP_1)
	v_cvt_f32_u32_e32 v3, s22
	v_cvt_f32_u32_e32 v5, s23
	s_sub_u32 s0, 0, s22
	s_subb_u32 s17, 0, s23
	v_fmac_f32_e32 v3, 0x4f800000, v5
	s_delay_alu instid0(VALU_DEP_1) | instskip(SKIP_2) | instid1(VALU_DEP_1)
	v_rcp_f32_e32 v3, v3
	s_waitcnt_depctr 0xfff
	v_mul_f32_e32 v3, 0x5f7ffffc, v3
	v_mul_f32_e32 v5, 0x2f800000, v3
	s_delay_alu instid0(VALU_DEP_1) | instskip(NEXT) | instid1(VALU_DEP_1)
	v_trunc_f32_e32 v5, v5
	v_fmac_f32_e32 v3, 0xcf800000, v5
	v_cvt_u32_f32_e32 v5, v5
	s_delay_alu instid0(VALU_DEP_2) | instskip(NEXT) | instid1(VALU_DEP_2)
	v_cvt_u32_f32_e32 v3, v3
	v_mul_lo_u32 v8, s0, v5
	s_delay_alu instid0(VALU_DEP_2) | instskip(SKIP_1) | instid1(VALU_DEP_2)
	v_mul_hi_u32 v10, s0, v3
	v_mul_lo_u32 v12, s17, v3
	v_add_nc_u32_e32 v8, v10, v8
	v_mul_lo_u32 v10, s0, v3
	s_delay_alu instid0(VALU_DEP_2) | instskip(NEXT) | instid1(VALU_DEP_2)
	v_add_nc_u32_e32 v8, v8, v12
	v_mul_hi_u32 v12, v3, v10
	s_delay_alu instid0(VALU_DEP_2)
	v_mul_lo_u32 v14, v3, v8
	v_mul_hi_u32 v17, v3, v8
	v_mul_hi_u32 v18, v5, v10
	v_mul_lo_u32 v10, v5, v10
	v_mul_hi_u32 v19, v5, v8
	v_mul_lo_u32 v8, v5, v8
	v_add_co_u32 v12, vcc_lo, v12, v14
	v_add_co_ci_u32_e32 v14, vcc_lo, 0, v17, vcc_lo
	s_delay_alu instid0(VALU_DEP_2) | instskip(NEXT) | instid1(VALU_DEP_2)
	v_add_co_u32 v10, vcc_lo, v12, v10
	v_add_co_ci_u32_e32 v10, vcc_lo, v14, v18, vcc_lo
	v_add_co_ci_u32_e32 v12, vcc_lo, 0, v19, vcc_lo
	s_delay_alu instid0(VALU_DEP_2) | instskip(NEXT) | instid1(VALU_DEP_2)
	v_add_co_u32 v8, vcc_lo, v10, v8
	v_add_co_ci_u32_e32 v10, vcc_lo, 0, v12, vcc_lo
	s_delay_alu instid0(VALU_DEP_2) | instskip(NEXT) | instid1(VALU_DEP_2)
	v_add_co_u32 v3, vcc_lo, v3, v8
	v_add_co_ci_u32_e32 v5, vcc_lo, v5, v10, vcc_lo
	s_delay_alu instid0(VALU_DEP_2) | instskip(SKIP_1) | instid1(VALU_DEP_3)
	v_mul_hi_u32 v8, s0, v3
	v_mul_lo_u32 v12, s17, v3
	v_mul_lo_u32 v10, s0, v5
	s_delay_alu instid0(VALU_DEP_1) | instskip(SKIP_1) | instid1(VALU_DEP_2)
	v_add_nc_u32_e32 v8, v8, v10
	v_mul_lo_u32 v10, s0, v3
	v_add_nc_u32_e32 v8, v8, v12
	s_delay_alu instid0(VALU_DEP_2) | instskip(NEXT) | instid1(VALU_DEP_2)
	v_mul_hi_u32 v12, v3, v10
	v_mul_lo_u32 v14, v3, v8
	v_mul_hi_u32 v17, v3, v8
	v_mul_hi_u32 v18, v5, v10
	v_mul_lo_u32 v10, v5, v10
	v_mul_hi_u32 v19, v5, v8
	v_mul_lo_u32 v8, v5, v8
	v_add_co_u32 v12, vcc_lo, v12, v14
	v_add_co_ci_u32_e32 v14, vcc_lo, 0, v17, vcc_lo
	s_delay_alu instid0(VALU_DEP_2) | instskip(NEXT) | instid1(VALU_DEP_2)
	v_add_co_u32 v10, vcc_lo, v12, v10
	v_add_co_ci_u32_e32 v10, vcc_lo, v14, v18, vcc_lo
	v_add_co_ci_u32_e32 v12, vcc_lo, 0, v19, vcc_lo
	v_add_co_u32 v14, vcc_lo, v15, v22
	v_add_co_ci_u32_e32 v16, vcc_lo, v16, v22, vcc_lo
	s_delay_alu instid0(VALU_DEP_4) | instskip(NEXT) | instid1(VALU_DEP_4)
	v_add_co_u32 v8, vcc_lo, v10, v8
	v_add_co_ci_u32_e32 v10, vcc_lo, 0, v12, vcc_lo
	s_delay_alu instid0(VALU_DEP_4) | instskip(NEXT) | instid1(VALU_DEP_3)
	v_xor_b32_e32 v12, v14, v22
	v_add_co_u32 v3, vcc_lo, v3, v8
	s_delay_alu instid0(VALU_DEP_3) | instskip(SKIP_1) | instid1(VALU_DEP_3)
	v_add_co_ci_u32_e32 v5, vcc_lo, v5, v10, vcc_lo
	v_xor_b32_e32 v8, v16, v22
	v_mul_hi_u32 v10, v12, v3
	s_delay_alu instid0(VALU_DEP_3) | instskip(NEXT) | instid1(VALU_DEP_3)
	v_mad_u64_u32 v[16:17], null, v12, v5, 0
	v_mad_u64_u32 v[18:19], null, v8, v3, 0
	;; [unrolled: 1-line block ×3, first 2 shown]
	s_delay_alu instid0(VALU_DEP_3) | instskip(NEXT) | instid1(VALU_DEP_4)
	v_add_co_u32 v3, vcc_lo, v10, v16
	v_add_co_ci_u32_e32 v5, vcc_lo, 0, v17, vcc_lo
	s_delay_alu instid0(VALU_DEP_2) | instskip(NEXT) | instid1(VALU_DEP_2)
	v_add_co_u32 v3, vcc_lo, v3, v18
	v_add_co_ci_u32_e32 v3, vcc_lo, v5, v19, vcc_lo
	v_add_co_ci_u32_e32 v5, vcc_lo, 0, v21, vcc_lo
	s_delay_alu instid0(VALU_DEP_2) | instskip(NEXT) | instid1(VALU_DEP_2)
	v_add_co_u32 v3, vcc_lo, v3, v20
	v_add_co_ci_u32_e32 v5, vcc_lo, 0, v5, vcc_lo
	s_delay_alu instid0(VALU_DEP_2) | instskip(SKIP_1) | instid1(VALU_DEP_3)
	v_mul_lo_u32 v10, s23, v3
	v_mad_u64_u32 v[16:17], null, s22, v3, 0
	v_mul_lo_u32 v14, s22, v5
	s_delay_alu instid0(VALU_DEP_2) | instskip(NEXT) | instid1(VALU_DEP_2)
	v_sub_co_u32 v12, vcc_lo, v12, v16
	v_add3_u32 v10, v17, v14, v10
	s_delay_alu instid0(VALU_DEP_1) | instskip(NEXT) | instid1(VALU_DEP_1)
	v_sub_nc_u32_e32 v14, v8, v10
	v_subrev_co_ci_u32_e64 v14, s0, s23, v14, vcc_lo
	v_add_co_u32 v16, s0, v3, 2
	s_delay_alu instid0(VALU_DEP_1) | instskip(SKIP_3) | instid1(VALU_DEP_3)
	v_add_co_ci_u32_e64 v17, s0, 0, v5, s0
	v_sub_co_u32 v18, s0, v12, s22
	v_sub_co_ci_u32_e32 v8, vcc_lo, v8, v10, vcc_lo
	v_subrev_co_ci_u32_e64 v14, s0, 0, v14, s0
	v_cmp_le_u32_e32 vcc_lo, s22, v18
	s_delay_alu instid0(VALU_DEP_3) | instskip(SKIP_1) | instid1(VALU_DEP_4)
	v_cmp_eq_u32_e64 s0, s23, v8
	v_cndmask_b32_e64 v10, 0, -1, vcc_lo
	v_cmp_le_u32_e32 vcc_lo, s23, v14
	v_cndmask_b32_e64 v18, 0, -1, vcc_lo
	v_cmp_le_u32_e32 vcc_lo, s22, v12
	;; [unrolled: 2-line block ×3, first 2 shown]
	v_cndmask_b32_e64 v19, 0, -1, vcc_lo
	v_cmp_eq_u32_e32 vcc_lo, s23, v14
	s_delay_alu instid0(VALU_DEP_2) | instskip(SKIP_3) | instid1(VALU_DEP_3)
	v_cndmask_b32_e64 v8, v19, v12, s0
	v_cndmask_b32_e32 v10, v18, v10, vcc_lo
	v_add_co_u32 v14, vcc_lo, v3, 1
	v_add_co_ci_u32_e32 v18, vcc_lo, 0, v5, vcc_lo
	v_cmp_ne_u32_e32 vcc_lo, 0, v10
	s_delay_alu instid0(VALU_DEP_2) | instskip(NEXT) | instid1(VALU_DEP_4)
	v_cndmask_b32_e32 v10, v18, v17, vcc_lo
	v_cndmask_b32_e32 v12, v14, v16, vcc_lo
	v_cmp_ne_u32_e32 vcc_lo, 0, v8
	v_xor_b32_e32 v8, s20, v22
	s_delay_alu instid0(VALU_DEP_4) | instskip(NEXT) | instid1(VALU_DEP_4)
	v_cndmask_b32_e32 v5, v5, v10, vcc_lo
	v_cndmask_b32_e32 v3, v3, v12, vcc_lo
	v_xor_b32_e32 v10, s21, v22
	s_delay_alu instid0(VALU_DEP_2) | instskip(NEXT) | instid1(VALU_DEP_2)
	v_xor_b32_e32 v3, v3, v8
	v_xor_b32_e32 v5, v5, v10
	s_delay_alu instid0(VALU_DEP_2) | instskip(NEXT) | instid1(VALU_DEP_2)
	v_sub_co_u32 v17, vcc_lo, v3, v8
	v_sub_co_ci_u32_e32 v18, vcc_lo, v5, v10, vcc_lo
.LBB32_42:                              ;   in Loop: Header=BB32_24 Depth=2
	s_and_not1_saveexec_b32 s0, s14
	s_cbranch_execz .LBB32_44
; %bb.43:                               ;   in Loop: Header=BB32_24 Depth=2
	v_cvt_f32_u32_e32 v3, s49
	s_sub_i32 s14, 0, s49
	v_mov_b32_e32 v18, v2
	s_delay_alu instid0(VALU_DEP_2) | instskip(SKIP_2) | instid1(VALU_DEP_1)
	v_rcp_iflag_f32_e32 v3, v3
	s_waitcnt_depctr 0xfff
	v_mul_f32_e32 v3, 0x4f7ffffe, v3
	v_cvt_u32_f32_e32 v3, v3
	s_delay_alu instid0(VALU_DEP_1) | instskip(NEXT) | instid1(VALU_DEP_1)
	v_mul_lo_u32 v5, s14, v3
	v_mul_hi_u32 v5, v3, v5
	s_delay_alu instid0(VALU_DEP_1) | instskip(NEXT) | instid1(VALU_DEP_1)
	v_add_nc_u32_e32 v3, v3, v5
	v_mul_hi_u32 v3, v15, v3
	s_delay_alu instid0(VALU_DEP_1) | instskip(NEXT) | instid1(VALU_DEP_1)
	v_mul_lo_u32 v5, v3, s49
	v_sub_nc_u32_e32 v5, v15, v5
	s_delay_alu instid0(VALU_DEP_1) | instskip(SKIP_1) | instid1(VALU_DEP_2)
	v_subrev_nc_u32_e32 v10, s49, v5
	v_cmp_le_u32_e32 vcc_lo, s49, v5
	v_dual_cndmask_b32 v5, v5, v10 :: v_dual_add_nc_u32 v8, 1, v3
	s_delay_alu instid0(VALU_DEP_1) | instskip(NEXT) | instid1(VALU_DEP_2)
	v_cndmask_b32_e32 v3, v3, v8, vcc_lo
	v_cmp_le_u32_e32 vcc_lo, s49, v5
	s_delay_alu instid0(VALU_DEP_2) | instskip(NEXT) | instid1(VALU_DEP_1)
	v_add_nc_u32_e32 v8, 1, v3
	v_cndmask_b32_e32 v17, v3, v8, vcc_lo
.LBB32_44:                              ;   in Loop: Header=BB32_24 Depth=2
	s_or_b32 exec_lo, exec_lo, s0
	s_add_u32 s20, s30, s18
	s_addc_u32 s21, s1, s19
	s_add_i32 s14, s16, 2
                                        ; implicit-def: $vgpr19_vgpr20
	s_delay_alu instid0(SALU_CYCLE_1)
	s_lshl_b64 s[18:19], s[14:15], 2
	s_mov_b32 s14, exec_lo
	s_add_u32 s22, s26, s18
	s_addc_u32 s23, s27, s19
	s_clause 0x1
	s_load_b32 s51, s[22:23], 0x0
	s_load_b32 s50, s[20:21], 0x0
	s_waitcnt lgkmcnt(0)
	s_ashr_i32 s0, s51, 31
	s_delay_alu instid0(SALU_CYCLE_1) | instskip(NEXT) | instid1(VALU_DEP_1)
	v_or_b32_e32 v3, s0, v18
	v_cmpx_ne_u64_e32 0, v[2:3]
	s_xor_b32 s14, exec_lo, s14
	s_cbranch_execz .LBB32_46
; %bb.45:                               ;   in Loop: Header=BB32_24 Depth=2
	s_add_u32 s22, s51, s0
	s_mov_b32 s20, s0
	s_mov_b32 s21, s0
	s_addc_u32 s23, s0, s0
	v_ashrrev_i32_e32 v24, 31, v18
	s_xor_b64 s[22:23], s[22:23], s[20:21]
	s_delay_alu instid0(SALU_CYCLE_1) | instskip(SKIP_3) | instid1(VALU_DEP_1)
	v_cvt_f32_u32_e32 v3, s22
	v_cvt_f32_u32_e32 v5, s23
	s_sub_u32 s0, 0, s22
	s_subb_u32 s17, 0, s23
	v_fmac_f32_e32 v3, 0x4f800000, v5
	s_delay_alu instid0(VALU_DEP_1) | instskip(SKIP_2) | instid1(VALU_DEP_1)
	v_rcp_f32_e32 v3, v3
	s_waitcnt_depctr 0xfff
	v_mul_f32_e32 v3, 0x5f7ffffc, v3
	v_mul_f32_e32 v5, 0x2f800000, v3
	s_delay_alu instid0(VALU_DEP_1) | instskip(NEXT) | instid1(VALU_DEP_1)
	v_trunc_f32_e32 v5, v5
	v_fmac_f32_e32 v3, 0xcf800000, v5
	v_cvt_u32_f32_e32 v5, v5
	s_delay_alu instid0(VALU_DEP_2) | instskip(NEXT) | instid1(VALU_DEP_2)
	v_cvt_u32_f32_e32 v3, v3
	v_mul_lo_u32 v8, s0, v5
	s_delay_alu instid0(VALU_DEP_2) | instskip(SKIP_1) | instid1(VALU_DEP_2)
	v_mul_hi_u32 v10, s0, v3
	v_mul_lo_u32 v12, s17, v3
	v_add_nc_u32_e32 v8, v10, v8
	v_mul_lo_u32 v10, s0, v3
	s_delay_alu instid0(VALU_DEP_2) | instskip(NEXT) | instid1(VALU_DEP_2)
	v_add_nc_u32_e32 v8, v8, v12
	v_mul_hi_u32 v12, v3, v10
	s_delay_alu instid0(VALU_DEP_2)
	v_mul_lo_u32 v14, v3, v8
	v_mul_hi_u32 v16, v3, v8
	v_mul_hi_u32 v19, v5, v10
	v_mul_lo_u32 v10, v5, v10
	v_mul_hi_u32 v20, v5, v8
	v_mul_lo_u32 v8, v5, v8
	v_add_co_u32 v12, vcc_lo, v12, v14
	v_add_co_ci_u32_e32 v14, vcc_lo, 0, v16, vcc_lo
	s_delay_alu instid0(VALU_DEP_2) | instskip(NEXT) | instid1(VALU_DEP_2)
	v_add_co_u32 v10, vcc_lo, v12, v10
	v_add_co_ci_u32_e32 v10, vcc_lo, v14, v19, vcc_lo
	v_add_co_ci_u32_e32 v12, vcc_lo, 0, v20, vcc_lo
	s_delay_alu instid0(VALU_DEP_2) | instskip(NEXT) | instid1(VALU_DEP_2)
	v_add_co_u32 v8, vcc_lo, v10, v8
	v_add_co_ci_u32_e32 v10, vcc_lo, 0, v12, vcc_lo
	s_delay_alu instid0(VALU_DEP_2) | instskip(NEXT) | instid1(VALU_DEP_2)
	v_add_co_u32 v3, vcc_lo, v3, v8
	v_add_co_ci_u32_e32 v5, vcc_lo, v5, v10, vcc_lo
	s_delay_alu instid0(VALU_DEP_2) | instskip(SKIP_1) | instid1(VALU_DEP_3)
	v_mul_hi_u32 v8, s0, v3
	v_mul_lo_u32 v12, s17, v3
	v_mul_lo_u32 v10, s0, v5
	s_delay_alu instid0(VALU_DEP_1) | instskip(SKIP_1) | instid1(VALU_DEP_2)
	v_add_nc_u32_e32 v8, v8, v10
	v_mul_lo_u32 v10, s0, v3
	v_add_nc_u32_e32 v8, v8, v12
	s_delay_alu instid0(VALU_DEP_2) | instskip(NEXT) | instid1(VALU_DEP_2)
	v_mul_hi_u32 v12, v3, v10
	v_mul_lo_u32 v14, v3, v8
	v_mul_hi_u32 v16, v3, v8
	v_mul_hi_u32 v19, v5, v10
	v_mul_lo_u32 v10, v5, v10
	v_mul_hi_u32 v20, v5, v8
	v_mul_lo_u32 v8, v5, v8
	v_add_co_u32 v12, vcc_lo, v12, v14
	v_add_co_ci_u32_e32 v14, vcc_lo, 0, v16, vcc_lo
	s_delay_alu instid0(VALU_DEP_2) | instskip(NEXT) | instid1(VALU_DEP_2)
	v_add_co_u32 v10, vcc_lo, v12, v10
	v_add_co_ci_u32_e32 v10, vcc_lo, v14, v19, vcc_lo
	v_add_co_ci_u32_e32 v12, vcc_lo, 0, v20, vcc_lo
	v_add_co_u32 v14, vcc_lo, v17, v24
	v_add_co_ci_u32_e32 v16, vcc_lo, v18, v24, vcc_lo
	s_delay_alu instid0(VALU_DEP_4) | instskip(NEXT) | instid1(VALU_DEP_4)
	v_add_co_u32 v8, vcc_lo, v10, v8
	v_add_co_ci_u32_e32 v10, vcc_lo, 0, v12, vcc_lo
	s_delay_alu instid0(VALU_DEP_4) | instskip(NEXT) | instid1(VALU_DEP_3)
	v_xor_b32_e32 v12, v14, v24
	v_add_co_u32 v3, vcc_lo, v3, v8
	s_delay_alu instid0(VALU_DEP_3) | instskip(SKIP_1) | instid1(VALU_DEP_3)
	v_add_co_ci_u32_e32 v5, vcc_lo, v5, v10, vcc_lo
	v_xor_b32_e32 v8, v16, v24
	v_mul_hi_u32 v10, v12, v3
	s_delay_alu instid0(VALU_DEP_3) | instskip(NEXT) | instid1(VALU_DEP_3)
	v_mad_u64_u32 v[18:19], null, v12, v5, 0
	v_mad_u64_u32 v[20:21], null, v8, v3, 0
	;; [unrolled: 1-line block ×3, first 2 shown]
	s_delay_alu instid0(VALU_DEP_3) | instskip(NEXT) | instid1(VALU_DEP_4)
	v_add_co_u32 v3, vcc_lo, v10, v18
	v_add_co_ci_u32_e32 v5, vcc_lo, 0, v19, vcc_lo
	s_delay_alu instid0(VALU_DEP_2) | instskip(NEXT) | instid1(VALU_DEP_2)
	v_add_co_u32 v3, vcc_lo, v3, v20
	v_add_co_ci_u32_e32 v3, vcc_lo, v5, v21, vcc_lo
	v_add_co_ci_u32_e32 v5, vcc_lo, 0, v23, vcc_lo
	s_delay_alu instid0(VALU_DEP_2) | instskip(NEXT) | instid1(VALU_DEP_2)
	v_add_co_u32 v3, vcc_lo, v3, v22
	v_add_co_ci_u32_e32 v5, vcc_lo, 0, v5, vcc_lo
	s_delay_alu instid0(VALU_DEP_2) | instskip(SKIP_1) | instid1(VALU_DEP_3)
	v_mul_lo_u32 v10, s23, v3
	v_mad_u64_u32 v[18:19], null, s22, v3, 0
	v_mul_lo_u32 v14, s22, v5
	s_delay_alu instid0(VALU_DEP_2) | instskip(NEXT) | instid1(VALU_DEP_2)
	v_sub_co_u32 v12, vcc_lo, v12, v18
	v_add3_u32 v10, v19, v14, v10
	s_delay_alu instid0(VALU_DEP_1) | instskip(NEXT) | instid1(VALU_DEP_1)
	v_sub_nc_u32_e32 v14, v8, v10
	v_subrev_co_ci_u32_e64 v14, s0, s23, v14, vcc_lo
	v_add_co_u32 v16, s0, v3, 2
	s_delay_alu instid0(VALU_DEP_1) | instskip(SKIP_3) | instid1(VALU_DEP_3)
	v_add_co_ci_u32_e64 v18, s0, 0, v5, s0
	v_sub_co_u32 v19, s0, v12, s22
	v_sub_co_ci_u32_e32 v8, vcc_lo, v8, v10, vcc_lo
	v_subrev_co_ci_u32_e64 v14, s0, 0, v14, s0
	v_cmp_le_u32_e32 vcc_lo, s22, v19
	s_delay_alu instid0(VALU_DEP_3) | instskip(SKIP_1) | instid1(VALU_DEP_4)
	v_cmp_eq_u32_e64 s0, s23, v8
	v_cndmask_b32_e64 v10, 0, -1, vcc_lo
	v_cmp_le_u32_e32 vcc_lo, s23, v14
	v_cndmask_b32_e64 v19, 0, -1, vcc_lo
	v_cmp_le_u32_e32 vcc_lo, s22, v12
	;; [unrolled: 2-line block ×3, first 2 shown]
	v_cndmask_b32_e64 v20, 0, -1, vcc_lo
	v_cmp_eq_u32_e32 vcc_lo, s23, v14
	s_delay_alu instid0(VALU_DEP_2) | instskip(SKIP_3) | instid1(VALU_DEP_3)
	v_cndmask_b32_e64 v8, v20, v12, s0
	v_cndmask_b32_e32 v10, v19, v10, vcc_lo
	v_add_co_u32 v14, vcc_lo, v3, 1
	v_add_co_ci_u32_e32 v19, vcc_lo, 0, v5, vcc_lo
	v_cmp_ne_u32_e32 vcc_lo, 0, v10
	s_delay_alu instid0(VALU_DEP_2) | instskip(NEXT) | instid1(VALU_DEP_4)
	v_cndmask_b32_e32 v10, v19, v18, vcc_lo
	v_cndmask_b32_e32 v12, v14, v16, vcc_lo
	v_cmp_ne_u32_e32 vcc_lo, 0, v8
	v_xor_b32_e32 v8, s20, v24
	s_delay_alu instid0(VALU_DEP_4) | instskip(NEXT) | instid1(VALU_DEP_4)
	v_cndmask_b32_e32 v5, v5, v10, vcc_lo
	v_cndmask_b32_e32 v3, v3, v12, vcc_lo
	v_xor_b32_e32 v10, s21, v24
	s_delay_alu instid0(VALU_DEP_2) | instskip(NEXT) | instid1(VALU_DEP_2)
	v_xor_b32_e32 v3, v3, v8
	v_xor_b32_e32 v5, v5, v10
	s_delay_alu instid0(VALU_DEP_2) | instskip(NEXT) | instid1(VALU_DEP_2)
	v_sub_co_u32 v19, vcc_lo, v3, v8
	v_sub_co_ci_u32_e32 v20, vcc_lo, v5, v10, vcc_lo
.LBB32_46:                              ;   in Loop: Header=BB32_24 Depth=2
	s_and_not1_saveexec_b32 s0, s14
	s_cbranch_execz .LBB32_48
; %bb.47:                               ;   in Loop: Header=BB32_24 Depth=2
	v_cvt_f32_u32_e32 v3, s51
	s_sub_i32 s14, 0, s51
	v_mov_b32_e32 v20, v2
	s_delay_alu instid0(VALU_DEP_2) | instskip(SKIP_2) | instid1(VALU_DEP_1)
	v_rcp_iflag_f32_e32 v3, v3
	s_waitcnt_depctr 0xfff
	v_mul_f32_e32 v3, 0x4f7ffffe, v3
	v_cvt_u32_f32_e32 v3, v3
	s_delay_alu instid0(VALU_DEP_1) | instskip(NEXT) | instid1(VALU_DEP_1)
	v_mul_lo_u32 v5, s14, v3
	v_mul_hi_u32 v5, v3, v5
	s_delay_alu instid0(VALU_DEP_1) | instskip(NEXT) | instid1(VALU_DEP_1)
	v_add_nc_u32_e32 v3, v3, v5
	v_mul_hi_u32 v3, v17, v3
	s_delay_alu instid0(VALU_DEP_1) | instskip(NEXT) | instid1(VALU_DEP_1)
	v_mul_lo_u32 v5, v3, s51
	v_sub_nc_u32_e32 v5, v17, v5
	s_delay_alu instid0(VALU_DEP_1) | instskip(SKIP_1) | instid1(VALU_DEP_2)
	v_subrev_nc_u32_e32 v10, s51, v5
	v_cmp_le_u32_e32 vcc_lo, s51, v5
	v_dual_cndmask_b32 v5, v5, v10 :: v_dual_add_nc_u32 v8, 1, v3
	s_delay_alu instid0(VALU_DEP_1) | instskip(NEXT) | instid1(VALU_DEP_2)
	v_cndmask_b32_e32 v3, v3, v8, vcc_lo
	v_cmp_le_u32_e32 vcc_lo, s51, v5
	s_delay_alu instid0(VALU_DEP_2) | instskip(NEXT) | instid1(VALU_DEP_1)
	v_add_nc_u32_e32 v8, 1, v3
	v_cndmask_b32_e32 v19, v3, v8, vcc_lo
.LBB32_48:                              ;   in Loop: Header=BB32_24 Depth=2
	s_or_b32 exec_lo, exec_lo, s0
	s_add_u32 s20, s30, s18
	s_addc_u32 s21, s1, s19
	s_add_i32 s14, s16, 1
	s_mov_b32 s17, exec_lo
	s_lshl_b64 s[18:19], s[14:15], 2
                                        ; implicit-def: $vgpr21_vgpr22
	s_delay_alu instid0(SALU_CYCLE_1)
	s_add_u32 s22, s26, s18
	s_addc_u32 s23, s27, s19
	s_clause 0x1
	s_load_b32 s52, s[22:23], 0x0
	s_load_b32 s14, s[20:21], 0x0
	s_waitcnt lgkmcnt(0)
	s_ashr_i32 s0, s52, 31
	s_delay_alu instid0(SALU_CYCLE_1) | instskip(NEXT) | instid1(VALU_DEP_1)
	v_or_b32_e32 v3, s0, v20
	v_cmpx_ne_u64_e32 0, v[2:3]
	s_xor_b32 s17, exec_lo, s17
	s_cbranch_execz .LBB32_50
; %bb.49:                               ;   in Loop: Header=BB32_24 Depth=2
	s_add_u32 s22, s52, s0
	s_mov_b32 s20, s0
	s_mov_b32 s21, s0
	s_addc_u32 s23, s0, s0
	s_delay_alu instid0(SALU_CYCLE_1) | instskip(NEXT) | instid1(SALU_CYCLE_1)
	s_xor_b64 s[22:23], s[22:23], s[20:21]
	v_cvt_f32_u32_e32 v3, s22
	v_cvt_f32_u32_e32 v5, s23
	s_sub_u32 s0, 0, s22
	s_subb_u32 s53, 0, s23
	s_delay_alu instid0(VALU_DEP_1) | instskip(NEXT) | instid1(VALU_DEP_1)
	v_fmac_f32_e32 v3, 0x4f800000, v5
	v_rcp_f32_e32 v3, v3
	s_waitcnt_depctr 0xfff
	v_mul_f32_e32 v3, 0x5f7ffffc, v3
	s_delay_alu instid0(VALU_DEP_1) | instskip(NEXT) | instid1(VALU_DEP_1)
	v_mul_f32_e32 v5, 0x2f800000, v3
	v_trunc_f32_e32 v5, v5
	s_delay_alu instid0(VALU_DEP_1) | instskip(SKIP_1) | instid1(VALU_DEP_2)
	v_fmac_f32_e32 v3, 0xcf800000, v5
	v_cvt_u32_f32_e32 v5, v5
	v_cvt_u32_f32_e32 v3, v3
	s_delay_alu instid0(VALU_DEP_2) | instskip(NEXT) | instid1(VALU_DEP_2)
	v_mul_lo_u32 v8, s0, v5
	v_mul_hi_u32 v10, s0, v3
	v_mul_lo_u32 v12, s53, v3
	s_delay_alu instid0(VALU_DEP_2) | instskip(SKIP_1) | instid1(VALU_DEP_2)
	v_add_nc_u32_e32 v8, v10, v8
	v_mul_lo_u32 v10, s0, v3
	v_add_nc_u32_e32 v8, v8, v12
	s_delay_alu instid0(VALU_DEP_2) | instskip(NEXT) | instid1(VALU_DEP_2)
	v_mul_hi_u32 v12, v3, v10
	v_mul_lo_u32 v14, v3, v8
	v_mul_hi_u32 v16, v3, v8
	v_mul_hi_u32 v18, v5, v10
	v_mul_lo_u32 v10, v5, v10
	v_mul_hi_u32 v21, v5, v8
	v_mul_lo_u32 v8, v5, v8
	v_add_co_u32 v12, vcc_lo, v12, v14
	v_add_co_ci_u32_e32 v14, vcc_lo, 0, v16, vcc_lo
	s_delay_alu instid0(VALU_DEP_2) | instskip(NEXT) | instid1(VALU_DEP_2)
	v_add_co_u32 v10, vcc_lo, v12, v10
	v_add_co_ci_u32_e32 v10, vcc_lo, v14, v18, vcc_lo
	v_add_co_ci_u32_e32 v12, vcc_lo, 0, v21, vcc_lo
	v_ashrrev_i32_e32 v18, 31, v20
	s_delay_alu instid0(VALU_DEP_3) | instskip(NEXT) | instid1(VALU_DEP_3)
	v_add_co_u32 v8, vcc_lo, v10, v8
	v_add_co_ci_u32_e32 v10, vcc_lo, 0, v12, vcc_lo
	s_delay_alu instid0(VALU_DEP_2) | instskip(NEXT) | instid1(VALU_DEP_2)
	v_add_co_u32 v3, vcc_lo, v3, v8
	v_add_co_ci_u32_e32 v5, vcc_lo, v5, v10, vcc_lo
	s_delay_alu instid0(VALU_DEP_2) | instskip(SKIP_1) | instid1(VALU_DEP_3)
	v_mul_hi_u32 v8, s0, v3
	v_mul_lo_u32 v12, s53, v3
	v_mul_lo_u32 v10, s0, v5
	s_delay_alu instid0(VALU_DEP_1) | instskip(SKIP_1) | instid1(VALU_DEP_2)
	v_add_nc_u32_e32 v8, v8, v10
	v_mul_lo_u32 v10, s0, v3
	v_add_nc_u32_e32 v8, v8, v12
	s_delay_alu instid0(VALU_DEP_2) | instskip(NEXT) | instid1(VALU_DEP_2)
	v_mul_hi_u32 v12, v3, v10
	v_mul_lo_u32 v14, v3, v8
	v_mul_hi_u32 v16, v3, v8
	v_mul_hi_u32 v21, v5, v10
	v_mul_lo_u32 v10, v5, v10
	v_mul_hi_u32 v22, v5, v8
	v_mul_lo_u32 v8, v5, v8
	v_add_co_u32 v12, vcc_lo, v12, v14
	v_add_co_ci_u32_e32 v14, vcc_lo, 0, v16, vcc_lo
	s_delay_alu instid0(VALU_DEP_2) | instskip(NEXT) | instid1(VALU_DEP_2)
	v_add_co_u32 v10, vcc_lo, v12, v10
	v_add_co_ci_u32_e32 v10, vcc_lo, v14, v21, vcc_lo
	v_add_co_ci_u32_e32 v12, vcc_lo, 0, v22, vcc_lo
	v_add_co_u32 v14, vcc_lo, v19, v18
	v_add_co_ci_u32_e32 v16, vcc_lo, v20, v18, vcc_lo
	s_delay_alu instid0(VALU_DEP_4) | instskip(NEXT) | instid1(VALU_DEP_4)
	v_add_co_u32 v8, vcc_lo, v10, v8
	v_add_co_ci_u32_e32 v10, vcc_lo, 0, v12, vcc_lo
	s_delay_alu instid0(VALU_DEP_4) | instskip(NEXT) | instid1(VALU_DEP_3)
	v_xor_b32_e32 v12, v14, v18
	v_add_co_u32 v3, vcc_lo, v3, v8
	s_delay_alu instid0(VALU_DEP_3) | instskip(SKIP_1) | instid1(VALU_DEP_3)
	v_add_co_ci_u32_e32 v5, vcc_lo, v5, v10, vcc_lo
	v_xor_b32_e32 v8, v16, v18
	v_mul_hi_u32 v10, v12, v3
	s_delay_alu instid0(VALU_DEP_3) | instskip(NEXT) | instid1(VALU_DEP_3)
	v_mad_u64_u32 v[20:21], null, v12, v5, 0
	v_mad_u64_u32 v[22:23], null, v8, v3, 0
	;; [unrolled: 1-line block ×3, first 2 shown]
	s_delay_alu instid0(VALU_DEP_3) | instskip(NEXT) | instid1(VALU_DEP_4)
	v_add_co_u32 v3, vcc_lo, v10, v20
	v_add_co_ci_u32_e32 v5, vcc_lo, 0, v21, vcc_lo
	s_delay_alu instid0(VALU_DEP_2) | instskip(NEXT) | instid1(VALU_DEP_2)
	v_add_co_u32 v3, vcc_lo, v3, v22
	v_add_co_ci_u32_e32 v3, vcc_lo, v5, v23, vcc_lo
	v_add_co_ci_u32_e32 v5, vcc_lo, 0, v29, vcc_lo
	s_delay_alu instid0(VALU_DEP_2) | instskip(NEXT) | instid1(VALU_DEP_2)
	v_add_co_u32 v3, vcc_lo, v3, v28
	v_add_co_ci_u32_e32 v5, vcc_lo, 0, v5, vcc_lo
	s_delay_alu instid0(VALU_DEP_2) | instskip(SKIP_1) | instid1(VALU_DEP_3)
	v_mul_lo_u32 v10, s23, v3
	v_mad_u64_u32 v[20:21], null, s22, v3, 0
	v_mul_lo_u32 v14, s22, v5
	s_delay_alu instid0(VALU_DEP_2) | instskip(NEXT) | instid1(VALU_DEP_2)
	v_sub_co_u32 v12, vcc_lo, v12, v20
	v_add3_u32 v10, v21, v14, v10
	s_delay_alu instid0(VALU_DEP_1) | instskip(NEXT) | instid1(VALU_DEP_1)
	v_sub_nc_u32_e32 v14, v8, v10
	v_subrev_co_ci_u32_e64 v14, s0, s23, v14, vcc_lo
	v_add_co_u32 v16, s0, v3, 2
	s_delay_alu instid0(VALU_DEP_1) | instskip(SKIP_3) | instid1(VALU_DEP_3)
	v_add_co_ci_u32_e64 v20, s0, 0, v5, s0
	v_sub_co_u32 v21, s0, v12, s22
	v_sub_co_ci_u32_e32 v8, vcc_lo, v8, v10, vcc_lo
	v_subrev_co_ci_u32_e64 v14, s0, 0, v14, s0
	v_cmp_le_u32_e32 vcc_lo, s22, v21
	s_delay_alu instid0(VALU_DEP_3) | instskip(SKIP_1) | instid1(VALU_DEP_4)
	v_cmp_eq_u32_e64 s0, s23, v8
	v_cndmask_b32_e64 v10, 0, -1, vcc_lo
	v_cmp_le_u32_e32 vcc_lo, s23, v14
	v_cndmask_b32_e64 v21, 0, -1, vcc_lo
	v_cmp_le_u32_e32 vcc_lo, s22, v12
	;; [unrolled: 2-line block ×3, first 2 shown]
	v_cndmask_b32_e64 v22, 0, -1, vcc_lo
	v_cmp_eq_u32_e32 vcc_lo, s23, v14
	s_delay_alu instid0(VALU_DEP_2) | instskip(SKIP_3) | instid1(VALU_DEP_3)
	v_cndmask_b32_e64 v8, v22, v12, s0
	v_cndmask_b32_e32 v10, v21, v10, vcc_lo
	v_add_co_u32 v14, vcc_lo, v3, 1
	v_add_co_ci_u32_e32 v21, vcc_lo, 0, v5, vcc_lo
	v_cmp_ne_u32_e32 vcc_lo, 0, v10
	s_delay_alu instid0(VALU_DEP_2) | instskip(NEXT) | instid1(VALU_DEP_4)
	v_cndmask_b32_e32 v10, v21, v20, vcc_lo
	v_cndmask_b32_e32 v12, v14, v16, vcc_lo
	v_cmp_ne_u32_e32 vcc_lo, 0, v8
	v_xor_b32_e32 v8, s20, v18
	s_delay_alu instid0(VALU_DEP_4) | instskip(NEXT) | instid1(VALU_DEP_4)
	v_cndmask_b32_e32 v5, v5, v10, vcc_lo
	v_cndmask_b32_e32 v3, v3, v12, vcc_lo
	v_xor_b32_e32 v10, s21, v18
	s_delay_alu instid0(VALU_DEP_2) | instskip(NEXT) | instid1(VALU_DEP_2)
	v_xor_b32_e32 v3, v3, v8
	v_xor_b32_e32 v5, v5, v10
	s_delay_alu instid0(VALU_DEP_2) | instskip(NEXT) | instid1(VALU_DEP_2)
	v_sub_co_u32 v21, vcc_lo, v3, v8
	v_sub_co_ci_u32_e32 v22, vcc_lo, v5, v10, vcc_lo
.LBB32_50:                              ;   in Loop: Header=BB32_24 Depth=2
	s_and_not1_saveexec_b32 s0, s17
	s_cbranch_execz .LBB32_52
; %bb.51:                               ;   in Loop: Header=BB32_24 Depth=2
	v_cvt_f32_u32_e32 v3, s52
	s_sub_i32 s17, 0, s52
	v_mov_b32_e32 v22, v2
	s_delay_alu instid0(VALU_DEP_2) | instskip(SKIP_2) | instid1(VALU_DEP_1)
	v_rcp_iflag_f32_e32 v3, v3
	s_waitcnt_depctr 0xfff
	v_mul_f32_e32 v3, 0x4f7ffffe, v3
	v_cvt_u32_f32_e32 v3, v3
	s_delay_alu instid0(VALU_DEP_1) | instskip(NEXT) | instid1(VALU_DEP_1)
	v_mul_lo_u32 v5, s17, v3
	v_mul_hi_u32 v5, v3, v5
	s_delay_alu instid0(VALU_DEP_1) | instskip(NEXT) | instid1(VALU_DEP_1)
	v_add_nc_u32_e32 v3, v3, v5
	v_mul_hi_u32 v3, v19, v3
	s_delay_alu instid0(VALU_DEP_1) | instskip(NEXT) | instid1(VALU_DEP_1)
	v_mul_lo_u32 v5, v3, s52
	v_sub_nc_u32_e32 v5, v19, v5
	s_delay_alu instid0(VALU_DEP_1) | instskip(SKIP_1) | instid1(VALU_DEP_2)
	v_subrev_nc_u32_e32 v10, s52, v5
	v_cmp_le_u32_e32 vcc_lo, s52, v5
	v_dual_cndmask_b32 v5, v5, v10 :: v_dual_add_nc_u32 v8, 1, v3
	s_delay_alu instid0(VALU_DEP_1) | instskip(NEXT) | instid1(VALU_DEP_2)
	v_cndmask_b32_e32 v3, v3, v8, vcc_lo
	v_cmp_le_u32_e32 vcc_lo, s52, v5
	s_delay_alu instid0(VALU_DEP_2) | instskip(NEXT) | instid1(VALU_DEP_1)
	v_add_nc_u32_e32 v8, 1, v3
	v_cndmask_b32_e32 v21, v3, v8, vcc_lo
.LBB32_52:                              ;   in Loop: Header=BB32_24 Depth=2
	s_or_b32 exec_lo, exec_lo, s0
	s_mov_b32 s17, s15
	s_add_u32 s20, s30, s18
	s_addc_u32 s21, s1, s19
	s_lshl_b64 s[18:19], s[16:17], 2
                                        ; implicit-def: $vgpr23_vgpr24
	s_delay_alu instid0(SALU_CYCLE_1)
	s_add_u32 s22, s26, s18
	s_addc_u32 s23, s27, s19
	s_clause 0x1
	s_load_b32 s53, s[22:23], 0x0
	s_load_b32 s17, s[20:21], 0x0
	s_mov_b32 s20, exec_lo
	s_waitcnt lgkmcnt(0)
	s_ashr_i32 s0, s53, 31
	s_delay_alu instid0(SALU_CYCLE_1) | instskip(NEXT) | instid1(VALU_DEP_1)
	v_or_b32_e32 v3, s0, v22
	v_cmpx_ne_u64_e32 0, v[2:3]
	s_xor_b32 s54, exec_lo, s20
	s_cbranch_execz .LBB32_54
; %bb.53:                               ;   in Loop: Header=BB32_24 Depth=2
	s_add_u32 s22, s53, s0
	s_mov_b32 s20, s0
	s_mov_b32 s21, s0
	s_addc_u32 s23, s0, s0
	s_delay_alu instid0(SALU_CYCLE_1) | instskip(NEXT) | instid1(SALU_CYCLE_1)
	s_xor_b64 s[22:23], s[22:23], s[20:21]
	v_cvt_f32_u32_e32 v3, s22
	v_cvt_f32_u32_e32 v5, s23
	s_sub_u32 s0, 0, s22
	s_subb_u32 s55, 0, s23
	s_delay_alu instid0(VALU_DEP_1) | instskip(NEXT) | instid1(VALU_DEP_1)
	v_fmac_f32_e32 v3, 0x4f800000, v5
	v_rcp_f32_e32 v3, v3
	s_waitcnt_depctr 0xfff
	v_mul_f32_e32 v3, 0x5f7ffffc, v3
	s_delay_alu instid0(VALU_DEP_1) | instskip(NEXT) | instid1(VALU_DEP_1)
	v_mul_f32_e32 v5, 0x2f800000, v3
	v_trunc_f32_e32 v5, v5
	s_delay_alu instid0(VALU_DEP_1) | instskip(SKIP_1) | instid1(VALU_DEP_2)
	v_fmac_f32_e32 v3, 0xcf800000, v5
	v_cvt_u32_f32_e32 v5, v5
	v_cvt_u32_f32_e32 v3, v3
	s_delay_alu instid0(VALU_DEP_2) | instskip(NEXT) | instid1(VALU_DEP_2)
	v_mul_lo_u32 v8, s0, v5
	v_mul_hi_u32 v10, s0, v3
	v_mul_lo_u32 v12, s55, v3
	s_delay_alu instid0(VALU_DEP_2) | instskip(SKIP_1) | instid1(VALU_DEP_2)
	v_add_nc_u32_e32 v8, v10, v8
	v_mul_lo_u32 v10, s0, v3
	v_add_nc_u32_e32 v8, v8, v12
	s_delay_alu instid0(VALU_DEP_2) | instskip(NEXT) | instid1(VALU_DEP_2)
	v_mul_hi_u32 v12, v3, v10
	v_mul_lo_u32 v14, v3, v8
	v_mul_hi_u32 v16, v3, v8
	v_mul_hi_u32 v18, v5, v10
	v_mul_lo_u32 v10, v5, v10
	v_mul_hi_u32 v20, v5, v8
	v_mul_lo_u32 v8, v5, v8
	v_add_co_u32 v12, vcc_lo, v12, v14
	v_add_co_ci_u32_e32 v14, vcc_lo, 0, v16, vcc_lo
	s_delay_alu instid0(VALU_DEP_2) | instskip(NEXT) | instid1(VALU_DEP_2)
	v_add_co_u32 v10, vcc_lo, v12, v10
	v_add_co_ci_u32_e32 v10, vcc_lo, v14, v18, vcc_lo
	v_add_co_ci_u32_e32 v12, vcc_lo, 0, v20, vcc_lo
	v_ashrrev_i32_e32 v18, 31, v22
	s_delay_alu instid0(VALU_DEP_3) | instskip(NEXT) | instid1(VALU_DEP_3)
	v_add_co_u32 v8, vcc_lo, v10, v8
	v_add_co_ci_u32_e32 v10, vcc_lo, 0, v12, vcc_lo
	s_delay_alu instid0(VALU_DEP_2) | instskip(NEXT) | instid1(VALU_DEP_2)
	v_add_co_u32 v3, vcc_lo, v3, v8
	v_add_co_ci_u32_e32 v5, vcc_lo, v5, v10, vcc_lo
	s_delay_alu instid0(VALU_DEP_2) | instskip(SKIP_1) | instid1(VALU_DEP_3)
	v_mul_hi_u32 v8, s0, v3
	v_mul_lo_u32 v12, s55, v3
	v_mul_lo_u32 v10, s0, v5
	s_delay_alu instid0(VALU_DEP_1) | instskip(SKIP_1) | instid1(VALU_DEP_2)
	v_add_nc_u32_e32 v8, v8, v10
	v_mul_lo_u32 v10, s0, v3
	v_add_nc_u32_e32 v8, v8, v12
	s_delay_alu instid0(VALU_DEP_2) | instskip(NEXT) | instid1(VALU_DEP_2)
	v_mul_hi_u32 v12, v3, v10
	v_mul_lo_u32 v14, v3, v8
	v_mul_hi_u32 v16, v3, v8
	v_mul_hi_u32 v20, v5, v10
	v_mul_lo_u32 v10, v5, v10
	v_mul_hi_u32 v23, v5, v8
	v_mul_lo_u32 v8, v5, v8
	v_add_co_u32 v12, vcc_lo, v12, v14
	v_add_co_ci_u32_e32 v14, vcc_lo, 0, v16, vcc_lo
	s_delay_alu instid0(VALU_DEP_2) | instskip(NEXT) | instid1(VALU_DEP_2)
	v_add_co_u32 v10, vcc_lo, v12, v10
	v_add_co_ci_u32_e32 v10, vcc_lo, v14, v20, vcc_lo
	v_add_co_ci_u32_e32 v12, vcc_lo, 0, v23, vcc_lo
	v_add_co_u32 v14, vcc_lo, v21, v18
	v_add_co_ci_u32_e32 v16, vcc_lo, v22, v18, vcc_lo
	s_delay_alu instid0(VALU_DEP_4) | instskip(NEXT) | instid1(VALU_DEP_4)
	v_add_co_u32 v8, vcc_lo, v10, v8
	v_add_co_ci_u32_e32 v10, vcc_lo, 0, v12, vcc_lo
	s_delay_alu instid0(VALU_DEP_4) | instskip(NEXT) | instid1(VALU_DEP_3)
	v_xor_b32_e32 v12, v14, v18
	v_add_co_u32 v3, vcc_lo, v3, v8
	s_delay_alu instid0(VALU_DEP_3) | instskip(SKIP_1) | instid1(VALU_DEP_3)
	v_add_co_ci_u32_e32 v5, vcc_lo, v5, v10, vcc_lo
	v_xor_b32_e32 v8, v16, v18
	v_mul_hi_u32 v10, v12, v3
	s_delay_alu instid0(VALU_DEP_3) | instskip(NEXT) | instid1(VALU_DEP_3)
	v_mad_u64_u32 v[22:23], null, v12, v5, 0
	v_mad_u64_u32 v[28:29], null, v8, v3, 0
	;; [unrolled: 1-line block ×3, first 2 shown]
	s_delay_alu instid0(VALU_DEP_3) | instskip(NEXT) | instid1(VALU_DEP_4)
	v_add_co_u32 v3, vcc_lo, v10, v22
	v_add_co_ci_u32_e32 v5, vcc_lo, 0, v23, vcc_lo
	s_delay_alu instid0(VALU_DEP_2) | instskip(NEXT) | instid1(VALU_DEP_2)
	v_add_co_u32 v3, vcc_lo, v3, v28
	v_add_co_ci_u32_e32 v3, vcc_lo, v5, v29, vcc_lo
	v_add_co_ci_u32_e32 v5, vcc_lo, 0, v31, vcc_lo
	s_delay_alu instid0(VALU_DEP_2) | instskip(NEXT) | instid1(VALU_DEP_2)
	v_add_co_u32 v3, vcc_lo, v3, v30
	v_add_co_ci_u32_e32 v5, vcc_lo, 0, v5, vcc_lo
	s_delay_alu instid0(VALU_DEP_2) | instskip(SKIP_1) | instid1(VALU_DEP_3)
	v_mul_lo_u32 v10, s23, v3
	v_mad_u64_u32 v[22:23], null, s22, v3, 0
	v_mul_lo_u32 v14, s22, v5
	s_delay_alu instid0(VALU_DEP_2) | instskip(NEXT) | instid1(VALU_DEP_2)
	v_sub_co_u32 v12, vcc_lo, v12, v22
	v_add3_u32 v10, v23, v14, v10
	s_delay_alu instid0(VALU_DEP_1) | instskip(NEXT) | instid1(VALU_DEP_1)
	v_sub_nc_u32_e32 v14, v8, v10
	v_subrev_co_ci_u32_e64 v14, s0, s23, v14, vcc_lo
	v_add_co_u32 v16, s0, v3, 2
	s_delay_alu instid0(VALU_DEP_1) | instskip(SKIP_3) | instid1(VALU_DEP_3)
	v_add_co_ci_u32_e64 v20, s0, 0, v5, s0
	v_sub_co_u32 v22, s0, v12, s22
	v_sub_co_ci_u32_e32 v8, vcc_lo, v8, v10, vcc_lo
	v_subrev_co_ci_u32_e64 v14, s0, 0, v14, s0
	v_cmp_le_u32_e32 vcc_lo, s22, v22
	s_delay_alu instid0(VALU_DEP_3) | instskip(SKIP_1) | instid1(VALU_DEP_4)
	v_cmp_eq_u32_e64 s0, s23, v8
	v_cndmask_b32_e64 v10, 0, -1, vcc_lo
	v_cmp_le_u32_e32 vcc_lo, s23, v14
	v_cndmask_b32_e64 v22, 0, -1, vcc_lo
	v_cmp_le_u32_e32 vcc_lo, s22, v12
	v_cndmask_b32_e64 v12, 0, -1, vcc_lo
	v_cmp_le_u32_e32 vcc_lo, s23, v8
	v_cndmask_b32_e64 v23, 0, -1, vcc_lo
	v_cmp_eq_u32_e32 vcc_lo, s23, v14
	s_delay_alu instid0(VALU_DEP_2) | instskip(SKIP_3) | instid1(VALU_DEP_3)
	v_cndmask_b32_e64 v8, v23, v12, s0
	v_cndmask_b32_e32 v10, v22, v10, vcc_lo
	v_add_co_u32 v14, vcc_lo, v3, 1
	v_add_co_ci_u32_e32 v22, vcc_lo, 0, v5, vcc_lo
	v_cmp_ne_u32_e32 vcc_lo, 0, v10
	s_delay_alu instid0(VALU_DEP_2) | instskip(NEXT) | instid1(VALU_DEP_4)
	v_cndmask_b32_e32 v10, v22, v20, vcc_lo
	v_cndmask_b32_e32 v12, v14, v16, vcc_lo
	v_cmp_ne_u32_e32 vcc_lo, 0, v8
	v_xor_b32_e32 v8, s20, v18
	s_delay_alu instid0(VALU_DEP_4) | instskip(NEXT) | instid1(VALU_DEP_4)
	v_cndmask_b32_e32 v5, v5, v10, vcc_lo
	v_cndmask_b32_e32 v3, v3, v12, vcc_lo
	v_xor_b32_e32 v10, s21, v18
	s_delay_alu instid0(VALU_DEP_2) | instskip(NEXT) | instid1(VALU_DEP_2)
	v_xor_b32_e32 v3, v3, v8
	v_xor_b32_e32 v5, v5, v10
	s_delay_alu instid0(VALU_DEP_2) | instskip(NEXT) | instid1(VALU_DEP_2)
	v_sub_co_u32 v23, vcc_lo, v3, v8
	v_sub_co_ci_u32_e32 v24, vcc_lo, v5, v10, vcc_lo
.LBB32_54:                              ;   in Loop: Header=BB32_24 Depth=2
	s_and_not1_saveexec_b32 s0, s54
	s_cbranch_execz .LBB32_56
; %bb.55:                               ;   in Loop: Header=BB32_24 Depth=2
	v_cvt_f32_u32_e32 v3, s53
	s_sub_i32 s20, 0, s53
	v_mov_b32_e32 v24, v2
	s_delay_alu instid0(VALU_DEP_2) | instskip(SKIP_2) | instid1(VALU_DEP_1)
	v_rcp_iflag_f32_e32 v3, v3
	s_waitcnt_depctr 0xfff
	v_mul_f32_e32 v3, 0x4f7ffffe, v3
	v_cvt_u32_f32_e32 v3, v3
	s_delay_alu instid0(VALU_DEP_1) | instskip(NEXT) | instid1(VALU_DEP_1)
	v_mul_lo_u32 v5, s20, v3
	v_mul_hi_u32 v5, v3, v5
	s_delay_alu instid0(VALU_DEP_1) | instskip(NEXT) | instid1(VALU_DEP_1)
	v_add_nc_u32_e32 v3, v3, v5
	v_mul_hi_u32 v3, v21, v3
	s_delay_alu instid0(VALU_DEP_1) | instskip(NEXT) | instid1(VALU_DEP_1)
	v_mul_lo_u32 v5, v3, s53
	v_sub_nc_u32_e32 v5, v21, v5
	s_delay_alu instid0(VALU_DEP_1) | instskip(SKIP_1) | instid1(VALU_DEP_2)
	v_subrev_nc_u32_e32 v10, s53, v5
	v_cmp_le_u32_e32 vcc_lo, s53, v5
	v_dual_cndmask_b32 v5, v5, v10 :: v_dual_add_nc_u32 v8, 1, v3
	s_delay_alu instid0(VALU_DEP_1) | instskip(NEXT) | instid1(VALU_DEP_2)
	v_cndmask_b32_e32 v3, v3, v8, vcc_lo
	v_cmp_le_u32_e32 vcc_lo, s53, v5
	s_delay_alu instid0(VALU_DEP_2) | instskip(NEXT) | instid1(VALU_DEP_1)
	v_add_nc_u32_e32 v8, 1, v3
	v_cndmask_b32_e32 v23, v3, v8, vcc_lo
.LBB32_56:                              ;   in Loop: Header=BB32_24 Depth=2
	s_or_b32 exec_lo, exec_lo, s0
	v_mul_lo_u32 v3, v9, s41
	v_mul_lo_u32 v5, v11, s43
	v_mul_lo_u32 v8, v13, s45
	v_mul_lo_u32 v10, v15, s47
	s_add_u32 s18, s30, s18
	s_addc_u32 s19, s1, s19
	v_mul_lo_u32 v12, v17, s49
	s_load_b32 s0, s[18:19], 0x0
	v_sub_nc_u32_e32 v3, v7, v3
	v_sub_nc_u32_e32 v5, v9, v5
	v_mul_lo_u32 v7, v19, s51
	v_sub_nc_u32_e32 v8, v11, v8
	v_sub_nc_u32_e32 v10, v13, v10
	v_mul_lo_u32 v3, s42, v3
	v_mul_lo_u32 v5, s44, v5
	;; [unrolled: 1-line block ×4, first 2 shown]
	v_sub_nc_u32_e32 v12, v15, v12
	v_sub_nc_u32_e32 v7, v17, v7
	v_mul_lo_u32 v8, s46, v8
	v_mul_lo_u32 v10, s48, v10
	s_add_i32 s16, s16, -8
	v_add3_u32 v3, v3, v4, v5
	v_mul_lo_u32 v4, s50, v12
	v_sub_nc_u32_e32 v5, v19, v9
	v_sub_nc_u32_e32 v9, v21, v11
	v_mul_lo_u32 v7, s14, v7
	s_cmp_eq_u32 s16, -8
	v_add3_u32 v3, v8, v3, v10
	v_mul_lo_u32 v5, s17, v5
	s_waitcnt lgkmcnt(0)
	v_mul_lo_u32 v8, s0, v9
	s_delay_alu instid0(VALU_DEP_3) | instskip(NEXT) | instid1(VALU_DEP_1)
	v_add3_u32 v3, v4, v3, v7
	v_add3_u32 v4, v5, v3, v8
	s_cbranch_scc1 .LBB32_58
; %bb.57:                               ;   in Loop: Header=BB32_24 Depth=2
	v_dual_mov_b32 v7, v23 :: v_dual_mov_b32 v8, v24
	s_branch .LBB32_24
.LBB32_58:                              ;   in Loop: Header=BB32_3 Depth=1
	s_load_b32 s0, s[12:13], 0x0
	s_waitcnt lgkmcnt(0)
	v_cmp_gt_i32_e32 vcc_lo, s0, v27
	s_and_b32 exec_lo, exec_lo, vcc_lo
	s_cbranch_execz .LBB32_2
; %bb.59:                               ;   in Loop: Header=BB32_3 Depth=1
	v_ashrrev_i32_e32 v7, 31, v6
	s_mov_b32 s14, exec_lo
	s_delay_alu instid0(VALU_DEP_1)
	v_cmpx_lt_i64_e64 s[4:5], v[6:7]
	s_cbranch_execz .LBB32_61
; %bb.60:                               ;   in Loop: Header=BB32_3 Depth=1
	v_ashrrev_i32_e32 v5, 31, v4
	v_mov_b32_e32 v3, v2
	s_delay_alu instid0(VALU_DEP_2) | instskip(NEXT) | instid1(VALU_DEP_1)
	v_lshlrev_b64 v[5:6], 3, v[4:5]
	v_add_co_u32 v5, vcc_lo, s2, v5
	s_delay_alu instid0(VALU_DEP_2)
	v_add_co_ci_u32_e32 v6, vcc_lo, s3, v6, vcc_lo
	global_store_b64 v[5:6], v[2:3], off
.LBB32_61:                              ;   in Loop: Header=BB32_3 Depth=1
	s_or_b32 exec_lo, exec_lo, s14
	v_add_nc_u32_e32 v3, 1, v27
	s_delay_alu instid0(VALU_DEP_1)
	v_cmp_gt_i32_e32 vcc_lo, s0, v3
	s_and_b32 exec_lo, exec_lo, vcc_lo
	s_cbranch_execz .LBB32_2
; %bb.62:                               ;   in Loop: Header=BB32_3 Depth=1
	v_sub_nc_u32_e32 v5, v3, v26
	s_delay_alu instid0(VALU_DEP_1) | instskip(NEXT) | instid1(VALU_DEP_1)
	v_ashrrev_i32_e32 v6, 31, v5
	v_cmp_lt_i64_e32 vcc_lo, s[4:5], v[5:6]
	s_and_b32 exec_lo, exec_lo, vcc_lo
	s_cbranch_execz .LBB32_2
; %bb.63:                               ;   in Loop: Header=BB32_3 Depth=1
	v_add_nc_u32_e32 v3, s40, v4
	s_delay_alu instid0(VALU_DEP_1) | instskip(NEXT) | instid1(VALU_DEP_1)
	v_ashrrev_i32_e32 v4, 31, v3
	v_lshlrev_b64 v[3:4], 3, v[3:4]
	s_delay_alu instid0(VALU_DEP_1) | instskip(NEXT) | instid1(VALU_DEP_2)
	v_add_co_u32 v5, vcc_lo, s2, v3
	v_add_co_ci_u32_e32 v6, vcc_lo, s3, v4, vcc_lo
	v_mov_b32_e32 v3, v2
	global_store_b64 v[5:6], v[2:3], off
	s_branch .LBB32_2
.LBB32_64:
	s_nop 0
	s_sendmsg sendmsg(MSG_DEALLOC_VGPRS)
	s_endpgm
	.section	.rodata,"a",@progbits
	.p2align	6, 0x0
	.amdhsa_kernel _ZN2at6native16triu_tril_kernelIN3c107complexIfEEiLb0ELi2ELb1EEEvNS_4cuda6detail10TensorInfoIT_T0_EENS7_IKS8_S9_EEllS9_
		.amdhsa_group_segment_fixed_size 0
		.amdhsa_private_segment_fixed_size 0
		.amdhsa_kernarg_size 712
		.amdhsa_user_sgpr_count 15
		.amdhsa_user_sgpr_dispatch_ptr 0
		.amdhsa_user_sgpr_queue_ptr 0
		.amdhsa_user_sgpr_kernarg_segment_ptr 1
		.amdhsa_user_sgpr_dispatch_id 0
		.amdhsa_user_sgpr_private_segment_size 0
		.amdhsa_wavefront_size32 1
		.amdhsa_uses_dynamic_stack 0
		.amdhsa_enable_private_segment 0
		.amdhsa_system_sgpr_workgroup_id_x 1
		.amdhsa_system_sgpr_workgroup_id_y 0
		.amdhsa_system_sgpr_workgroup_id_z 0
		.amdhsa_system_sgpr_workgroup_info 0
		.amdhsa_system_vgpr_workitem_id 0
		.amdhsa_next_free_vgpr 32
		.amdhsa_next_free_sgpr 56
		.amdhsa_reserve_vcc 1
		.amdhsa_float_round_mode_32 0
		.amdhsa_float_round_mode_16_64 0
		.amdhsa_float_denorm_mode_32 3
		.amdhsa_float_denorm_mode_16_64 3
		.amdhsa_dx10_clamp 1
		.amdhsa_ieee_mode 1
		.amdhsa_fp16_overflow 0
		.amdhsa_workgroup_processor_mode 1
		.amdhsa_memory_ordered 1
		.amdhsa_forward_progress 0
		.amdhsa_shared_vgpr_count 0
		.amdhsa_exception_fp_ieee_invalid_op 0
		.amdhsa_exception_fp_denorm_src 0
		.amdhsa_exception_fp_ieee_div_zero 0
		.amdhsa_exception_fp_ieee_overflow 0
		.amdhsa_exception_fp_ieee_underflow 0
		.amdhsa_exception_fp_ieee_inexact 0
		.amdhsa_exception_int_div_zero 0
	.end_amdhsa_kernel
	.section	.text._ZN2at6native16triu_tril_kernelIN3c107complexIfEEiLb0ELi2ELb1EEEvNS_4cuda6detail10TensorInfoIT_T0_EENS7_IKS8_S9_EEllS9_,"axG",@progbits,_ZN2at6native16triu_tril_kernelIN3c107complexIfEEiLb0ELi2ELb1EEEvNS_4cuda6detail10TensorInfoIT_T0_EENS7_IKS8_S9_EEllS9_,comdat
.Lfunc_end32:
	.size	_ZN2at6native16triu_tril_kernelIN3c107complexIfEEiLb0ELi2ELb1EEEvNS_4cuda6detail10TensorInfoIT_T0_EENS7_IKS8_S9_EEllS9_, .Lfunc_end32-_ZN2at6native16triu_tril_kernelIN3c107complexIfEEiLb0ELi2ELb1EEEvNS_4cuda6detail10TensorInfoIT_T0_EENS7_IKS8_S9_EEllS9_
                                        ; -- End function
	.section	.AMDGPU.csdata,"",@progbits
; Kernel info:
; codeLenInByte = 12424
; NumSgprs: 58
; NumVgprs: 32
; ScratchSize: 0
; MemoryBound: 0
; FloatMode: 240
; IeeeMode: 1
; LDSByteSize: 0 bytes/workgroup (compile time only)
; SGPRBlocks: 7
; VGPRBlocks: 3
; NumSGPRsForWavesPerEU: 58
; NumVGPRsForWavesPerEU: 32
; Occupancy: 16
; WaveLimiterHint : 0
; COMPUTE_PGM_RSRC2:SCRATCH_EN: 0
; COMPUTE_PGM_RSRC2:USER_SGPR: 15
; COMPUTE_PGM_RSRC2:TRAP_HANDLER: 0
; COMPUTE_PGM_RSRC2:TGID_X_EN: 1
; COMPUTE_PGM_RSRC2:TGID_Y_EN: 0
; COMPUTE_PGM_RSRC2:TGID_Z_EN: 0
; COMPUTE_PGM_RSRC2:TIDIG_COMP_CNT: 0
	.section	.text._ZN2at6native16triu_tril_kernelIN3c107complexIfEEiLb0ELi2ELb0EEEvNS_4cuda6detail10TensorInfoIT_T0_EENS7_IKS8_S9_EEllS9_,"axG",@progbits,_ZN2at6native16triu_tril_kernelIN3c107complexIfEEiLb0ELi2ELb0EEEvNS_4cuda6detail10TensorInfoIT_T0_EENS7_IKS8_S9_EEllS9_,comdat
	.protected	_ZN2at6native16triu_tril_kernelIN3c107complexIfEEiLb0ELi2ELb0EEEvNS_4cuda6detail10TensorInfoIT_T0_EENS7_IKS8_S9_EEllS9_ ; -- Begin function _ZN2at6native16triu_tril_kernelIN3c107complexIfEEiLb0ELi2ELb0EEEvNS_4cuda6detail10TensorInfoIT_T0_EENS7_IKS8_S9_EEllS9_
	.globl	_ZN2at6native16triu_tril_kernelIN3c107complexIfEEiLb0ELi2ELb0EEEvNS_4cuda6detail10TensorInfoIT_T0_EENS7_IKS8_S9_EEllS9_
	.p2align	8
	.type	_ZN2at6native16triu_tril_kernelIN3c107complexIfEEiLb0ELi2ELb0EEEvNS_4cuda6detail10TensorInfoIT_T0_EENS7_IKS8_S9_EEllS9_,@function
_ZN2at6native16triu_tril_kernelIN3c107complexIfEEiLb0ELi2ELb0EEEvNS_4cuda6detail10TensorInfoIT_T0_EENS7_IKS8_S9_EEllS9_: ; @_ZN2at6native16triu_tril_kernelIN3c107complexIfEEiLb0ELi2ELb0EEEvNS_4cuda6detail10TensorInfoIT_T0_EENS7_IKS8_S9_EEllS9_
; %bb.0:
	s_clause 0x1
	s_load_b32 s2, s[0:1], 0x1d4
	s_load_b128 s[4:7], s[0:1], 0x1b0
	v_mov_b32_e32 v2, 0
	s_add_u32 s8, s0, 0x1c8
	s_addc_u32 s9, s1, 0
	s_delay_alu instid0(VALU_DEP_1) | instskip(SKIP_3) | instid1(VALU_DEP_1)
	v_mov_b32_e32 v1, v2
	s_waitcnt lgkmcnt(0)
	s_and_b32 s10, s2, 0xffff
	s_mov_b32 s2, exec_lo
	v_mad_u64_u32 v[3:4], null, s10, s15, v[0:1]
	s_delay_alu instid0(VALU_DEP_1) | instskip(NEXT) | instid1(VALU_DEP_1)
	v_lshlrev_b64 v[0:1], 1, v[3:4]
	v_cmpx_gt_i64_e64 s[6:7], v[0:1]
	s_cbranch_execz .LBB33_49
; %bb.1:
	s_clause 0x1
	s_load_b32 s16, s[0:1], 0x1a8
	s_load_b32 s30, s[0:1], 0x1c0
	s_add_u32 s31, s0, 0xd8
	s_addc_u32 s33, s1, 0
	s_load_b32 s11, s[8:9], 0x0
	s_load_b64 s[2:3], s[0:1], 0xd8
	s_waitcnt lgkmcnt(0)
	s_ashr_i32 s17, s16, 31
	s_ashr_i32 s34, s30, 31
	s_lshl_b64 s[8:9], s[16:17], 2
	v_cvt_f32_u32_e32 v3, s30
	s_add_u32 s14, s8, -8
	s_addc_u32 s15, s9, -1
	s_add_u32 s12, s31, s14
	s_addc_u32 s13, s33, s15
	v_rcp_iflag_f32_e32 v3, v3
	s_load_b64 s[8:9], s[12:13], 0x8
	s_mul_i32 s18, s11, s10
	s_load_b64 s[10:11], s[12:13], 0x6c
	s_waitcnt_depctr 0xfff
	v_mul_f32_e32 v3, 0x4f7ffffe, v3
	s_delay_alu instid0(VALU_DEP_1)
	v_cvt_u32_f32_e32 v3, v3
	s_waitcnt lgkmcnt(0)
	s_ashr_i32 s35, s8, 31
	s_add_u32 s36, s0, 0x6c
	s_addc_u32 s37, s1, 0
	s_add_u32 s12, s36, s14
	s_addc_u32 s13, s37, s15
	s_and_b32 s39, s16, 3
	s_add_i32 s38, s16, -3
	s_lshl_b32 s40, s18, 1
	s_cmp_lg_u32 s39, 2
	s_load_b64 s[12:13], s[12:13], 0x0
	s_cselect_b32 s41, -1, 0
	s_cmp_gt_u32 s38, 2
	s_mov_b32 s18, s11
	s_cselect_b32 s42, -1, 0
	s_sub_i32 s14, 0, s30
	s_ashr_i32 s19, s11, 31
	v_mul_lo_u32 v4, s14, v3
	s_load_b64 s[14:15], s[0:1], 0x0
	v_cmp_gt_i64_e64 s1, s[16:17], 2
	s_mov_b32 s17, 0
	s_mov_b32 s11, 0
	s_delay_alu instid0(VALU_DEP_2) | instskip(SKIP_3) | instid1(VALU_DEP_1)
	v_mul_hi_u32 v4, v3, v4
	s_waitcnt lgkmcnt(0)
	s_ashr_i32 s21, s13, 31
	s_mov_b32 s20, s13
	v_add_nc_u32_e32 v18, v3, v4
	s_branch .LBB33_3
.LBB33_2:                               ;   in Loop: Header=BB33_3 Depth=1
	s_or_b32 exec_lo, exec_lo, s0
	v_add_co_u32 v0, vcc_lo, v0, s40
	v_add_co_ci_u32_e32 v1, vcc_lo, 0, v1, vcc_lo
	s_delay_alu instid0(VALU_DEP_1) | instskip(SKIP_1) | instid1(SALU_CYCLE_1)
	v_cmp_le_i64_e32 vcc_lo, s[6:7], v[0:1]
	s_or_b32 s11, vcc_lo, s11
	s_and_not1_b32 exec_lo, exec_lo, s11
	s_cbranch_execz .LBB33_49
.LBB33_3:                               ; =>This Loop Header: Depth=1
                                        ;     Child Loop BB33_14 Depth 2
                                        ;     Child Loop BB33_22 Depth 2
	v_or_b32_e32 v3, s34, v1
                                        ; implicit-def: $vgpr4_vgpr5
	s_mov_b32 s0, exec_lo
	s_delay_alu instid0(VALU_DEP_1)
	v_cmpx_ne_u64_e32 0, v[2:3]
	s_xor_b32 s13, exec_lo, s0
	s_cbranch_execz .LBB33_5
; %bb.4:                                ;   in Loop: Header=BB33_3 Depth=1
	s_add_u32 s24, s30, s34
	s_mov_b32 s22, s34
	s_mov_b32 s23, s34
	s_addc_u32 s25, s34, s34
	s_delay_alu instid0(SALU_CYCLE_1) | instskip(NEXT) | instid1(SALU_CYCLE_1)
	s_xor_b64 s[24:25], s[24:25], s[22:23]
	v_cvt_f32_u32_e32 v3, s24
	v_cvt_f32_u32_e32 v4, s25
	s_sub_u32 s0, 0, s24
	s_subb_u32 s16, 0, s25
	s_delay_alu instid0(VALU_DEP_1) | instskip(NEXT) | instid1(VALU_DEP_1)
	v_fmac_f32_e32 v3, 0x4f800000, v4
	v_rcp_f32_e32 v3, v3
	s_waitcnt_depctr 0xfff
	v_mul_f32_e32 v3, 0x5f7ffffc, v3
	s_delay_alu instid0(VALU_DEP_1) | instskip(NEXT) | instid1(VALU_DEP_1)
	v_mul_f32_e32 v4, 0x2f800000, v3
	v_trunc_f32_e32 v4, v4
	s_delay_alu instid0(VALU_DEP_1) | instskip(SKIP_1) | instid1(VALU_DEP_2)
	v_fmac_f32_e32 v3, 0xcf800000, v4
	v_cvt_u32_f32_e32 v4, v4
	v_cvt_u32_f32_e32 v3, v3
	s_delay_alu instid0(VALU_DEP_2) | instskip(NEXT) | instid1(VALU_DEP_2)
	v_mul_lo_u32 v5, s0, v4
	v_mul_hi_u32 v6, s0, v3
	v_mul_lo_u32 v7, s16, v3
	s_delay_alu instid0(VALU_DEP_2) | instskip(SKIP_1) | instid1(VALU_DEP_2)
	v_add_nc_u32_e32 v5, v6, v5
	v_mul_lo_u32 v6, s0, v3
	v_add_nc_u32_e32 v5, v5, v7
	s_delay_alu instid0(VALU_DEP_2) | instskip(NEXT) | instid1(VALU_DEP_2)
	v_mul_hi_u32 v7, v3, v6
	v_mul_lo_u32 v8, v3, v5
	v_mul_hi_u32 v9, v3, v5
	v_mul_hi_u32 v10, v4, v6
	v_mul_lo_u32 v6, v4, v6
	v_mul_hi_u32 v11, v4, v5
	v_mul_lo_u32 v5, v4, v5
	v_add_co_u32 v7, vcc_lo, v7, v8
	v_add_co_ci_u32_e32 v8, vcc_lo, 0, v9, vcc_lo
	s_delay_alu instid0(VALU_DEP_2) | instskip(NEXT) | instid1(VALU_DEP_2)
	v_add_co_u32 v6, vcc_lo, v7, v6
	v_add_co_ci_u32_e32 v6, vcc_lo, v8, v10, vcc_lo
	v_add_co_ci_u32_e32 v7, vcc_lo, 0, v11, vcc_lo
	v_ashrrev_i32_e32 v10, 31, v1
	s_delay_alu instid0(VALU_DEP_3) | instskip(NEXT) | instid1(VALU_DEP_3)
	v_add_co_u32 v5, vcc_lo, v6, v5
	v_add_co_ci_u32_e32 v6, vcc_lo, 0, v7, vcc_lo
	s_delay_alu instid0(VALU_DEP_2) | instskip(NEXT) | instid1(VALU_DEP_2)
	v_add_co_u32 v3, vcc_lo, v3, v5
	v_add_co_ci_u32_e32 v4, vcc_lo, v4, v6, vcc_lo
	s_delay_alu instid0(VALU_DEP_2) | instskip(SKIP_1) | instid1(VALU_DEP_3)
	v_mul_hi_u32 v5, s0, v3
	v_mul_lo_u32 v7, s16, v3
	v_mul_lo_u32 v6, s0, v4
	s_delay_alu instid0(VALU_DEP_1) | instskip(SKIP_1) | instid1(VALU_DEP_2)
	v_add_nc_u32_e32 v5, v5, v6
	v_mul_lo_u32 v6, s0, v3
	v_add_nc_u32_e32 v5, v5, v7
	s_delay_alu instid0(VALU_DEP_2) | instskip(NEXT) | instid1(VALU_DEP_2)
	v_mul_hi_u32 v7, v3, v6
	v_mul_lo_u32 v8, v3, v5
	v_mul_hi_u32 v9, v3, v5
	v_mul_hi_u32 v11, v4, v6
	v_mul_lo_u32 v6, v4, v6
	v_mul_hi_u32 v12, v4, v5
	v_mul_lo_u32 v5, v4, v5
	v_add_co_u32 v7, vcc_lo, v7, v8
	v_add_co_ci_u32_e32 v8, vcc_lo, 0, v9, vcc_lo
	s_delay_alu instid0(VALU_DEP_2) | instskip(NEXT) | instid1(VALU_DEP_2)
	v_add_co_u32 v6, vcc_lo, v7, v6
	v_add_co_ci_u32_e32 v6, vcc_lo, v8, v11, vcc_lo
	v_add_co_ci_u32_e32 v7, vcc_lo, 0, v12, vcc_lo
	v_add_co_u32 v8, vcc_lo, v0, v10
	v_add_co_ci_u32_e32 v9, vcc_lo, v1, v10, vcc_lo
	s_delay_alu instid0(VALU_DEP_4) | instskip(NEXT) | instid1(VALU_DEP_4)
	v_add_co_u32 v5, vcc_lo, v6, v5
	v_add_co_ci_u32_e32 v6, vcc_lo, 0, v7, vcc_lo
	s_delay_alu instid0(VALU_DEP_4) | instskip(NEXT) | instid1(VALU_DEP_3)
	v_xor_b32_e32 v11, v8, v10
	v_add_co_u32 v7, vcc_lo, v3, v5
	s_delay_alu instid0(VALU_DEP_3) | instskip(SKIP_1) | instid1(VALU_DEP_3)
	v_add_co_ci_u32_e32 v12, vcc_lo, v4, v6, vcc_lo
	v_xor_b32_e32 v9, v9, v10
	v_mul_hi_u32 v13, v11, v7
	s_delay_alu instid0(VALU_DEP_3) | instskip(NEXT) | instid1(VALU_DEP_3)
	v_mad_u64_u32 v[3:4], null, v11, v12, 0
	v_mad_u64_u32 v[5:6], null, v9, v7, 0
	;; [unrolled: 1-line block ×3, first 2 shown]
	s_delay_alu instid0(VALU_DEP_3) | instskip(NEXT) | instid1(VALU_DEP_4)
	v_add_co_u32 v3, vcc_lo, v13, v3
	v_add_co_ci_u32_e32 v4, vcc_lo, 0, v4, vcc_lo
	s_delay_alu instid0(VALU_DEP_2) | instskip(NEXT) | instid1(VALU_DEP_2)
	v_add_co_u32 v3, vcc_lo, v3, v5
	v_add_co_ci_u32_e32 v3, vcc_lo, v4, v6, vcc_lo
	v_add_co_ci_u32_e32 v4, vcc_lo, 0, v8, vcc_lo
	s_delay_alu instid0(VALU_DEP_2) | instskip(NEXT) | instid1(VALU_DEP_2)
	v_add_co_u32 v5, vcc_lo, v3, v7
	v_add_co_ci_u32_e32 v6, vcc_lo, 0, v4, vcc_lo
	s_delay_alu instid0(VALU_DEP_2) | instskip(SKIP_1) | instid1(VALU_DEP_3)
	v_mul_lo_u32 v7, s25, v5
	v_mad_u64_u32 v[3:4], null, s24, v5, 0
	v_mul_lo_u32 v8, s24, v6
	s_delay_alu instid0(VALU_DEP_2) | instskip(NEXT) | instid1(VALU_DEP_2)
	v_sub_co_u32 v3, vcc_lo, v11, v3
	v_add3_u32 v4, v4, v8, v7
	s_delay_alu instid0(VALU_DEP_1) | instskip(NEXT) | instid1(VALU_DEP_1)
	v_sub_nc_u32_e32 v7, v9, v4
	v_subrev_co_ci_u32_e64 v7, s0, s25, v7, vcc_lo
	v_add_co_u32 v8, s0, v5, 2
	s_delay_alu instid0(VALU_DEP_1) | instskip(SKIP_3) | instid1(VALU_DEP_3)
	v_add_co_ci_u32_e64 v11, s0, 0, v6, s0
	v_sub_co_u32 v12, s0, v3, s24
	v_sub_co_ci_u32_e32 v4, vcc_lo, v9, v4, vcc_lo
	v_subrev_co_ci_u32_e64 v7, s0, 0, v7, s0
	v_cmp_le_u32_e32 vcc_lo, s24, v12
	s_delay_alu instid0(VALU_DEP_3) | instskip(SKIP_1) | instid1(VALU_DEP_4)
	v_cmp_eq_u32_e64 s0, s25, v4
	v_cndmask_b32_e64 v9, 0, -1, vcc_lo
	v_cmp_le_u32_e32 vcc_lo, s25, v7
	v_cndmask_b32_e64 v12, 0, -1, vcc_lo
	v_cmp_le_u32_e32 vcc_lo, s24, v3
	;; [unrolled: 2-line block ×3, first 2 shown]
	v_cndmask_b32_e64 v13, 0, -1, vcc_lo
	v_cmp_eq_u32_e32 vcc_lo, s25, v7
	s_delay_alu instid0(VALU_DEP_2) | instskip(SKIP_3) | instid1(VALU_DEP_3)
	v_cndmask_b32_e64 v3, v13, v3, s0
	v_cndmask_b32_e32 v7, v12, v9, vcc_lo
	v_add_co_u32 v9, vcc_lo, v5, 1
	v_add_co_ci_u32_e32 v12, vcc_lo, 0, v6, vcc_lo
	v_cmp_ne_u32_e32 vcc_lo, 0, v7
	s_delay_alu instid0(VALU_DEP_2) | instskip(SKIP_2) | instid1(VALU_DEP_3)
	v_dual_cndmask_b32 v4, v12, v11 :: v_dual_cndmask_b32 v7, v9, v8
	v_cmp_ne_u32_e32 vcc_lo, 0, v3
	v_xor_b32_e32 v3, s22, v10
	v_dual_cndmask_b32 v5, v5, v7 :: v_dual_cndmask_b32 v4, v6, v4
	v_xor_b32_e32 v6, s23, v10
	s_delay_alu instid0(VALU_DEP_2) | instskip(NEXT) | instid1(VALU_DEP_2)
	v_xor_b32_e32 v5, v5, v3
	v_xor_b32_e32 v7, v4, v6
	s_delay_alu instid0(VALU_DEP_2) | instskip(NEXT) | instid1(VALU_DEP_2)
	v_sub_co_u32 v4, vcc_lo, v5, v3
	v_sub_co_ci_u32_e32 v5, vcc_lo, v7, v6, vcc_lo
.LBB33_5:                               ;   in Loop: Header=BB33_3 Depth=1
	s_and_not1_saveexec_b32 s0, s13
; %bb.6:                                ;   in Loop: Header=BB33_3 Depth=1
	v_mul_hi_u32 v3, v0, v18
	s_delay_alu instid0(VALU_DEP_1) | instskip(NEXT) | instid1(VALU_DEP_1)
	v_mul_lo_u32 v4, v3, s30
	v_sub_nc_u32_e32 v4, v0, v4
	s_delay_alu instid0(VALU_DEP_1) | instskip(SKIP_1) | instid1(VALU_DEP_2)
	v_subrev_nc_u32_e32 v6, s30, v4
	v_cmp_le_u32_e32 vcc_lo, s30, v4
	v_dual_cndmask_b32 v4, v4, v6 :: v_dual_add_nc_u32 v5, 1, v3
	s_delay_alu instid0(VALU_DEP_1) | instskip(NEXT) | instid1(VALU_DEP_2)
	v_cndmask_b32_e32 v3, v3, v5, vcc_lo
	v_cmp_le_u32_e32 vcc_lo, s30, v4
	s_delay_alu instid0(VALU_DEP_2) | instskip(NEXT) | instid1(VALU_DEP_1)
	v_add_nc_u32_e32 v5, 1, v3
	v_dual_cndmask_b32 v4, v3, v5 :: v_dual_mov_b32 v5, v2
; %bb.7:                                ;   in Loop: Header=BB33_3 Depth=1
	s_or_b32 exec_lo, exec_lo, s0
	s_delay_alu instid0(VALU_DEP_1) | instskip(SKIP_1) | instid1(VALU_DEP_1)
	v_or_b32_e32 v3, s35, v5
                                        ; implicit-def: $vgpr8_vgpr9
	s_mov_b32 s0, exec_lo
	v_cmpx_ne_u64_e32 0, v[2:3]
	s_xor_b32 s13, exec_lo, s0
	s_cbranch_execz .LBB33_9
; %bb.8:                                ;   in Loop: Header=BB33_3 Depth=1
	s_add_u32 s24, s8, s35
	s_mov_b32 s22, s35
	s_mov_b32 s23, s35
	s_addc_u32 s25, s35, s35
	s_delay_alu instid0(SALU_CYCLE_1) | instskip(NEXT) | instid1(SALU_CYCLE_1)
	s_xor_b64 s[24:25], s[24:25], s[22:23]
	v_cvt_f32_u32_e32 v3, s24
	v_cvt_f32_u32_e32 v6, s25
	s_sub_u32 s0, 0, s24
	s_subb_u32 s16, 0, s25
	s_delay_alu instid0(VALU_DEP_1) | instskip(NEXT) | instid1(VALU_DEP_1)
	v_fmac_f32_e32 v3, 0x4f800000, v6
	v_rcp_f32_e32 v3, v3
	s_waitcnt_depctr 0xfff
	v_mul_f32_e32 v3, 0x5f7ffffc, v3
	s_delay_alu instid0(VALU_DEP_1) | instskip(NEXT) | instid1(VALU_DEP_1)
	v_mul_f32_e32 v6, 0x2f800000, v3
	v_trunc_f32_e32 v6, v6
	s_delay_alu instid0(VALU_DEP_1) | instskip(SKIP_1) | instid1(VALU_DEP_2)
	v_fmac_f32_e32 v3, 0xcf800000, v6
	v_cvt_u32_f32_e32 v6, v6
	v_cvt_u32_f32_e32 v3, v3
	s_delay_alu instid0(VALU_DEP_2) | instskip(NEXT) | instid1(VALU_DEP_2)
	v_mul_lo_u32 v7, s0, v6
	v_mul_hi_u32 v8, s0, v3
	v_mul_lo_u32 v9, s16, v3
	s_delay_alu instid0(VALU_DEP_2) | instskip(SKIP_1) | instid1(VALU_DEP_2)
	v_add_nc_u32_e32 v7, v8, v7
	v_mul_lo_u32 v8, s0, v3
	v_add_nc_u32_e32 v7, v7, v9
	s_delay_alu instid0(VALU_DEP_2) | instskip(NEXT) | instid1(VALU_DEP_2)
	v_mul_hi_u32 v9, v3, v8
	v_mul_lo_u32 v10, v3, v7
	v_mul_hi_u32 v11, v3, v7
	v_mul_hi_u32 v12, v6, v8
	v_mul_lo_u32 v8, v6, v8
	v_mul_hi_u32 v13, v6, v7
	v_mul_lo_u32 v7, v6, v7
	v_add_co_u32 v9, vcc_lo, v9, v10
	v_add_co_ci_u32_e32 v10, vcc_lo, 0, v11, vcc_lo
	s_delay_alu instid0(VALU_DEP_2) | instskip(NEXT) | instid1(VALU_DEP_2)
	v_add_co_u32 v8, vcc_lo, v9, v8
	v_add_co_ci_u32_e32 v8, vcc_lo, v10, v12, vcc_lo
	v_add_co_ci_u32_e32 v9, vcc_lo, 0, v13, vcc_lo
	v_ashrrev_i32_e32 v12, 31, v5
	s_delay_alu instid0(VALU_DEP_3) | instskip(NEXT) | instid1(VALU_DEP_3)
	v_add_co_u32 v7, vcc_lo, v8, v7
	v_add_co_ci_u32_e32 v8, vcc_lo, 0, v9, vcc_lo
	s_delay_alu instid0(VALU_DEP_2) | instskip(NEXT) | instid1(VALU_DEP_2)
	v_add_co_u32 v3, vcc_lo, v3, v7
	v_add_co_ci_u32_e32 v6, vcc_lo, v6, v8, vcc_lo
	s_delay_alu instid0(VALU_DEP_2) | instskip(SKIP_1) | instid1(VALU_DEP_3)
	v_mul_hi_u32 v7, s0, v3
	v_mul_lo_u32 v9, s16, v3
	v_mul_lo_u32 v8, s0, v6
	s_delay_alu instid0(VALU_DEP_1) | instskip(SKIP_1) | instid1(VALU_DEP_2)
	v_add_nc_u32_e32 v7, v7, v8
	v_mul_lo_u32 v8, s0, v3
	v_add_nc_u32_e32 v7, v7, v9
	s_delay_alu instid0(VALU_DEP_2) | instskip(NEXT) | instid1(VALU_DEP_2)
	v_mul_hi_u32 v9, v3, v8
	v_mul_lo_u32 v10, v3, v7
	v_mul_hi_u32 v11, v3, v7
	v_mul_hi_u32 v13, v6, v8
	v_mul_lo_u32 v8, v6, v8
	v_mul_hi_u32 v14, v6, v7
	v_mul_lo_u32 v7, v6, v7
	v_add_co_u32 v9, vcc_lo, v9, v10
	v_add_co_ci_u32_e32 v10, vcc_lo, 0, v11, vcc_lo
	s_delay_alu instid0(VALU_DEP_2) | instskip(NEXT) | instid1(VALU_DEP_2)
	v_add_co_u32 v8, vcc_lo, v9, v8
	v_add_co_ci_u32_e32 v8, vcc_lo, v10, v13, vcc_lo
	v_add_co_ci_u32_e32 v9, vcc_lo, 0, v14, vcc_lo
	v_add_co_u32 v10, vcc_lo, v4, v12
	v_add_co_ci_u32_e32 v5, vcc_lo, v5, v12, vcc_lo
	s_delay_alu instid0(VALU_DEP_4) | instskip(NEXT) | instid1(VALU_DEP_4)
	v_add_co_u32 v7, vcc_lo, v8, v7
	v_add_co_ci_u32_e32 v8, vcc_lo, 0, v9, vcc_lo
	s_delay_alu instid0(VALU_DEP_4) | instskip(NEXT) | instid1(VALU_DEP_3)
	v_xor_b32_e32 v11, v10, v12
	v_add_co_u32 v3, vcc_lo, v3, v7
	s_delay_alu instid0(VALU_DEP_3) | instskip(SKIP_1) | instid1(VALU_DEP_3)
	v_add_co_ci_u32_e32 v13, vcc_lo, v6, v8, vcc_lo
	v_xor_b32_e32 v14, v5, v12
	v_mul_hi_u32 v15, v11, v3
	s_delay_alu instid0(VALU_DEP_3) | instskip(NEXT) | instid1(VALU_DEP_3)
	v_mad_u64_u32 v[5:6], null, v11, v13, 0
	v_mad_u64_u32 v[7:8], null, v14, v3, 0
	;; [unrolled: 1-line block ×3, first 2 shown]
	s_delay_alu instid0(VALU_DEP_3) | instskip(NEXT) | instid1(VALU_DEP_4)
	v_add_co_u32 v3, vcc_lo, v15, v5
	v_add_co_ci_u32_e32 v5, vcc_lo, 0, v6, vcc_lo
	s_delay_alu instid0(VALU_DEP_2) | instskip(NEXT) | instid1(VALU_DEP_2)
	v_add_co_u32 v3, vcc_lo, v3, v7
	v_add_co_ci_u32_e32 v3, vcc_lo, v5, v8, vcc_lo
	v_add_co_ci_u32_e32 v5, vcc_lo, 0, v10, vcc_lo
	s_delay_alu instid0(VALU_DEP_2) | instskip(NEXT) | instid1(VALU_DEP_2)
	v_add_co_u32 v3, vcc_lo, v3, v9
	v_add_co_ci_u32_e32 v7, vcc_lo, 0, v5, vcc_lo
	s_delay_alu instid0(VALU_DEP_2) | instskip(SKIP_1) | instid1(VALU_DEP_3)
	v_mul_lo_u32 v8, s25, v3
	v_mad_u64_u32 v[5:6], null, s24, v3, 0
	v_mul_lo_u32 v9, s24, v7
	s_delay_alu instid0(VALU_DEP_2) | instskip(NEXT) | instid1(VALU_DEP_2)
	v_sub_co_u32 v5, vcc_lo, v11, v5
	v_add3_u32 v6, v6, v9, v8
	s_delay_alu instid0(VALU_DEP_1) | instskip(NEXT) | instid1(VALU_DEP_1)
	v_sub_nc_u32_e32 v8, v14, v6
	v_subrev_co_ci_u32_e64 v8, s0, s25, v8, vcc_lo
	v_add_co_u32 v9, s0, v3, 2
	s_delay_alu instid0(VALU_DEP_1) | instskip(SKIP_3) | instid1(VALU_DEP_3)
	v_add_co_ci_u32_e64 v10, s0, 0, v7, s0
	v_sub_co_u32 v11, s0, v5, s24
	v_sub_co_ci_u32_e32 v6, vcc_lo, v14, v6, vcc_lo
	v_subrev_co_ci_u32_e64 v8, s0, 0, v8, s0
	v_cmp_le_u32_e32 vcc_lo, s24, v11
	s_delay_alu instid0(VALU_DEP_3) | instskip(SKIP_1) | instid1(VALU_DEP_4)
	v_cmp_eq_u32_e64 s0, s25, v6
	v_cndmask_b32_e64 v11, 0, -1, vcc_lo
	v_cmp_le_u32_e32 vcc_lo, s25, v8
	v_cndmask_b32_e64 v13, 0, -1, vcc_lo
	v_cmp_le_u32_e32 vcc_lo, s24, v5
	;; [unrolled: 2-line block ×3, first 2 shown]
	v_cndmask_b32_e64 v14, 0, -1, vcc_lo
	v_cmp_eq_u32_e32 vcc_lo, s25, v8
	s_delay_alu instid0(VALU_DEP_2) | instskip(SKIP_3) | instid1(VALU_DEP_3)
	v_cndmask_b32_e64 v5, v14, v5, s0
	v_cndmask_b32_e32 v8, v13, v11, vcc_lo
	v_add_co_u32 v11, vcc_lo, v3, 1
	v_add_co_ci_u32_e32 v13, vcc_lo, 0, v7, vcc_lo
	v_cmp_ne_u32_e32 vcc_lo, 0, v8
	s_delay_alu instid0(VALU_DEP_3) | instskip(NEXT) | instid1(VALU_DEP_3)
	v_cndmask_b32_e32 v8, v11, v9, vcc_lo
	v_cndmask_b32_e32 v6, v13, v10, vcc_lo
	v_cmp_ne_u32_e32 vcc_lo, 0, v5
	v_xor_b32_e32 v5, s22, v12
	s_delay_alu instid0(VALU_DEP_4) | instskip(NEXT) | instid1(VALU_DEP_4)
	v_cndmask_b32_e32 v3, v3, v8, vcc_lo
	v_cndmask_b32_e32 v6, v7, v6, vcc_lo
	v_xor_b32_e32 v7, s23, v12
	s_delay_alu instid0(VALU_DEP_3) | instskip(NEXT) | instid1(VALU_DEP_2)
	v_xor_b32_e32 v3, v3, v5
	v_xor_b32_e32 v6, v6, v7
	s_delay_alu instid0(VALU_DEP_2) | instskip(NEXT) | instid1(VALU_DEP_2)
	v_sub_co_u32 v8, vcc_lo, v3, v5
	v_sub_co_ci_u32_e32 v9, vcc_lo, v6, v7, vcc_lo
.LBB33_9:                               ;   in Loop: Header=BB33_3 Depth=1
	s_and_not1_saveexec_b32 s0, s13
	s_cbranch_execz .LBB33_11
; %bb.10:                               ;   in Loop: Header=BB33_3 Depth=1
	v_cvt_f32_u32_e32 v3, s8
	s_sub_i32 s13, 0, s8
	v_mov_b32_e32 v9, v2
	s_delay_alu instid0(VALU_DEP_2) | instskip(SKIP_2) | instid1(VALU_DEP_1)
	v_rcp_iflag_f32_e32 v3, v3
	s_waitcnt_depctr 0xfff
	v_mul_f32_e32 v3, 0x4f7ffffe, v3
	v_cvt_u32_f32_e32 v3, v3
	s_delay_alu instid0(VALU_DEP_1) | instskip(NEXT) | instid1(VALU_DEP_1)
	v_mul_lo_u32 v5, s13, v3
	v_mul_hi_u32 v5, v3, v5
	s_delay_alu instid0(VALU_DEP_1) | instskip(NEXT) | instid1(VALU_DEP_1)
	v_add_nc_u32_e32 v3, v3, v5
	v_mul_hi_u32 v3, v4, v3
	s_delay_alu instid0(VALU_DEP_1) | instskip(SKIP_1) | instid1(VALU_DEP_2)
	v_mul_lo_u32 v5, v3, s8
	v_add_nc_u32_e32 v6, 1, v3
	v_sub_nc_u32_e32 v5, v4, v5
	s_delay_alu instid0(VALU_DEP_1) | instskip(SKIP_1) | instid1(VALU_DEP_4)
	v_cmp_le_u32_e32 vcc_lo, s8, v5
	v_subrev_nc_u32_e32 v7, s8, v5
	v_cndmask_b32_e32 v3, v3, v6, vcc_lo
	s_delay_alu instid0(VALU_DEP_1) | instskip(NEXT) | instid1(VALU_DEP_3)
	v_add_nc_u32_e32 v6, 1, v3
	v_cndmask_b32_e32 v5, v5, v7, vcc_lo
	s_delay_alu instid0(VALU_DEP_1) | instskip(NEXT) | instid1(VALU_DEP_3)
	v_cmp_le_u32_e32 vcc_lo, s8, v5
	v_cndmask_b32_e32 v8, v3, v6, vcc_lo
.LBB33_11:                              ;   in Loop: Header=BB33_3 Depth=1
	s_or_b32 exec_lo, exec_lo, s0
	v_mad_u64_u32 v[5:6], null, v4, s30, 0
	s_delay_alu instid0(VALU_DEP_2) | instskip(SKIP_1) | instid1(VALU_DEP_2)
	v_mad_u64_u32 v[6:7], null, v8, s8, 0
	s_and_not1_b32 vcc_lo, exec_lo, s1
	v_sub_co_u32 v19, null, v0, v5
	s_delay_alu instid0(VALU_DEP_2) | instskip(NEXT) | instid1(VALU_DEP_2)
	v_sub_co_u32 v20, null, v4, v6
	v_mul_lo_u32 v3, s18, v19
	v_mul_lo_u32 v10, s20, v19
	s_delay_alu instid0(VALU_DEP_2) | instskip(NEXT) | instid1(VALU_DEP_2)
	v_mad_u64_u32 v[6:7], null, s10, v20, v[3:4]
	v_mad_u64_u32 v[4:5], null, s12, v20, v[10:11]
	s_cbranch_vccnz .LBB33_40
; %bb.12:                               ;   in Loop: Header=BB33_3 Depth=1
	s_and_not1_b32 vcc_lo, exec_lo, s41
	s_mov_b32 s13, 1
	s_cbranch_vccnz .LBB33_20
; %bb.13:                               ;   in Loop: Header=BB33_3 Depth=1
	v_dual_mov_b32 v11, v9 :: v_dual_mov_b32 v10, v8
	s_mov_b32 s16, s38
.LBB33_14:                              ;   Parent Loop BB33_3 Depth=1
                                        ; =>  This Inner Loop Header: Depth=2
	s_delay_alu instid0(SALU_CYCLE_1)
	s_lshl_b64 s[24:25], s[16:17], 2
                                        ; implicit-def: $vgpr8_vgpr9
	s_mov_b32 s26, exec_lo
	s_add_u32 s22, s31, s24
	s_addc_u32 s23, s33, s25
	s_load_b32 s43, s[22:23], 0x8
	s_waitcnt lgkmcnt(0)
	s_ashr_i32 s0, s43, 31
	s_delay_alu instid0(SALU_CYCLE_1) | instskip(NEXT) | instid1(VALU_DEP_1)
	v_or_b32_e32 v3, s0, v11
	v_cmpx_ne_u64_e32 0, v[2:3]
	s_xor_b32 s44, exec_lo, s26
	s_cbranch_execz .LBB33_16
; %bb.15:                               ;   in Loop: Header=BB33_14 Depth=2
	s_add_u32 s28, s43, s0
	s_mov_b32 s26, s0
	s_mov_b32 s27, s0
	s_addc_u32 s29, s0, s0
	s_delay_alu instid0(SALU_CYCLE_1) | instskip(NEXT) | instid1(SALU_CYCLE_1)
	s_xor_b64 s[28:29], s[28:29], s[26:27]
	v_cvt_f32_u32_e32 v3, s28
	v_cvt_f32_u32_e32 v5, s29
	s_sub_u32 s0, 0, s28
	s_subb_u32 s45, 0, s29
	s_delay_alu instid0(VALU_DEP_1) | instskip(NEXT) | instid1(VALU_DEP_1)
	v_fmac_f32_e32 v3, 0x4f800000, v5
	v_rcp_f32_e32 v3, v3
	s_waitcnt_depctr 0xfff
	v_mul_f32_e32 v3, 0x5f7ffffc, v3
	s_delay_alu instid0(VALU_DEP_1) | instskip(NEXT) | instid1(VALU_DEP_1)
	v_mul_f32_e32 v5, 0x2f800000, v3
	v_trunc_f32_e32 v5, v5
	s_delay_alu instid0(VALU_DEP_1) | instskip(SKIP_1) | instid1(VALU_DEP_2)
	v_fmac_f32_e32 v3, 0xcf800000, v5
	v_cvt_u32_f32_e32 v5, v5
	v_cvt_u32_f32_e32 v3, v3
	s_delay_alu instid0(VALU_DEP_2) | instskip(NEXT) | instid1(VALU_DEP_2)
	v_mul_lo_u32 v7, s0, v5
	v_mul_hi_u32 v8, s0, v3
	v_mul_lo_u32 v9, s45, v3
	s_delay_alu instid0(VALU_DEP_2) | instskip(SKIP_1) | instid1(VALU_DEP_2)
	v_add_nc_u32_e32 v7, v8, v7
	v_mul_lo_u32 v8, s0, v3
	v_add_nc_u32_e32 v7, v7, v9
	s_delay_alu instid0(VALU_DEP_2) | instskip(NEXT) | instid1(VALU_DEP_2)
	v_mul_hi_u32 v9, v3, v8
	v_mul_lo_u32 v12, v3, v7
	v_mul_hi_u32 v13, v3, v7
	v_mul_hi_u32 v14, v5, v8
	v_mul_lo_u32 v8, v5, v8
	v_mul_hi_u32 v15, v5, v7
	v_mul_lo_u32 v7, v5, v7
	v_add_co_u32 v9, vcc_lo, v9, v12
	v_add_co_ci_u32_e32 v12, vcc_lo, 0, v13, vcc_lo
	s_delay_alu instid0(VALU_DEP_2) | instskip(NEXT) | instid1(VALU_DEP_2)
	v_add_co_u32 v8, vcc_lo, v9, v8
	v_add_co_ci_u32_e32 v8, vcc_lo, v12, v14, vcc_lo
	v_add_co_ci_u32_e32 v9, vcc_lo, 0, v15, vcc_lo
	v_ashrrev_i32_e32 v15, 31, v11
	s_delay_alu instid0(VALU_DEP_3) | instskip(NEXT) | instid1(VALU_DEP_3)
	v_add_co_u32 v7, vcc_lo, v8, v7
	v_add_co_ci_u32_e32 v8, vcc_lo, 0, v9, vcc_lo
	s_delay_alu instid0(VALU_DEP_2) | instskip(NEXT) | instid1(VALU_DEP_2)
	v_add_co_u32 v3, vcc_lo, v3, v7
	v_add_co_ci_u32_e32 v5, vcc_lo, v5, v8, vcc_lo
	s_delay_alu instid0(VALU_DEP_2) | instskip(SKIP_1) | instid1(VALU_DEP_3)
	v_mul_hi_u32 v7, s0, v3
	v_mul_lo_u32 v9, s45, v3
	v_mul_lo_u32 v8, s0, v5
	s_delay_alu instid0(VALU_DEP_1) | instskip(SKIP_1) | instid1(VALU_DEP_2)
	v_add_nc_u32_e32 v7, v7, v8
	v_mul_lo_u32 v8, s0, v3
	v_add_nc_u32_e32 v7, v7, v9
	s_delay_alu instid0(VALU_DEP_2) | instskip(NEXT) | instid1(VALU_DEP_2)
	v_mul_hi_u32 v9, v3, v8
	v_mul_lo_u32 v12, v3, v7
	v_mul_hi_u32 v13, v3, v7
	v_mul_hi_u32 v14, v5, v8
	v_mul_lo_u32 v8, v5, v8
	v_mul_hi_u32 v16, v5, v7
	v_mul_lo_u32 v7, v5, v7
	v_add_co_u32 v9, vcc_lo, v9, v12
	v_add_co_ci_u32_e32 v12, vcc_lo, 0, v13, vcc_lo
	s_delay_alu instid0(VALU_DEP_2) | instskip(NEXT) | instid1(VALU_DEP_2)
	v_add_co_u32 v8, vcc_lo, v9, v8
	v_add_co_ci_u32_e32 v8, vcc_lo, v12, v14, vcc_lo
	v_add_co_ci_u32_e32 v9, vcc_lo, 0, v16, vcc_lo
	v_add_co_u32 v12, vcc_lo, v10, v15
	v_add_co_ci_u32_e32 v11, vcc_lo, v11, v15, vcc_lo
	s_delay_alu instid0(VALU_DEP_4) | instskip(NEXT) | instid1(VALU_DEP_4)
	v_add_co_u32 v7, vcc_lo, v8, v7
	v_add_co_ci_u32_e32 v8, vcc_lo, 0, v9, vcc_lo
	s_delay_alu instid0(VALU_DEP_4) | instskip(NEXT) | instid1(VALU_DEP_3)
	v_xor_b32_e32 v9, v12, v15
	v_add_co_u32 v3, vcc_lo, v3, v7
	s_delay_alu instid0(VALU_DEP_3) | instskip(SKIP_1) | instid1(VALU_DEP_3)
	v_add_co_ci_u32_e32 v5, vcc_lo, v5, v8, vcc_lo
	v_xor_b32_e32 v16, v11, v15
	v_mul_hi_u32 v17, v9, v3
	s_delay_alu instid0(VALU_DEP_3) | instskip(NEXT) | instid1(VALU_DEP_3)
	v_mad_u64_u32 v[7:8], null, v9, v5, 0
	v_mad_u64_u32 v[11:12], null, v16, v3, 0
	;; [unrolled: 1-line block ×3, first 2 shown]
	s_delay_alu instid0(VALU_DEP_3) | instskip(NEXT) | instid1(VALU_DEP_4)
	v_add_co_u32 v3, vcc_lo, v17, v7
	v_add_co_ci_u32_e32 v5, vcc_lo, 0, v8, vcc_lo
	s_delay_alu instid0(VALU_DEP_2) | instskip(NEXT) | instid1(VALU_DEP_2)
	v_add_co_u32 v3, vcc_lo, v3, v11
	v_add_co_ci_u32_e32 v3, vcc_lo, v5, v12, vcc_lo
	v_add_co_ci_u32_e32 v5, vcc_lo, 0, v14, vcc_lo
	s_delay_alu instid0(VALU_DEP_2) | instskip(NEXT) | instid1(VALU_DEP_2)
	v_add_co_u32 v3, vcc_lo, v3, v13
	v_add_co_ci_u32_e32 v5, vcc_lo, 0, v5, vcc_lo
	s_delay_alu instid0(VALU_DEP_2) | instskip(SKIP_1) | instid1(VALU_DEP_3)
	v_mul_lo_u32 v11, s29, v3
	v_mad_u64_u32 v[7:8], null, s28, v3, 0
	v_mul_lo_u32 v12, s28, v5
	s_delay_alu instid0(VALU_DEP_2) | instskip(NEXT) | instid1(VALU_DEP_2)
	v_sub_co_u32 v7, vcc_lo, v9, v7
	v_add3_u32 v8, v8, v12, v11
	s_delay_alu instid0(VALU_DEP_1) | instskip(NEXT) | instid1(VALU_DEP_1)
	v_sub_nc_u32_e32 v11, v16, v8
	v_subrev_co_ci_u32_e64 v9, s0, s29, v11, vcc_lo
	v_add_co_u32 v11, s0, v3, 2
	s_delay_alu instid0(VALU_DEP_1) | instskip(SKIP_3) | instid1(VALU_DEP_3)
	v_add_co_ci_u32_e64 v12, s0, 0, v5, s0
	v_sub_co_u32 v13, s0, v7, s28
	v_sub_co_ci_u32_e32 v8, vcc_lo, v16, v8, vcc_lo
	v_subrev_co_ci_u32_e64 v9, s0, 0, v9, s0
	v_cmp_le_u32_e32 vcc_lo, s28, v13
	s_delay_alu instid0(VALU_DEP_3) | instskip(SKIP_1) | instid1(VALU_DEP_4)
	v_cmp_eq_u32_e64 s0, s29, v8
	v_cndmask_b32_e64 v13, 0, -1, vcc_lo
	v_cmp_le_u32_e32 vcc_lo, s29, v9
	v_cndmask_b32_e64 v14, 0, -1, vcc_lo
	v_cmp_le_u32_e32 vcc_lo, s28, v7
	;; [unrolled: 2-line block ×3, first 2 shown]
	v_cndmask_b32_e64 v16, 0, -1, vcc_lo
	v_cmp_eq_u32_e32 vcc_lo, s29, v9
	s_delay_alu instid0(VALU_DEP_2) | instskip(SKIP_3) | instid1(VALU_DEP_3)
	v_cndmask_b32_e64 v7, v16, v7, s0
	v_cndmask_b32_e32 v9, v14, v13, vcc_lo
	v_add_co_u32 v13, vcc_lo, v3, 1
	v_add_co_ci_u32_e32 v14, vcc_lo, 0, v5, vcc_lo
	v_cmp_ne_u32_e32 vcc_lo, 0, v9
	s_delay_alu instid0(VALU_DEP_2) | instskip(SKIP_2) | instid1(VALU_DEP_3)
	v_dual_cndmask_b32 v8, v14, v12 :: v_dual_cndmask_b32 v9, v13, v11
	v_cmp_ne_u32_e32 vcc_lo, 0, v7
	v_xor_b32_e32 v7, s26, v15
	v_cndmask_b32_e32 v3, v3, v9, vcc_lo
	s_delay_alu instid0(VALU_DEP_4) | instskip(SKIP_1) | instid1(VALU_DEP_3)
	v_cndmask_b32_e32 v5, v5, v8, vcc_lo
	v_xor_b32_e32 v9, s27, v15
	v_xor_b32_e32 v3, v3, v7
	s_delay_alu instid0(VALU_DEP_2) | instskip(NEXT) | instid1(VALU_DEP_2)
	v_xor_b32_e32 v5, v5, v9
	v_sub_co_u32 v8, vcc_lo, v3, v7
	s_delay_alu instid0(VALU_DEP_2)
	v_sub_co_ci_u32_e32 v9, vcc_lo, v5, v9, vcc_lo
.LBB33_16:                              ;   in Loop: Header=BB33_14 Depth=2
	s_and_not1_saveexec_b32 s0, s44
	s_cbranch_execz .LBB33_18
; %bb.17:                               ;   in Loop: Header=BB33_14 Depth=2
	v_cvt_f32_u32_e32 v3, s43
	s_sub_i32 s26, 0, s43
	v_mov_b32_e32 v9, v2
	s_delay_alu instid0(VALU_DEP_2) | instskip(SKIP_2) | instid1(VALU_DEP_1)
	v_rcp_iflag_f32_e32 v3, v3
	s_waitcnt_depctr 0xfff
	v_mul_f32_e32 v3, 0x4f7ffffe, v3
	v_cvt_u32_f32_e32 v3, v3
	s_delay_alu instid0(VALU_DEP_1) | instskip(NEXT) | instid1(VALU_DEP_1)
	v_mul_lo_u32 v5, s26, v3
	v_mul_hi_u32 v5, v3, v5
	s_delay_alu instid0(VALU_DEP_1) | instskip(NEXT) | instid1(VALU_DEP_1)
	v_add_nc_u32_e32 v3, v3, v5
	v_mul_hi_u32 v3, v10, v3
	s_delay_alu instid0(VALU_DEP_1) | instskip(SKIP_1) | instid1(VALU_DEP_2)
	v_mul_lo_u32 v5, v3, s43
	v_add_nc_u32_e32 v7, 1, v3
	v_sub_nc_u32_e32 v5, v10, v5
	s_delay_alu instid0(VALU_DEP_1) | instskip(SKIP_1) | instid1(VALU_DEP_4)
	v_cmp_le_u32_e32 vcc_lo, s43, v5
	v_subrev_nc_u32_e32 v8, s43, v5
	v_cndmask_b32_e32 v3, v3, v7, vcc_lo
	s_delay_alu instid0(VALU_DEP_1) | instskip(NEXT) | instid1(VALU_DEP_3)
	v_add_nc_u32_e32 v7, 1, v3
	v_cndmask_b32_e32 v5, v5, v8, vcc_lo
	s_delay_alu instid0(VALU_DEP_1) | instskip(NEXT) | instid1(VALU_DEP_3)
	v_cmp_le_u32_e32 vcc_lo, s43, v5
	v_cndmask_b32_e32 v8, v3, v7, vcc_lo
.LBB33_18:                              ;   in Loop: Header=BB33_14 Depth=2
	s_or_b32 exec_lo, exec_lo, s0
	s_add_u32 s24, s36, s24
	s_addc_u32 s25, s37, s25
	s_clause 0x1
	s_load_b32 s0, s[22:23], 0x6c
	s_load_b32 s22, s[24:25], 0x0
	v_mul_lo_u32 v3, v8, s43
	s_add_i32 s16, s16, -1
	s_delay_alu instid0(VALU_DEP_1) | instskip(SKIP_1) | instid1(VALU_DEP_1)
	v_sub_nc_u32_e32 v3, v10, v3
	s_waitcnt lgkmcnt(0)
	v_mad_u64_u32 v[10:11], null, s0, v3, v[6:7]
	v_mad_u64_u32 v[5:6], null, s22, v3, v[4:5]
	s_xor_b32 s0, s39, s13
	s_add_i32 s13, s13, 1
	s_cmp_lg_u32 s0, 2
	s_delay_alu instid0(VALU_DEP_2) | instskip(NEXT) | instid1(VALU_DEP_2)
	v_mov_b32_e32 v6, v10
	v_mov_b32_e32 v4, v5
	s_cbranch_scc0 .LBB33_21
; %bb.19:                               ;   in Loop: Header=BB33_14 Depth=2
	v_dual_mov_b32 v11, v9 :: v_dual_mov_b32 v10, v8
	s_branch .LBB33_14
.LBB33_20:                              ;   in Loop: Header=BB33_3 Depth=1
	s_mov_b32 s16, s38
.LBB33_21:                              ;   in Loop: Header=BB33_3 Depth=1
	s_and_b32 vcc_lo, exec_lo, s42
	s_cbranch_vccz .LBB33_40
.LBB33_22:                              ;   Parent Loop BB33_3 Depth=1
                                        ; =>  This Inner Loop Header: Depth=2
	s_lshl_b64 s[22:23], s[16:17], 2
                                        ; implicit-def: $vgpr10_vgpr11
	s_mov_b32 s26, exec_lo
	s_add_u32 s24, s31, s22
	s_addc_u32 s25, s33, s23
	s_load_b32 s13, s[24:25], 0x8
	s_waitcnt lgkmcnt(0)
	s_ashr_i32 s0, s13, 31
	s_delay_alu instid0(SALU_CYCLE_1) | instskip(NEXT) | instid1(VALU_DEP_1)
	v_or_b32_e32 v3, s0, v9
	v_cmpx_ne_u64_e32 0, v[2:3]
	s_xor_b32 s43, exec_lo, s26
	s_cbranch_execz .LBB33_24
; %bb.23:                               ;   in Loop: Header=BB33_22 Depth=2
	s_add_u32 s28, s13, s0
	s_mov_b32 s26, s0
	s_mov_b32 s27, s0
	s_addc_u32 s29, s0, s0
	s_delay_alu instid0(SALU_CYCLE_1) | instskip(NEXT) | instid1(SALU_CYCLE_1)
	s_xor_b64 s[28:29], s[28:29], s[26:27]
	v_cvt_f32_u32_e32 v3, s28
	v_cvt_f32_u32_e32 v5, s29
	s_sub_u32 s0, 0, s28
	s_subb_u32 s44, 0, s29
	s_delay_alu instid0(VALU_DEP_1) | instskip(NEXT) | instid1(VALU_DEP_1)
	v_fmac_f32_e32 v3, 0x4f800000, v5
	v_rcp_f32_e32 v3, v3
	s_waitcnt_depctr 0xfff
	v_mul_f32_e32 v3, 0x5f7ffffc, v3
	s_delay_alu instid0(VALU_DEP_1) | instskip(NEXT) | instid1(VALU_DEP_1)
	v_mul_f32_e32 v5, 0x2f800000, v3
	v_trunc_f32_e32 v5, v5
	s_delay_alu instid0(VALU_DEP_1) | instskip(SKIP_1) | instid1(VALU_DEP_2)
	v_fmac_f32_e32 v3, 0xcf800000, v5
	v_cvt_u32_f32_e32 v5, v5
	v_cvt_u32_f32_e32 v3, v3
	s_delay_alu instid0(VALU_DEP_2) | instskip(NEXT) | instid1(VALU_DEP_2)
	v_mul_lo_u32 v7, s0, v5
	v_mul_hi_u32 v10, s0, v3
	v_mul_lo_u32 v11, s44, v3
	s_delay_alu instid0(VALU_DEP_2) | instskip(SKIP_1) | instid1(VALU_DEP_2)
	v_add_nc_u32_e32 v7, v10, v7
	v_mul_lo_u32 v10, s0, v3
	v_add_nc_u32_e32 v7, v7, v11
	s_delay_alu instid0(VALU_DEP_2) | instskip(NEXT) | instid1(VALU_DEP_2)
	v_mul_hi_u32 v11, v3, v10
	v_mul_lo_u32 v12, v3, v7
	v_mul_hi_u32 v13, v3, v7
	v_mul_hi_u32 v14, v5, v10
	v_mul_lo_u32 v10, v5, v10
	v_mul_hi_u32 v15, v5, v7
	v_mul_lo_u32 v7, v5, v7
	v_add_co_u32 v11, vcc_lo, v11, v12
	v_add_co_ci_u32_e32 v12, vcc_lo, 0, v13, vcc_lo
	s_delay_alu instid0(VALU_DEP_2) | instskip(NEXT) | instid1(VALU_DEP_2)
	v_add_co_u32 v10, vcc_lo, v11, v10
	v_add_co_ci_u32_e32 v10, vcc_lo, v12, v14, vcc_lo
	v_add_co_ci_u32_e32 v11, vcc_lo, 0, v15, vcc_lo
	v_ashrrev_i32_e32 v15, 31, v9
	s_delay_alu instid0(VALU_DEP_3) | instskip(NEXT) | instid1(VALU_DEP_3)
	v_add_co_u32 v7, vcc_lo, v10, v7
	v_add_co_ci_u32_e32 v10, vcc_lo, 0, v11, vcc_lo
	s_delay_alu instid0(VALU_DEP_2) | instskip(NEXT) | instid1(VALU_DEP_2)
	v_add_co_u32 v3, vcc_lo, v3, v7
	v_add_co_ci_u32_e32 v5, vcc_lo, v5, v10, vcc_lo
	s_delay_alu instid0(VALU_DEP_2) | instskip(SKIP_1) | instid1(VALU_DEP_3)
	v_mul_hi_u32 v7, s0, v3
	v_mul_lo_u32 v11, s44, v3
	v_mul_lo_u32 v10, s0, v5
	s_delay_alu instid0(VALU_DEP_1) | instskip(SKIP_1) | instid1(VALU_DEP_2)
	v_add_nc_u32_e32 v7, v7, v10
	v_mul_lo_u32 v10, s0, v3
	v_add_nc_u32_e32 v7, v7, v11
	s_delay_alu instid0(VALU_DEP_2) | instskip(NEXT) | instid1(VALU_DEP_2)
	v_mul_hi_u32 v11, v3, v10
	v_mul_lo_u32 v12, v3, v7
	v_mul_hi_u32 v13, v3, v7
	v_mul_hi_u32 v14, v5, v10
	v_mul_lo_u32 v10, v5, v10
	v_mul_hi_u32 v16, v5, v7
	v_mul_lo_u32 v7, v5, v7
	v_add_co_u32 v11, vcc_lo, v11, v12
	v_add_co_ci_u32_e32 v12, vcc_lo, 0, v13, vcc_lo
	s_delay_alu instid0(VALU_DEP_2) | instskip(NEXT) | instid1(VALU_DEP_2)
	v_add_co_u32 v10, vcc_lo, v11, v10
	v_add_co_ci_u32_e32 v10, vcc_lo, v12, v14, vcc_lo
	v_add_co_ci_u32_e32 v11, vcc_lo, 0, v16, vcc_lo
	v_add_co_u32 v12, vcc_lo, v8, v15
	v_add_co_ci_u32_e32 v9, vcc_lo, v9, v15, vcc_lo
	s_delay_alu instid0(VALU_DEP_4) | instskip(NEXT) | instid1(VALU_DEP_4)
	v_add_co_u32 v7, vcc_lo, v10, v7
	v_add_co_ci_u32_e32 v10, vcc_lo, 0, v11, vcc_lo
	s_delay_alu instid0(VALU_DEP_4) | instskip(NEXT) | instid1(VALU_DEP_3)
	v_xor_b32_e32 v16, v12, v15
	v_add_co_u32 v3, vcc_lo, v3, v7
	s_delay_alu instid0(VALU_DEP_3) | instskip(SKIP_1) | instid1(VALU_DEP_3)
	v_add_co_ci_u32_e32 v5, vcc_lo, v5, v10, vcc_lo
	v_xor_b32_e32 v7, v9, v15
	v_mul_hi_u32 v17, v16, v3
	s_delay_alu instid0(VALU_DEP_3) | instskip(NEXT) | instid1(VALU_DEP_3)
	v_mad_u64_u32 v[9:10], null, v16, v5, 0
	v_mad_u64_u32 v[11:12], null, v7, v3, 0
	;; [unrolled: 1-line block ×3, first 2 shown]
	s_delay_alu instid0(VALU_DEP_3) | instskip(NEXT) | instid1(VALU_DEP_4)
	v_add_co_u32 v3, vcc_lo, v17, v9
	v_add_co_ci_u32_e32 v5, vcc_lo, 0, v10, vcc_lo
	s_delay_alu instid0(VALU_DEP_2) | instskip(NEXT) | instid1(VALU_DEP_2)
	v_add_co_u32 v3, vcc_lo, v3, v11
	v_add_co_ci_u32_e32 v3, vcc_lo, v5, v12, vcc_lo
	v_add_co_ci_u32_e32 v5, vcc_lo, 0, v14, vcc_lo
	s_delay_alu instid0(VALU_DEP_2) | instskip(NEXT) | instid1(VALU_DEP_2)
	v_add_co_u32 v3, vcc_lo, v3, v13
	v_add_co_ci_u32_e32 v5, vcc_lo, 0, v5, vcc_lo
	s_delay_alu instid0(VALU_DEP_2) | instskip(SKIP_1) | instid1(VALU_DEP_3)
	v_mul_lo_u32 v11, s29, v3
	v_mad_u64_u32 v[9:10], null, s28, v3, 0
	v_mul_lo_u32 v12, s28, v5
	s_delay_alu instid0(VALU_DEP_2) | instskip(NEXT) | instid1(VALU_DEP_2)
	v_sub_co_u32 v9, vcc_lo, v16, v9
	v_add3_u32 v10, v10, v12, v11
	s_delay_alu instid0(VALU_DEP_1) | instskip(NEXT) | instid1(VALU_DEP_1)
	v_sub_nc_u32_e32 v11, v7, v10
	v_subrev_co_ci_u32_e64 v11, s0, s29, v11, vcc_lo
	v_add_co_u32 v12, s0, v3, 2
	s_delay_alu instid0(VALU_DEP_1) | instskip(SKIP_3) | instid1(VALU_DEP_3)
	v_add_co_ci_u32_e64 v13, s0, 0, v5, s0
	v_sub_co_u32 v14, s0, v9, s28
	v_sub_co_ci_u32_e32 v7, vcc_lo, v7, v10, vcc_lo
	v_subrev_co_ci_u32_e64 v11, s0, 0, v11, s0
	v_cmp_le_u32_e32 vcc_lo, s28, v14
	s_delay_alu instid0(VALU_DEP_3) | instskip(SKIP_1) | instid1(VALU_DEP_4)
	v_cmp_eq_u32_e64 s0, s29, v7
	v_cndmask_b32_e64 v10, 0, -1, vcc_lo
	v_cmp_le_u32_e32 vcc_lo, s29, v11
	v_cndmask_b32_e64 v14, 0, -1, vcc_lo
	v_cmp_le_u32_e32 vcc_lo, s28, v9
	;; [unrolled: 2-line block ×3, first 2 shown]
	v_cndmask_b32_e64 v16, 0, -1, vcc_lo
	v_cmp_eq_u32_e32 vcc_lo, s29, v11
	s_delay_alu instid0(VALU_DEP_2) | instskip(SKIP_3) | instid1(VALU_DEP_3)
	v_cndmask_b32_e64 v7, v16, v9, s0
	v_cndmask_b32_e32 v10, v14, v10, vcc_lo
	v_add_co_u32 v11, vcc_lo, v3, 1
	v_add_co_ci_u32_e32 v14, vcc_lo, 0, v5, vcc_lo
	v_cmp_ne_u32_e32 vcc_lo, 0, v10
	s_delay_alu instid0(VALU_DEP_2) | instskip(SKIP_2) | instid1(VALU_DEP_3)
	v_dual_cndmask_b32 v10, v11, v12 :: v_dual_cndmask_b32 v9, v14, v13
	v_cmp_ne_u32_e32 vcc_lo, 0, v7
	v_xor_b32_e32 v7, s26, v15
	v_cndmask_b32_e32 v3, v3, v10, vcc_lo
	s_delay_alu instid0(VALU_DEP_4) | instskip(SKIP_1) | instid1(VALU_DEP_3)
	v_cndmask_b32_e32 v5, v5, v9, vcc_lo
	v_xor_b32_e32 v9, s27, v15
	v_xor_b32_e32 v3, v3, v7
	s_delay_alu instid0(VALU_DEP_2) | instskip(NEXT) | instid1(VALU_DEP_2)
	v_xor_b32_e32 v5, v5, v9
	v_sub_co_u32 v10, vcc_lo, v3, v7
	s_delay_alu instid0(VALU_DEP_2)
	v_sub_co_ci_u32_e32 v11, vcc_lo, v5, v9, vcc_lo
.LBB33_24:                              ;   in Loop: Header=BB33_22 Depth=2
	s_and_not1_saveexec_b32 s0, s43
	s_cbranch_execz .LBB33_26
; %bb.25:                               ;   in Loop: Header=BB33_22 Depth=2
	v_cvt_f32_u32_e32 v3, s13
	s_sub_i32 s26, 0, s13
	v_mov_b32_e32 v11, v2
	s_delay_alu instid0(VALU_DEP_2) | instskip(SKIP_2) | instid1(VALU_DEP_1)
	v_rcp_iflag_f32_e32 v3, v3
	s_waitcnt_depctr 0xfff
	v_mul_f32_e32 v3, 0x4f7ffffe, v3
	v_cvt_u32_f32_e32 v3, v3
	s_delay_alu instid0(VALU_DEP_1) | instskip(NEXT) | instid1(VALU_DEP_1)
	v_mul_lo_u32 v5, s26, v3
	v_mul_hi_u32 v5, v3, v5
	s_delay_alu instid0(VALU_DEP_1) | instskip(NEXT) | instid1(VALU_DEP_1)
	v_add_nc_u32_e32 v3, v3, v5
	v_mul_hi_u32 v3, v8, v3
	s_delay_alu instid0(VALU_DEP_1) | instskip(SKIP_1) | instid1(VALU_DEP_2)
	v_mul_lo_u32 v5, v3, s13
	v_add_nc_u32_e32 v7, 1, v3
	v_sub_nc_u32_e32 v5, v8, v5
	s_delay_alu instid0(VALU_DEP_1) | instskip(SKIP_1) | instid1(VALU_DEP_4)
	v_cmp_le_u32_e32 vcc_lo, s13, v5
	v_subrev_nc_u32_e32 v9, s13, v5
	v_cndmask_b32_e32 v3, v3, v7, vcc_lo
	s_delay_alu instid0(VALU_DEP_1) | instskip(NEXT) | instid1(VALU_DEP_3)
	v_add_nc_u32_e32 v7, 1, v3
	v_cndmask_b32_e32 v5, v5, v9, vcc_lo
	s_delay_alu instid0(VALU_DEP_1) | instskip(NEXT) | instid1(VALU_DEP_3)
	v_cmp_le_u32_e32 vcc_lo, s13, v5
	v_cndmask_b32_e32 v10, v3, v7, vcc_lo
.LBB33_26:                              ;   in Loop: Header=BB33_22 Depth=2
	s_or_b32 exec_lo, exec_lo, s0
	s_add_u32 s28, s36, s22
	s_addc_u32 s29, s37, s23
	s_add_i32 s22, s16, -1
	s_mov_b32 s23, s17
                                        ; implicit-def: $vgpr12_vgpr13
	s_delay_alu instid0(SALU_CYCLE_1) | instskip(NEXT) | instid1(SALU_CYCLE_1)
	s_lshl_b64 s[26:27], s[22:23], 2
	s_add_u32 s22, s31, s26
	s_addc_u32 s23, s33, s27
	s_clause 0x2
	s_load_b32 s45, s[22:23], 0x8
	s_load_b32 s43, s[24:25], 0x6c
	;; [unrolled: 1-line block ×3, first 2 shown]
	s_mov_b32 s24, exec_lo
	s_waitcnt lgkmcnt(0)
	s_ashr_i32 s0, s45, 31
	s_delay_alu instid0(SALU_CYCLE_1) | instskip(NEXT) | instid1(VALU_DEP_1)
	v_or_b32_e32 v3, s0, v11
	v_cmpx_ne_u64_e32 0, v[2:3]
	s_xor_b32 s46, exec_lo, s24
	s_cbranch_execz .LBB33_28
; %bb.27:                               ;   in Loop: Header=BB33_22 Depth=2
	s_add_u32 s28, s45, s0
	s_mov_b32 s24, s0
	s_mov_b32 s25, s0
	s_addc_u32 s29, s0, s0
	v_ashrrev_i32_e32 v17, 31, v11
	s_xor_b64 s[28:29], s[28:29], s[24:25]
	s_delay_alu instid0(SALU_CYCLE_1) | instskip(SKIP_3) | instid1(VALU_DEP_1)
	v_cvt_f32_u32_e32 v3, s28
	v_cvt_f32_u32_e32 v5, s29
	s_sub_u32 s0, 0, s28
	s_subb_u32 s47, 0, s29
	v_fmac_f32_e32 v3, 0x4f800000, v5
	s_delay_alu instid0(VALU_DEP_1) | instskip(SKIP_2) | instid1(VALU_DEP_1)
	v_rcp_f32_e32 v3, v3
	s_waitcnt_depctr 0xfff
	v_mul_f32_e32 v3, 0x5f7ffffc, v3
	v_mul_f32_e32 v5, 0x2f800000, v3
	s_delay_alu instid0(VALU_DEP_1) | instskip(NEXT) | instid1(VALU_DEP_1)
	v_trunc_f32_e32 v5, v5
	v_fmac_f32_e32 v3, 0xcf800000, v5
	v_cvt_u32_f32_e32 v5, v5
	s_delay_alu instid0(VALU_DEP_2) | instskip(NEXT) | instid1(VALU_DEP_2)
	v_cvt_u32_f32_e32 v3, v3
	v_mul_lo_u32 v7, s0, v5
	s_delay_alu instid0(VALU_DEP_2) | instskip(SKIP_1) | instid1(VALU_DEP_2)
	v_mul_hi_u32 v9, s0, v3
	v_mul_lo_u32 v12, s47, v3
	v_add_nc_u32_e32 v7, v9, v7
	v_mul_lo_u32 v9, s0, v3
	s_delay_alu instid0(VALU_DEP_2) | instskip(NEXT) | instid1(VALU_DEP_2)
	v_add_nc_u32_e32 v7, v7, v12
	v_mul_hi_u32 v12, v3, v9
	s_delay_alu instid0(VALU_DEP_2)
	v_mul_lo_u32 v13, v3, v7
	v_mul_hi_u32 v14, v3, v7
	v_mul_hi_u32 v15, v5, v9
	v_mul_lo_u32 v9, v5, v9
	v_mul_hi_u32 v16, v5, v7
	v_mul_lo_u32 v7, v5, v7
	v_add_co_u32 v12, vcc_lo, v12, v13
	v_add_co_ci_u32_e32 v13, vcc_lo, 0, v14, vcc_lo
	s_delay_alu instid0(VALU_DEP_2) | instskip(NEXT) | instid1(VALU_DEP_2)
	v_add_co_u32 v9, vcc_lo, v12, v9
	v_add_co_ci_u32_e32 v9, vcc_lo, v13, v15, vcc_lo
	v_add_co_ci_u32_e32 v12, vcc_lo, 0, v16, vcc_lo
	s_delay_alu instid0(VALU_DEP_2) | instskip(NEXT) | instid1(VALU_DEP_2)
	v_add_co_u32 v7, vcc_lo, v9, v7
	v_add_co_ci_u32_e32 v9, vcc_lo, 0, v12, vcc_lo
	s_delay_alu instid0(VALU_DEP_2) | instskip(NEXT) | instid1(VALU_DEP_2)
	v_add_co_u32 v3, vcc_lo, v3, v7
	v_add_co_ci_u32_e32 v5, vcc_lo, v5, v9, vcc_lo
	s_delay_alu instid0(VALU_DEP_2) | instskip(SKIP_1) | instid1(VALU_DEP_3)
	v_mul_hi_u32 v7, s0, v3
	v_mul_lo_u32 v12, s47, v3
	v_mul_lo_u32 v9, s0, v5
	s_delay_alu instid0(VALU_DEP_1) | instskip(SKIP_1) | instid1(VALU_DEP_2)
	v_add_nc_u32_e32 v7, v7, v9
	v_mul_lo_u32 v9, s0, v3
	v_add_nc_u32_e32 v7, v7, v12
	s_delay_alu instid0(VALU_DEP_2) | instskip(NEXT) | instid1(VALU_DEP_2)
	v_mul_hi_u32 v12, v3, v9
	v_mul_lo_u32 v13, v3, v7
	v_mul_hi_u32 v14, v3, v7
	v_mul_hi_u32 v15, v5, v9
	v_mul_lo_u32 v9, v5, v9
	v_mul_hi_u32 v16, v5, v7
	v_mul_lo_u32 v7, v5, v7
	v_add_co_u32 v12, vcc_lo, v12, v13
	v_add_co_ci_u32_e32 v13, vcc_lo, 0, v14, vcc_lo
	s_delay_alu instid0(VALU_DEP_2) | instskip(NEXT) | instid1(VALU_DEP_2)
	v_add_co_u32 v9, vcc_lo, v12, v9
	v_add_co_ci_u32_e32 v9, vcc_lo, v13, v15, vcc_lo
	v_add_co_ci_u32_e32 v12, vcc_lo, 0, v16, vcc_lo
	v_add_co_u32 v13, vcc_lo, v10, v17
	v_add_co_ci_u32_e32 v11, vcc_lo, v11, v17, vcc_lo
	s_delay_alu instid0(VALU_DEP_4) | instskip(NEXT) | instid1(VALU_DEP_4)
	v_add_co_u32 v7, vcc_lo, v9, v7
	v_add_co_ci_u32_e32 v9, vcc_lo, 0, v12, vcc_lo
	s_delay_alu instid0(VALU_DEP_4) | instskip(NEXT) | instid1(VALU_DEP_3)
	v_xor_b32_e32 v21, v13, v17
	v_add_co_u32 v3, vcc_lo, v3, v7
	s_delay_alu instid0(VALU_DEP_3) | instskip(SKIP_1) | instid1(VALU_DEP_3)
	v_add_co_ci_u32_e32 v5, vcc_lo, v5, v9, vcc_lo
	v_xor_b32_e32 v7, v11, v17
	v_mul_hi_u32 v9, v21, v3
	s_delay_alu instid0(VALU_DEP_3) | instskip(NEXT) | instid1(VALU_DEP_3)
	v_mad_u64_u32 v[11:12], null, v21, v5, 0
	v_mad_u64_u32 v[13:14], null, v7, v3, 0
	;; [unrolled: 1-line block ×3, first 2 shown]
	s_delay_alu instid0(VALU_DEP_3) | instskip(NEXT) | instid1(VALU_DEP_4)
	v_add_co_u32 v3, vcc_lo, v9, v11
	v_add_co_ci_u32_e32 v5, vcc_lo, 0, v12, vcc_lo
	s_delay_alu instid0(VALU_DEP_2) | instskip(NEXT) | instid1(VALU_DEP_2)
	v_add_co_u32 v3, vcc_lo, v3, v13
	v_add_co_ci_u32_e32 v3, vcc_lo, v5, v14, vcc_lo
	v_add_co_ci_u32_e32 v5, vcc_lo, 0, v16, vcc_lo
	s_delay_alu instid0(VALU_DEP_2) | instskip(NEXT) | instid1(VALU_DEP_2)
	v_add_co_u32 v3, vcc_lo, v3, v15
	v_add_co_ci_u32_e32 v5, vcc_lo, 0, v5, vcc_lo
	s_delay_alu instid0(VALU_DEP_2) | instskip(SKIP_1) | instid1(VALU_DEP_3)
	v_mul_lo_u32 v9, s29, v3
	v_mad_u64_u32 v[11:12], null, s28, v3, 0
	v_mul_lo_u32 v13, s28, v5
	s_delay_alu instid0(VALU_DEP_2) | instskip(NEXT) | instid1(VALU_DEP_2)
	v_sub_co_u32 v11, vcc_lo, v21, v11
	v_add3_u32 v9, v12, v13, v9
	s_delay_alu instid0(VALU_DEP_1) | instskip(NEXT) | instid1(VALU_DEP_1)
	v_sub_nc_u32_e32 v12, v7, v9
	v_subrev_co_ci_u32_e64 v12, s0, s29, v12, vcc_lo
	v_add_co_u32 v13, s0, v3, 2
	s_delay_alu instid0(VALU_DEP_1) | instskip(SKIP_3) | instid1(VALU_DEP_3)
	v_add_co_ci_u32_e64 v14, s0, 0, v5, s0
	v_sub_co_u32 v15, s0, v11, s28
	v_sub_co_ci_u32_e32 v7, vcc_lo, v7, v9, vcc_lo
	v_subrev_co_ci_u32_e64 v12, s0, 0, v12, s0
	v_cmp_le_u32_e32 vcc_lo, s28, v15
	s_delay_alu instid0(VALU_DEP_3) | instskip(SKIP_1) | instid1(VALU_DEP_4)
	v_cmp_eq_u32_e64 s0, s29, v7
	v_cndmask_b32_e64 v9, 0, -1, vcc_lo
	v_cmp_le_u32_e32 vcc_lo, s29, v12
	v_cndmask_b32_e64 v15, 0, -1, vcc_lo
	v_cmp_le_u32_e32 vcc_lo, s28, v11
	;; [unrolled: 2-line block ×3, first 2 shown]
	v_cndmask_b32_e64 v16, 0, -1, vcc_lo
	v_cmp_eq_u32_e32 vcc_lo, s29, v12
	s_delay_alu instid0(VALU_DEP_2) | instskip(SKIP_3) | instid1(VALU_DEP_3)
	v_cndmask_b32_e64 v7, v16, v11, s0
	v_cndmask_b32_e32 v9, v15, v9, vcc_lo
	v_add_co_u32 v12, vcc_lo, v3, 1
	v_add_co_ci_u32_e32 v15, vcc_lo, 0, v5, vcc_lo
	v_cmp_ne_u32_e32 vcc_lo, 0, v9
	s_delay_alu instid0(VALU_DEP_2) | instskip(NEXT) | instid1(VALU_DEP_4)
	v_cndmask_b32_e32 v9, v15, v14, vcc_lo
	v_cndmask_b32_e32 v11, v12, v13, vcc_lo
	v_cmp_ne_u32_e32 vcc_lo, 0, v7
	v_xor_b32_e32 v7, s24, v17
	s_delay_alu instid0(VALU_DEP_3) | instskip(SKIP_2) | instid1(VALU_DEP_3)
	v_cndmask_b32_e32 v3, v3, v11, vcc_lo
	v_cndmask_b32_e32 v5, v5, v9, vcc_lo
	v_xor_b32_e32 v9, s25, v17
	v_xor_b32_e32 v3, v3, v7
	s_delay_alu instid0(VALU_DEP_2) | instskip(NEXT) | instid1(VALU_DEP_2)
	v_xor_b32_e32 v5, v5, v9
	v_sub_co_u32 v12, vcc_lo, v3, v7
	s_delay_alu instid0(VALU_DEP_2)
	v_sub_co_ci_u32_e32 v13, vcc_lo, v5, v9, vcc_lo
.LBB33_28:                              ;   in Loop: Header=BB33_22 Depth=2
	s_and_not1_saveexec_b32 s0, s46
	s_cbranch_execz .LBB33_30
; %bb.29:                               ;   in Loop: Header=BB33_22 Depth=2
	v_cvt_f32_u32_e32 v3, s45
	s_sub_i32 s24, 0, s45
	v_mov_b32_e32 v13, v2
	s_delay_alu instid0(VALU_DEP_2) | instskip(SKIP_2) | instid1(VALU_DEP_1)
	v_rcp_iflag_f32_e32 v3, v3
	s_waitcnt_depctr 0xfff
	v_mul_f32_e32 v3, 0x4f7ffffe, v3
	v_cvt_u32_f32_e32 v3, v3
	s_delay_alu instid0(VALU_DEP_1) | instskip(NEXT) | instid1(VALU_DEP_1)
	v_mul_lo_u32 v5, s24, v3
	v_mul_hi_u32 v5, v3, v5
	s_delay_alu instid0(VALU_DEP_1) | instskip(NEXT) | instid1(VALU_DEP_1)
	v_add_nc_u32_e32 v3, v3, v5
	v_mul_hi_u32 v3, v10, v3
	s_delay_alu instid0(VALU_DEP_1) | instskip(SKIP_1) | instid1(VALU_DEP_2)
	v_mul_lo_u32 v5, v3, s45
	v_add_nc_u32_e32 v7, 1, v3
	v_sub_nc_u32_e32 v5, v10, v5
	s_delay_alu instid0(VALU_DEP_1) | instskip(SKIP_1) | instid1(VALU_DEP_4)
	v_cmp_le_u32_e32 vcc_lo, s45, v5
	v_subrev_nc_u32_e32 v9, s45, v5
	v_cndmask_b32_e32 v3, v3, v7, vcc_lo
	s_delay_alu instid0(VALU_DEP_1) | instskip(NEXT) | instid1(VALU_DEP_3)
	v_add_nc_u32_e32 v7, 1, v3
	v_cndmask_b32_e32 v5, v5, v9, vcc_lo
	s_delay_alu instid0(VALU_DEP_1) | instskip(NEXT) | instid1(VALU_DEP_3)
	v_cmp_le_u32_e32 vcc_lo, s45, v5
	v_cndmask_b32_e32 v12, v3, v7, vcc_lo
.LBB33_30:                              ;   in Loop: Header=BB33_22 Depth=2
	s_or_b32 exec_lo, exec_lo, s0
	s_add_u32 s28, s36, s26
	s_addc_u32 s29, s37, s27
	s_add_i32 s24, s16, -2
	s_mov_b32 s25, s17
                                        ; implicit-def: $vgpr14_vgpr15
	s_delay_alu instid0(SALU_CYCLE_1) | instskip(NEXT) | instid1(SALU_CYCLE_1)
	s_lshl_b64 s[24:25], s[24:25], 2
	s_add_u32 s26, s31, s24
	s_addc_u32 s27, s33, s25
	s_clause 0x2
	s_load_b32 s48, s[26:27], 0x8
	s_load_b32 s46, s[22:23], 0x6c
	;; [unrolled: 1-line block ×3, first 2 shown]
	s_mov_b32 s22, exec_lo
	s_waitcnt lgkmcnt(0)
	s_ashr_i32 s0, s48, 31
	s_delay_alu instid0(SALU_CYCLE_1) | instskip(NEXT) | instid1(VALU_DEP_1)
	v_or_b32_e32 v3, s0, v13
	v_cmpx_ne_u64_e32 0, v[2:3]
	s_xor_b32 s49, exec_lo, s22
	s_cbranch_execz .LBB33_32
; %bb.31:                               ;   in Loop: Header=BB33_22 Depth=2
	s_add_u32 s28, s48, s0
	s_mov_b32 s22, s0
	s_mov_b32 s23, s0
	s_addc_u32 s29, s0, s0
	s_delay_alu instid0(SALU_CYCLE_1) | instskip(NEXT) | instid1(SALU_CYCLE_1)
	s_xor_b64 s[28:29], s[28:29], s[22:23]
	v_cvt_f32_u32_e32 v3, s28
	v_cvt_f32_u32_e32 v5, s29
	s_sub_u32 s0, 0, s28
	s_subb_u32 s50, 0, s29
	s_delay_alu instid0(VALU_DEP_1) | instskip(NEXT) | instid1(VALU_DEP_1)
	v_fmac_f32_e32 v3, 0x4f800000, v5
	v_rcp_f32_e32 v3, v3
	s_waitcnt_depctr 0xfff
	v_mul_f32_e32 v3, 0x5f7ffffc, v3
	s_delay_alu instid0(VALU_DEP_1) | instskip(NEXT) | instid1(VALU_DEP_1)
	v_mul_f32_e32 v5, 0x2f800000, v3
	v_trunc_f32_e32 v5, v5
	s_delay_alu instid0(VALU_DEP_1) | instskip(SKIP_1) | instid1(VALU_DEP_2)
	v_fmac_f32_e32 v3, 0xcf800000, v5
	v_cvt_u32_f32_e32 v5, v5
	v_cvt_u32_f32_e32 v3, v3
	s_delay_alu instid0(VALU_DEP_2) | instskip(NEXT) | instid1(VALU_DEP_2)
	v_mul_lo_u32 v7, s0, v5
	v_mul_hi_u32 v9, s0, v3
	v_mul_lo_u32 v11, s50, v3
	s_delay_alu instid0(VALU_DEP_2) | instskip(SKIP_1) | instid1(VALU_DEP_2)
	v_add_nc_u32_e32 v7, v9, v7
	v_mul_lo_u32 v9, s0, v3
	v_add_nc_u32_e32 v7, v7, v11
	s_delay_alu instid0(VALU_DEP_2) | instskip(NEXT) | instid1(VALU_DEP_2)
	v_mul_hi_u32 v11, v3, v9
	v_mul_lo_u32 v14, v3, v7
	v_mul_hi_u32 v15, v3, v7
	v_mul_hi_u32 v16, v5, v9
	v_mul_lo_u32 v9, v5, v9
	v_mul_hi_u32 v17, v5, v7
	v_mul_lo_u32 v7, v5, v7
	v_add_co_u32 v11, vcc_lo, v11, v14
	v_add_co_ci_u32_e32 v14, vcc_lo, 0, v15, vcc_lo
	s_delay_alu instid0(VALU_DEP_2) | instskip(NEXT) | instid1(VALU_DEP_2)
	v_add_co_u32 v9, vcc_lo, v11, v9
	v_add_co_ci_u32_e32 v9, vcc_lo, v14, v16, vcc_lo
	v_add_co_ci_u32_e32 v11, vcc_lo, 0, v17, vcc_lo
	v_ashrrev_i32_e32 v17, 31, v13
	s_delay_alu instid0(VALU_DEP_3) | instskip(NEXT) | instid1(VALU_DEP_3)
	v_add_co_u32 v7, vcc_lo, v9, v7
	v_add_co_ci_u32_e32 v9, vcc_lo, 0, v11, vcc_lo
	s_delay_alu instid0(VALU_DEP_2) | instskip(NEXT) | instid1(VALU_DEP_2)
	v_add_co_u32 v3, vcc_lo, v3, v7
	v_add_co_ci_u32_e32 v5, vcc_lo, v5, v9, vcc_lo
	s_delay_alu instid0(VALU_DEP_2) | instskip(SKIP_1) | instid1(VALU_DEP_3)
	v_mul_hi_u32 v7, s0, v3
	v_mul_lo_u32 v11, s50, v3
	v_mul_lo_u32 v9, s0, v5
	s_delay_alu instid0(VALU_DEP_1) | instskip(SKIP_1) | instid1(VALU_DEP_2)
	v_add_nc_u32_e32 v7, v7, v9
	v_mul_lo_u32 v9, s0, v3
	v_add_nc_u32_e32 v7, v7, v11
	s_delay_alu instid0(VALU_DEP_2) | instskip(NEXT) | instid1(VALU_DEP_2)
	v_mul_hi_u32 v11, v3, v9
	v_mul_lo_u32 v14, v3, v7
	v_mul_hi_u32 v15, v3, v7
	v_mul_hi_u32 v16, v5, v9
	v_mul_lo_u32 v9, v5, v9
	v_mul_hi_u32 v21, v5, v7
	v_mul_lo_u32 v7, v5, v7
	v_add_co_u32 v11, vcc_lo, v11, v14
	v_add_co_ci_u32_e32 v14, vcc_lo, 0, v15, vcc_lo
	s_delay_alu instid0(VALU_DEP_2) | instskip(NEXT) | instid1(VALU_DEP_2)
	v_add_co_u32 v9, vcc_lo, v11, v9
	v_add_co_ci_u32_e32 v9, vcc_lo, v14, v16, vcc_lo
	v_add_co_ci_u32_e32 v11, vcc_lo, 0, v21, vcc_lo
	v_add_co_u32 v14, vcc_lo, v12, v17
	v_add_co_ci_u32_e32 v13, vcc_lo, v13, v17, vcc_lo
	s_delay_alu instid0(VALU_DEP_4) | instskip(NEXT) | instid1(VALU_DEP_4)
	v_add_co_u32 v7, vcc_lo, v9, v7
	v_add_co_ci_u32_e32 v9, vcc_lo, 0, v11, vcc_lo
	s_delay_alu instid0(VALU_DEP_4) | instskip(NEXT) | instid1(VALU_DEP_3)
	v_xor_b32_e32 v11, v14, v17
	v_add_co_u32 v3, vcc_lo, v3, v7
	s_delay_alu instid0(VALU_DEP_3) | instskip(SKIP_1) | instid1(VALU_DEP_3)
	v_add_co_ci_u32_e32 v5, vcc_lo, v5, v9, vcc_lo
	v_xor_b32_e32 v7, v13, v17
	v_mul_hi_u32 v9, v11, v3
	s_delay_alu instid0(VALU_DEP_3) | instskip(NEXT) | instid1(VALU_DEP_3)
	v_mad_u64_u32 v[13:14], null, v11, v5, 0
	v_mad_u64_u32 v[15:16], null, v7, v3, 0
	;; [unrolled: 1-line block ×3, first 2 shown]
	s_delay_alu instid0(VALU_DEP_3) | instskip(NEXT) | instid1(VALU_DEP_4)
	v_add_co_u32 v3, vcc_lo, v9, v13
	v_add_co_ci_u32_e32 v5, vcc_lo, 0, v14, vcc_lo
	s_delay_alu instid0(VALU_DEP_2) | instskip(NEXT) | instid1(VALU_DEP_2)
	v_add_co_u32 v3, vcc_lo, v3, v15
	v_add_co_ci_u32_e32 v3, vcc_lo, v5, v16, vcc_lo
	v_add_co_ci_u32_e32 v5, vcc_lo, 0, v22, vcc_lo
	s_delay_alu instid0(VALU_DEP_2) | instskip(NEXT) | instid1(VALU_DEP_2)
	v_add_co_u32 v3, vcc_lo, v3, v21
	v_add_co_ci_u32_e32 v5, vcc_lo, 0, v5, vcc_lo
	s_delay_alu instid0(VALU_DEP_2) | instskip(SKIP_1) | instid1(VALU_DEP_3)
	v_mul_lo_u32 v9, s29, v3
	v_mad_u64_u32 v[13:14], null, s28, v3, 0
	v_mul_lo_u32 v15, s28, v5
	s_delay_alu instid0(VALU_DEP_2) | instskip(NEXT) | instid1(VALU_DEP_2)
	v_sub_co_u32 v11, vcc_lo, v11, v13
	v_add3_u32 v9, v14, v15, v9
	s_delay_alu instid0(VALU_DEP_1) | instskip(NEXT) | instid1(VALU_DEP_1)
	v_sub_nc_u32_e32 v14, v7, v9
	v_subrev_co_ci_u32_e64 v13, s0, s29, v14, vcc_lo
	v_add_co_u32 v14, s0, v3, 2
	s_delay_alu instid0(VALU_DEP_1) | instskip(SKIP_3) | instid1(VALU_DEP_3)
	v_add_co_ci_u32_e64 v15, s0, 0, v5, s0
	v_sub_co_u32 v16, s0, v11, s28
	v_sub_co_ci_u32_e32 v7, vcc_lo, v7, v9, vcc_lo
	v_subrev_co_ci_u32_e64 v13, s0, 0, v13, s0
	v_cmp_le_u32_e32 vcc_lo, s28, v16
	s_delay_alu instid0(VALU_DEP_3) | instskip(SKIP_1) | instid1(VALU_DEP_4)
	v_cmp_eq_u32_e64 s0, s29, v7
	v_cndmask_b32_e64 v9, 0, -1, vcc_lo
	v_cmp_le_u32_e32 vcc_lo, s29, v13
	v_cndmask_b32_e64 v16, 0, -1, vcc_lo
	v_cmp_le_u32_e32 vcc_lo, s28, v11
	;; [unrolled: 2-line block ×3, first 2 shown]
	v_cndmask_b32_e64 v21, 0, -1, vcc_lo
	v_cmp_eq_u32_e32 vcc_lo, s29, v13
	s_delay_alu instid0(VALU_DEP_2) | instskip(SKIP_3) | instid1(VALU_DEP_3)
	v_cndmask_b32_e64 v7, v21, v11, s0
	v_cndmask_b32_e32 v9, v16, v9, vcc_lo
	v_add_co_u32 v13, vcc_lo, v3, 1
	v_add_co_ci_u32_e32 v16, vcc_lo, 0, v5, vcc_lo
	v_cmp_ne_u32_e32 vcc_lo, 0, v9
	s_delay_alu instid0(VALU_DEP_2) | instskip(NEXT) | instid1(VALU_DEP_4)
	v_cndmask_b32_e32 v9, v16, v15, vcc_lo
	v_cndmask_b32_e32 v11, v13, v14, vcc_lo
	v_cmp_ne_u32_e32 vcc_lo, 0, v7
	v_xor_b32_e32 v7, s22, v17
	s_delay_alu instid0(VALU_DEP_3) | instskip(SKIP_2) | instid1(VALU_DEP_3)
	v_cndmask_b32_e32 v3, v3, v11, vcc_lo
	v_cndmask_b32_e32 v5, v5, v9, vcc_lo
	v_xor_b32_e32 v9, s23, v17
	v_xor_b32_e32 v3, v3, v7
	s_delay_alu instid0(VALU_DEP_2) | instskip(NEXT) | instid1(VALU_DEP_2)
	v_xor_b32_e32 v5, v5, v9
	v_sub_co_u32 v14, vcc_lo, v3, v7
	s_delay_alu instid0(VALU_DEP_2)
	v_sub_co_ci_u32_e32 v15, vcc_lo, v5, v9, vcc_lo
.LBB33_32:                              ;   in Loop: Header=BB33_22 Depth=2
	s_and_not1_saveexec_b32 s0, s49
	s_cbranch_execz .LBB33_34
; %bb.33:                               ;   in Loop: Header=BB33_22 Depth=2
	v_cvt_f32_u32_e32 v3, s48
	s_sub_i32 s22, 0, s48
	v_mov_b32_e32 v15, v2
	s_delay_alu instid0(VALU_DEP_2) | instskip(SKIP_2) | instid1(VALU_DEP_1)
	v_rcp_iflag_f32_e32 v3, v3
	s_waitcnt_depctr 0xfff
	v_mul_f32_e32 v3, 0x4f7ffffe, v3
	v_cvt_u32_f32_e32 v3, v3
	s_delay_alu instid0(VALU_DEP_1) | instskip(NEXT) | instid1(VALU_DEP_1)
	v_mul_lo_u32 v5, s22, v3
	v_mul_hi_u32 v5, v3, v5
	s_delay_alu instid0(VALU_DEP_1) | instskip(NEXT) | instid1(VALU_DEP_1)
	v_add_nc_u32_e32 v3, v3, v5
	v_mul_hi_u32 v3, v12, v3
	s_delay_alu instid0(VALU_DEP_1) | instskip(SKIP_1) | instid1(VALU_DEP_2)
	v_mul_lo_u32 v5, v3, s48
	v_add_nc_u32_e32 v7, 1, v3
	v_sub_nc_u32_e32 v5, v12, v5
	s_delay_alu instid0(VALU_DEP_1) | instskip(SKIP_1) | instid1(VALU_DEP_4)
	v_cmp_le_u32_e32 vcc_lo, s48, v5
	v_subrev_nc_u32_e32 v9, s48, v5
	v_cndmask_b32_e32 v3, v3, v7, vcc_lo
	s_delay_alu instid0(VALU_DEP_1) | instskip(NEXT) | instid1(VALU_DEP_3)
	v_add_nc_u32_e32 v7, 1, v3
	v_cndmask_b32_e32 v5, v5, v9, vcc_lo
	s_delay_alu instid0(VALU_DEP_1) | instskip(NEXT) | instid1(VALU_DEP_3)
	v_cmp_le_u32_e32 vcc_lo, s48, v5
	v_cndmask_b32_e32 v14, v3, v7, vcc_lo
.LBB33_34:                              ;   in Loop: Header=BB33_22 Depth=2
	s_or_b32 exec_lo, exec_lo, s0
	s_add_u32 s28, s36, s24
	s_addc_u32 s29, s37, s25
	s_add_i32 s22, s16, -3
	s_mov_b32 s23, s17
                                        ; implicit-def: $vgpr16_vgpr17
	s_delay_alu instid0(SALU_CYCLE_1) | instskip(NEXT) | instid1(SALU_CYCLE_1)
	s_lshl_b64 s[24:25], s[22:23], 2
	s_add_u32 s22, s31, s24
	s_addc_u32 s23, s33, s25
	s_clause 0x2
	s_load_b32 s51, s[22:23], 0x8
	s_load_b32 s49, s[26:27], 0x6c
	;; [unrolled: 1-line block ×3, first 2 shown]
	s_mov_b32 s26, exec_lo
	s_waitcnt lgkmcnt(0)
	s_ashr_i32 s0, s51, 31
	s_delay_alu instid0(SALU_CYCLE_1) | instskip(NEXT) | instid1(VALU_DEP_1)
	v_or_b32_e32 v3, s0, v15
	v_cmpx_ne_u64_e32 0, v[2:3]
	s_xor_b32 s52, exec_lo, s26
	s_cbranch_execz .LBB33_36
; %bb.35:                               ;   in Loop: Header=BB33_22 Depth=2
	s_add_u32 s28, s51, s0
	s_mov_b32 s26, s0
	s_mov_b32 s27, s0
	s_addc_u32 s29, s0, s0
	s_delay_alu instid0(SALU_CYCLE_1) | instskip(NEXT) | instid1(SALU_CYCLE_1)
	s_xor_b64 s[28:29], s[28:29], s[26:27]
	v_cvt_f32_u32_e32 v3, s28
	v_cvt_f32_u32_e32 v5, s29
	s_sub_u32 s0, 0, s28
	s_subb_u32 s53, 0, s29
	s_delay_alu instid0(VALU_DEP_1) | instskip(NEXT) | instid1(VALU_DEP_1)
	v_fmac_f32_e32 v3, 0x4f800000, v5
	v_rcp_f32_e32 v3, v3
	s_waitcnt_depctr 0xfff
	v_mul_f32_e32 v3, 0x5f7ffffc, v3
	s_delay_alu instid0(VALU_DEP_1) | instskip(NEXT) | instid1(VALU_DEP_1)
	v_mul_f32_e32 v5, 0x2f800000, v3
	v_trunc_f32_e32 v5, v5
	s_delay_alu instid0(VALU_DEP_1) | instskip(SKIP_1) | instid1(VALU_DEP_2)
	v_fmac_f32_e32 v3, 0xcf800000, v5
	v_cvt_u32_f32_e32 v5, v5
	v_cvt_u32_f32_e32 v3, v3
	s_delay_alu instid0(VALU_DEP_2) | instskip(NEXT) | instid1(VALU_DEP_2)
	v_mul_lo_u32 v7, s0, v5
	v_mul_hi_u32 v9, s0, v3
	v_mul_lo_u32 v11, s53, v3
	s_delay_alu instid0(VALU_DEP_2) | instskip(SKIP_1) | instid1(VALU_DEP_2)
	v_add_nc_u32_e32 v7, v9, v7
	v_mul_lo_u32 v9, s0, v3
	v_add_nc_u32_e32 v7, v7, v11
	s_delay_alu instid0(VALU_DEP_2) | instskip(NEXT) | instid1(VALU_DEP_2)
	v_mul_hi_u32 v11, v3, v9
	v_mul_lo_u32 v13, v3, v7
	v_mul_hi_u32 v16, v3, v7
	v_mul_hi_u32 v17, v5, v9
	v_mul_lo_u32 v9, v5, v9
	v_mul_hi_u32 v21, v5, v7
	v_mul_lo_u32 v7, v5, v7
	v_add_co_u32 v11, vcc_lo, v11, v13
	v_add_co_ci_u32_e32 v13, vcc_lo, 0, v16, vcc_lo
	s_delay_alu instid0(VALU_DEP_2) | instskip(NEXT) | instid1(VALU_DEP_2)
	v_add_co_u32 v9, vcc_lo, v11, v9
	v_add_co_ci_u32_e32 v9, vcc_lo, v13, v17, vcc_lo
	v_add_co_ci_u32_e32 v11, vcc_lo, 0, v21, vcc_lo
	v_ashrrev_i32_e32 v17, 31, v15
	s_delay_alu instid0(VALU_DEP_3) | instskip(NEXT) | instid1(VALU_DEP_3)
	v_add_co_u32 v7, vcc_lo, v9, v7
	v_add_co_ci_u32_e32 v9, vcc_lo, 0, v11, vcc_lo
	s_delay_alu instid0(VALU_DEP_2) | instskip(NEXT) | instid1(VALU_DEP_2)
	v_add_co_u32 v3, vcc_lo, v3, v7
	v_add_co_ci_u32_e32 v5, vcc_lo, v5, v9, vcc_lo
	s_delay_alu instid0(VALU_DEP_2) | instskip(SKIP_1) | instid1(VALU_DEP_3)
	v_mul_hi_u32 v7, s0, v3
	v_mul_lo_u32 v11, s53, v3
	v_mul_lo_u32 v9, s0, v5
	s_delay_alu instid0(VALU_DEP_1) | instskip(SKIP_1) | instid1(VALU_DEP_2)
	v_add_nc_u32_e32 v7, v7, v9
	v_mul_lo_u32 v9, s0, v3
	v_add_nc_u32_e32 v7, v7, v11
	s_delay_alu instid0(VALU_DEP_2) | instskip(NEXT) | instid1(VALU_DEP_2)
	v_mul_hi_u32 v11, v3, v9
	v_mul_lo_u32 v13, v3, v7
	v_mul_hi_u32 v16, v3, v7
	v_mul_hi_u32 v21, v5, v9
	v_mul_lo_u32 v9, v5, v9
	v_mul_hi_u32 v22, v5, v7
	v_mul_lo_u32 v7, v5, v7
	v_add_co_u32 v11, vcc_lo, v11, v13
	v_add_co_ci_u32_e32 v13, vcc_lo, 0, v16, vcc_lo
	s_delay_alu instid0(VALU_DEP_2) | instskip(NEXT) | instid1(VALU_DEP_2)
	v_add_co_u32 v9, vcc_lo, v11, v9
	v_add_co_ci_u32_e32 v9, vcc_lo, v13, v21, vcc_lo
	v_add_co_ci_u32_e32 v11, vcc_lo, 0, v22, vcc_lo
	v_add_co_u32 v13, vcc_lo, v14, v17
	v_add_co_ci_u32_e32 v15, vcc_lo, v15, v17, vcc_lo
	s_delay_alu instid0(VALU_DEP_4) | instskip(NEXT) | instid1(VALU_DEP_4)
	v_add_co_u32 v7, vcc_lo, v9, v7
	v_add_co_ci_u32_e32 v9, vcc_lo, 0, v11, vcc_lo
	s_delay_alu instid0(VALU_DEP_4) | instskip(NEXT) | instid1(VALU_DEP_3)
	v_xor_b32_e32 v11, v13, v17
	v_add_co_u32 v3, vcc_lo, v3, v7
	s_delay_alu instid0(VALU_DEP_3) | instskip(SKIP_1) | instid1(VALU_DEP_3)
	v_add_co_ci_u32_e32 v5, vcc_lo, v5, v9, vcc_lo
	v_xor_b32_e32 v7, v15, v17
	v_mul_hi_u32 v9, v11, v3
	s_delay_alu instid0(VALU_DEP_3) | instskip(NEXT) | instid1(VALU_DEP_3)
	v_mad_u64_u32 v[15:16], null, v11, v5, 0
	v_mad_u64_u32 v[21:22], null, v7, v3, 0
	;; [unrolled: 1-line block ×3, first 2 shown]
	s_delay_alu instid0(VALU_DEP_3) | instskip(NEXT) | instid1(VALU_DEP_4)
	v_add_co_u32 v3, vcc_lo, v9, v15
	v_add_co_ci_u32_e32 v5, vcc_lo, 0, v16, vcc_lo
	s_delay_alu instid0(VALU_DEP_2) | instskip(NEXT) | instid1(VALU_DEP_2)
	v_add_co_u32 v3, vcc_lo, v3, v21
	v_add_co_ci_u32_e32 v3, vcc_lo, v5, v22, vcc_lo
	v_add_co_ci_u32_e32 v5, vcc_lo, 0, v24, vcc_lo
	s_delay_alu instid0(VALU_DEP_2) | instskip(NEXT) | instid1(VALU_DEP_2)
	v_add_co_u32 v3, vcc_lo, v3, v23
	v_add_co_ci_u32_e32 v5, vcc_lo, 0, v5, vcc_lo
	s_delay_alu instid0(VALU_DEP_2) | instskip(SKIP_1) | instid1(VALU_DEP_3)
	v_mul_lo_u32 v9, s29, v3
	v_mad_u64_u32 v[15:16], null, s28, v3, 0
	v_mul_lo_u32 v13, s28, v5
	s_delay_alu instid0(VALU_DEP_2) | instskip(NEXT) | instid1(VALU_DEP_2)
	v_sub_co_u32 v11, vcc_lo, v11, v15
	v_add3_u32 v9, v16, v13, v9
	s_delay_alu instid0(VALU_DEP_1) | instskip(NEXT) | instid1(VALU_DEP_1)
	v_sub_nc_u32_e32 v13, v7, v9
	v_subrev_co_ci_u32_e64 v13, s0, s29, v13, vcc_lo
	v_add_co_u32 v15, s0, v3, 2
	s_delay_alu instid0(VALU_DEP_1) | instskip(SKIP_3) | instid1(VALU_DEP_3)
	v_add_co_ci_u32_e64 v16, s0, 0, v5, s0
	v_sub_co_u32 v21, s0, v11, s28
	v_sub_co_ci_u32_e32 v7, vcc_lo, v7, v9, vcc_lo
	v_subrev_co_ci_u32_e64 v13, s0, 0, v13, s0
	v_cmp_le_u32_e32 vcc_lo, s28, v21
	s_delay_alu instid0(VALU_DEP_3) | instskip(SKIP_1) | instid1(VALU_DEP_4)
	v_cmp_eq_u32_e64 s0, s29, v7
	v_cndmask_b32_e64 v9, 0, -1, vcc_lo
	v_cmp_le_u32_e32 vcc_lo, s29, v13
	v_cndmask_b32_e64 v21, 0, -1, vcc_lo
	v_cmp_le_u32_e32 vcc_lo, s28, v11
	;; [unrolled: 2-line block ×3, first 2 shown]
	v_cndmask_b32_e64 v22, 0, -1, vcc_lo
	v_cmp_eq_u32_e32 vcc_lo, s29, v13
	s_delay_alu instid0(VALU_DEP_2) | instskip(SKIP_3) | instid1(VALU_DEP_3)
	v_cndmask_b32_e64 v7, v22, v11, s0
	v_cndmask_b32_e32 v9, v21, v9, vcc_lo
	v_add_co_u32 v13, vcc_lo, v3, 1
	v_add_co_ci_u32_e32 v21, vcc_lo, 0, v5, vcc_lo
	v_cmp_ne_u32_e32 vcc_lo, 0, v9
	s_delay_alu instid0(VALU_DEP_2) | instskip(NEXT) | instid1(VALU_DEP_4)
	v_cndmask_b32_e32 v9, v21, v16, vcc_lo
	v_cndmask_b32_e32 v11, v13, v15, vcc_lo
	v_cmp_ne_u32_e32 vcc_lo, 0, v7
	v_xor_b32_e32 v7, s26, v17
	s_delay_alu instid0(VALU_DEP_3) | instskip(SKIP_2) | instid1(VALU_DEP_3)
	v_cndmask_b32_e32 v3, v3, v11, vcc_lo
	v_cndmask_b32_e32 v5, v5, v9, vcc_lo
	v_xor_b32_e32 v9, s27, v17
	v_xor_b32_e32 v3, v3, v7
	s_delay_alu instid0(VALU_DEP_2) | instskip(NEXT) | instid1(VALU_DEP_2)
	v_xor_b32_e32 v5, v5, v9
	v_sub_co_u32 v16, vcc_lo, v3, v7
	s_delay_alu instid0(VALU_DEP_2)
	v_sub_co_ci_u32_e32 v17, vcc_lo, v5, v9, vcc_lo
.LBB33_36:                              ;   in Loop: Header=BB33_22 Depth=2
	s_and_not1_saveexec_b32 s0, s52
	s_cbranch_execz .LBB33_38
; %bb.37:                               ;   in Loop: Header=BB33_22 Depth=2
	v_cvt_f32_u32_e32 v3, s51
	s_sub_i32 s26, 0, s51
	v_mov_b32_e32 v17, v2
	s_delay_alu instid0(VALU_DEP_2) | instskip(SKIP_2) | instid1(VALU_DEP_1)
	v_rcp_iflag_f32_e32 v3, v3
	s_waitcnt_depctr 0xfff
	v_mul_f32_e32 v3, 0x4f7ffffe, v3
	v_cvt_u32_f32_e32 v3, v3
	s_delay_alu instid0(VALU_DEP_1) | instskip(NEXT) | instid1(VALU_DEP_1)
	v_mul_lo_u32 v5, s26, v3
	v_mul_hi_u32 v5, v3, v5
	s_delay_alu instid0(VALU_DEP_1) | instskip(NEXT) | instid1(VALU_DEP_1)
	v_add_nc_u32_e32 v3, v3, v5
	v_mul_hi_u32 v3, v14, v3
	s_delay_alu instid0(VALU_DEP_1) | instskip(SKIP_1) | instid1(VALU_DEP_2)
	v_mul_lo_u32 v5, v3, s51
	v_add_nc_u32_e32 v7, 1, v3
	v_sub_nc_u32_e32 v5, v14, v5
	s_delay_alu instid0(VALU_DEP_1) | instskip(SKIP_1) | instid1(VALU_DEP_4)
	v_cmp_le_u32_e32 vcc_lo, s51, v5
	v_subrev_nc_u32_e32 v9, s51, v5
	v_cndmask_b32_e32 v3, v3, v7, vcc_lo
	s_delay_alu instid0(VALU_DEP_1) | instskip(NEXT) | instid1(VALU_DEP_3)
	v_add_nc_u32_e32 v7, 1, v3
	v_cndmask_b32_e32 v5, v5, v9, vcc_lo
	s_delay_alu instid0(VALU_DEP_1) | instskip(NEXT) | instid1(VALU_DEP_3)
	v_cmp_le_u32_e32 vcc_lo, s51, v5
	v_cndmask_b32_e32 v16, v3, v7, vcc_lo
.LBB33_38:                              ;   in Loop: Header=BB33_22 Depth=2
	s_or_b32 exec_lo, exec_lo, s0
	s_add_u32 s24, s36, s24
	s_addc_u32 s25, s37, s25
	v_mul_lo_u32 v3, v10, s13
	s_clause 0x1
	s_load_b32 s0, s[22:23], 0x6c
	s_load_b32 s13, s[24:25], 0x0
	v_mul_lo_u32 v5, v12, s45
	v_mul_lo_u32 v7, v14, s48
	;; [unrolled: 1-line block ×3, first 2 shown]
	s_add_i32 s16, s16, -4
	s_delay_alu instid0(SALU_CYCLE_1) | instskip(SKIP_1) | instid1(VALU_DEP_4)
	s_cmp_eq_u32 s16, -1
	v_sub_nc_u32_e32 v3, v8, v3
	v_sub_nc_u32_e32 v5, v10, v5
	s_delay_alu instid0(VALU_DEP_4) | instskip(NEXT) | instid1(VALU_DEP_4)
	v_sub_nc_u32_e32 v7, v12, v7
	v_sub_nc_u32_e32 v8, v14, v9
	s_delay_alu instid0(VALU_DEP_4)
	v_mul_lo_u32 v9, s43, v3
	v_mul_lo_u32 v3, s44, v3
	;; [unrolled: 1-line block ×6, first 2 shown]
	s_waitcnt lgkmcnt(0)
	v_mul_lo_u32 v12, s0, v8
	v_mul_lo_u32 v8, s13, v8
	v_add3_u32 v6, v9, v6, v10
	v_add3_u32 v3, v3, v4, v5
	s_delay_alu instid0(VALU_DEP_2) | instskip(NEXT) | instid1(VALU_DEP_2)
	v_add3_u32 v6, v11, v6, v12
	v_add3_u32 v4, v7, v3, v8
	s_cbranch_scc1 .LBB33_40
; %bb.39:                               ;   in Loop: Header=BB33_22 Depth=2
	v_dual_mov_b32 v8, v16 :: v_dual_mov_b32 v9, v17
	s_branch .LBB33_22
.LBB33_40:                              ;   in Loop: Header=BB33_3 Depth=1
	v_sub_nc_u32_e32 v8, v19, v20
	v_dual_mov_b32 v10, 0 :: v_dual_mov_b32 v11, 0
	v_dual_mov_b32 v14, 0 :: v_dual_mov_b32 v15, 0
	s_delay_alu instid0(VALU_DEP_3) | instskip(SKIP_1) | instid1(VALU_DEP_1)
	v_ashrrev_i32_e32 v9, 31, v8
	s_mov_b32 s13, exec_lo
	v_cmpx_ge_i64_e64 s[4:5], v[8:9]
	s_cbranch_execz .LBB33_46
; %bb.41:                               ;   in Loop: Header=BB33_3 Depth=1
	v_dual_mov_b32 v11, 0 :: v_dual_mov_b32 v10, 0
	v_dual_mov_b32 v13, 0 :: v_dual_mov_b32 v12, 0
	s_mov_b32 s0, exec_lo
	v_cmpx_gt_i32_e64 s9, v19
	s_cbranch_execz .LBB33_45
; %bb.42:                               ;   in Loop: Header=BB33_3 Depth=1
	v_ashrrev_i32_e32 v7, 31, v6
	v_dual_mov_b32 v12, 0 :: v_dual_add_nc_u32 v3, 1, v19
	v_mov_b32_e32 v13, 0
	s_mov_b32 s16, exec_lo
	s_delay_alu instid0(VALU_DEP_3) | instskip(NEXT) | instid1(VALU_DEP_1)
	v_lshlrev_b64 v[5:6], 3, v[6:7]
	v_add_co_u32 v5, vcc_lo, s2, v5
	s_delay_alu instid0(VALU_DEP_2)
	v_add_co_ci_u32_e32 v6, vcc_lo, s3, v6, vcc_lo
	global_load_b64 v[10:11], v[5:6], off
	v_cmpx_gt_i32_e64 s9, v3
	s_xor_b32 s16, exec_lo, s16
	s_cbranch_execz .LBB33_44
; %bb.43:                               ;   in Loop: Header=BB33_3 Depth=1
	s_lshl_b64 s[22:23], s[18:19], 3
	s_delay_alu instid0(SALU_CYCLE_1)
	v_add_co_u32 v5, vcc_lo, v5, s22
	v_add_co_ci_u32_e32 v6, vcc_lo, s23, v6, vcc_lo
	global_load_b64 v[12:13], v[5:6], off
.LBB33_44:                              ;   in Loop: Header=BB33_3 Depth=1
	s_or_b32 exec_lo, exec_lo, s16
.LBB33_45:                              ;   in Loop: Header=BB33_3 Depth=1
	s_delay_alu instid0(SALU_CYCLE_1) | instskip(SKIP_2) | instid1(VALU_DEP_2)
	s_or_b32 exec_lo, exec_lo, s0
	v_add_nc_u32_e32 v5, 1, v8
	v_cmp_lt_i64_e32 vcc_lo, s[4:5], v[8:9]
	v_ashrrev_i32_e32 v6, 31, v5
	s_waitcnt vmcnt(0)
	v_cndmask_b32_e64 v14, v10, 0, vcc_lo
	v_cndmask_b32_e64 v15, v11, 0, vcc_lo
	s_delay_alu instid0(VALU_DEP_3) | instskip(NEXT) | instid1(VALU_DEP_1)
	v_cmp_lt_i64_e64 s0, s[4:5], v[5:6]
	v_cndmask_b32_e64 v10, v12, 0, s0
	v_cndmask_b32_e64 v11, v13, 0, s0
.LBB33_46:                              ;   in Loop: Header=BB33_3 Depth=1
	s_or_b32 exec_lo, exec_lo, s13
	s_delay_alu instid0(SALU_CYCLE_1)
	s_mov_b32 s0, exec_lo
	v_cmpx_gt_i32_e64 s9, v19
	s_cbranch_execz .LBB33_2
; %bb.47:                               ;   in Loop: Header=BB33_3 Depth=1
	v_ashrrev_i32_e32 v5, 31, v4
	s_mov_b32 s13, exec_lo
	s_delay_alu instid0(VALU_DEP_1) | instskip(SKIP_1) | instid1(VALU_DEP_2)
	v_lshlrev_b64 v[3:4], 3, v[4:5]
	v_add_nc_u32_e32 v5, 1, v19
	v_add_co_u32 v3, vcc_lo, s14, v3
	s_delay_alu instid0(VALU_DEP_3)
	v_add_co_ci_u32_e32 v4, vcc_lo, s15, v4, vcc_lo
	global_store_b64 v[3:4], v[14:15], off
	v_cmpx_gt_i32_e64 s9, v5
	s_xor_b32 s13, exec_lo, s13
	s_cbranch_execz .LBB33_2
; %bb.48:                               ;   in Loop: Header=BB33_3 Depth=1
	s_lshl_b64 s[22:23], s[20:21], 3
	s_delay_alu instid0(SALU_CYCLE_1)
	v_add_co_u32 v3, vcc_lo, v3, s22
	v_add_co_ci_u32_e32 v4, vcc_lo, s23, v4, vcc_lo
	global_store_b64 v[3:4], v[10:11], off
	s_branch .LBB33_2
.LBB33_49:
	s_nop 0
	s_sendmsg sendmsg(MSG_DEALLOC_VGPRS)
	s_endpgm
	.section	.rodata,"a",@progbits
	.p2align	6, 0x0
	.amdhsa_kernel _ZN2at6native16triu_tril_kernelIN3c107complexIfEEiLb0ELi2ELb0EEEvNS_4cuda6detail10TensorInfoIT_T0_EENS7_IKS8_S9_EEllS9_
		.amdhsa_group_segment_fixed_size 0
		.amdhsa_private_segment_fixed_size 0
		.amdhsa_kernarg_size 712
		.amdhsa_user_sgpr_count 15
		.amdhsa_user_sgpr_dispatch_ptr 0
		.amdhsa_user_sgpr_queue_ptr 0
		.amdhsa_user_sgpr_kernarg_segment_ptr 1
		.amdhsa_user_sgpr_dispatch_id 0
		.amdhsa_user_sgpr_private_segment_size 0
		.amdhsa_wavefront_size32 1
		.amdhsa_uses_dynamic_stack 0
		.amdhsa_enable_private_segment 0
		.amdhsa_system_sgpr_workgroup_id_x 1
		.amdhsa_system_sgpr_workgroup_id_y 0
		.amdhsa_system_sgpr_workgroup_id_z 0
		.amdhsa_system_sgpr_workgroup_info 0
		.amdhsa_system_vgpr_workitem_id 0
		.amdhsa_next_free_vgpr 25
		.amdhsa_next_free_sgpr 54
		.amdhsa_reserve_vcc 1
		.amdhsa_float_round_mode_32 0
		.amdhsa_float_round_mode_16_64 0
		.amdhsa_float_denorm_mode_32 3
		.amdhsa_float_denorm_mode_16_64 3
		.amdhsa_dx10_clamp 1
		.amdhsa_ieee_mode 1
		.amdhsa_fp16_overflow 0
		.amdhsa_workgroup_processor_mode 1
		.amdhsa_memory_ordered 1
		.amdhsa_forward_progress 0
		.amdhsa_shared_vgpr_count 0
		.amdhsa_exception_fp_ieee_invalid_op 0
		.amdhsa_exception_fp_denorm_src 0
		.amdhsa_exception_fp_ieee_div_zero 0
		.amdhsa_exception_fp_ieee_overflow 0
		.amdhsa_exception_fp_ieee_underflow 0
		.amdhsa_exception_fp_ieee_inexact 0
		.amdhsa_exception_int_div_zero 0
	.end_amdhsa_kernel
	.section	.text._ZN2at6native16triu_tril_kernelIN3c107complexIfEEiLb0ELi2ELb0EEEvNS_4cuda6detail10TensorInfoIT_T0_EENS7_IKS8_S9_EEllS9_,"axG",@progbits,_ZN2at6native16triu_tril_kernelIN3c107complexIfEEiLb0ELi2ELb0EEEvNS_4cuda6detail10TensorInfoIT_T0_EENS7_IKS8_S9_EEllS9_,comdat
.Lfunc_end33:
	.size	_ZN2at6native16triu_tril_kernelIN3c107complexIfEEiLb0ELi2ELb0EEEvNS_4cuda6detail10TensorInfoIT_T0_EENS7_IKS8_S9_EEllS9_, .Lfunc_end33-_ZN2at6native16triu_tril_kernelIN3c107complexIfEEiLb0ELi2ELb0EEEvNS_4cuda6detail10TensorInfoIT_T0_EENS7_IKS8_S9_EEllS9_
                                        ; -- End function
	.section	.AMDGPU.csdata,"",@progbits
; Kernel info:
; codeLenInByte = 8388
; NumSgprs: 56
; NumVgprs: 25
; ScratchSize: 0
; MemoryBound: 0
; FloatMode: 240
; IeeeMode: 1
; LDSByteSize: 0 bytes/workgroup (compile time only)
; SGPRBlocks: 6
; VGPRBlocks: 3
; NumSGPRsForWavesPerEU: 56
; NumVGPRsForWavesPerEU: 25
; Occupancy: 16
; WaveLimiterHint : 0
; COMPUTE_PGM_RSRC2:SCRATCH_EN: 0
; COMPUTE_PGM_RSRC2:USER_SGPR: 15
; COMPUTE_PGM_RSRC2:TRAP_HANDLER: 0
; COMPUTE_PGM_RSRC2:TGID_X_EN: 1
; COMPUTE_PGM_RSRC2:TGID_Y_EN: 0
; COMPUTE_PGM_RSRC2:TGID_Z_EN: 0
; COMPUTE_PGM_RSRC2:TIDIG_COMP_CNT: 0
	.section	.text._ZN2at6native16triu_tril_kernelIN3c107complexIfEElLb0ELi2ELb1EEEvNS_4cuda6detail10TensorInfoIT_T0_EENS7_IKS8_S9_EEllS9_,"axG",@progbits,_ZN2at6native16triu_tril_kernelIN3c107complexIfEElLb0ELi2ELb1EEEvNS_4cuda6detail10TensorInfoIT_T0_EENS7_IKS8_S9_EEllS9_,comdat
	.protected	_ZN2at6native16triu_tril_kernelIN3c107complexIfEElLb0ELi2ELb1EEEvNS_4cuda6detail10TensorInfoIT_T0_EENS7_IKS8_S9_EEllS9_ ; -- Begin function _ZN2at6native16triu_tril_kernelIN3c107complexIfEElLb0ELi2ELb1EEEvNS_4cuda6detail10TensorInfoIT_T0_EENS7_IKS8_S9_EEllS9_
	.globl	_ZN2at6native16triu_tril_kernelIN3c107complexIfEElLb0ELi2ELb1EEEvNS_4cuda6detail10TensorInfoIT_T0_EENS7_IKS8_S9_EEllS9_
	.p2align	8
	.type	_ZN2at6native16triu_tril_kernelIN3c107complexIfEElLb0ELi2ELb1EEEvNS_4cuda6detail10TensorInfoIT_T0_EENS7_IKS8_S9_EEllS9_,@function
_ZN2at6native16triu_tril_kernelIN3c107complexIfEElLb0ELi2ELb1EEEvNS_4cuda6detail10TensorInfoIT_T0_EENS7_IKS8_S9_EEllS9_: ; @_ZN2at6native16triu_tril_kernelIN3c107complexIfEElLb0ELi2ELb1EEEvNS_4cuda6detail10TensorInfoIT_T0_EENS7_IKS8_S9_EEllS9_
; %bb.0:
	s_clause 0x1
	s_load_b32 s2, s[0:1], 0x364
	s_load_b128 s[4:7], s[0:1], 0x340
	v_mov_b32_e32 v2, 0
	s_add_u32 s8, s0, 0x358
	s_addc_u32 s9, s1, 0
	s_delay_alu instid0(VALU_DEP_1) | instskip(SKIP_3) | instid1(VALU_DEP_1)
	v_mov_b32_e32 v1, v2
	s_waitcnt lgkmcnt(0)
	s_and_b32 s10, s2, 0xffff
	s_mov_b32 s2, exec_lo
	v_mad_u64_u32 v[3:4], null, s10, s15, v[0:1]
	s_delay_alu instid0(VALU_DEP_1) | instskip(NEXT) | instid1(VALU_DEP_1)
	v_lshlrev_b64 v[0:1], 1, v[3:4]
	v_cmpx_gt_i64_e64 s[6:7], v[0:1]
	s_cbranch_execz .LBB34_23
; %bb.1:
	s_clause 0x1
	s_load_b32 s24, s[0:1], 0x338
	s_load_b64 s[2:3], s[0:1], 0x350
	s_load_b32 s11, s[8:9], 0x0
	s_load_b64 s[8:9], s[0:1], 0x0
	s_mov_b32 s44, 0
	s_waitcnt lgkmcnt(0)
	s_ashr_i32 s25, s24, 31
	s_add_u32 s26, s0, 0x1a8
	s_addc_u32 s27, s1, 0
	s_lshl_b64 s[12:13], s[24:25], 3
	v_cvt_f32_u32_e32 v3, s2
	s_add_u32 s14, s12, -16
	s_addc_u32 s15, s13, -1
	s_add_u32 s22, s26, s14
	s_addc_u32 s23, s27, s15
	v_rcp_iflag_f32_e32 v3, v3
	s_add_u32 s17, s12, -8
	s_addc_u32 s18, s13, -1
	s_add_u32 s0, s0, 0xd0
	s_addc_u32 s28, s1, 0
	s_mul_i32 s16, s11, s10
	s_add_u32 s10, s0, s17
	s_addc_u32 s11, s28, s18
	s_add_u32 s12, s0, s14
	s_addc_u32 s13, s28, s15
	s_add_i32 s20, s24, -3
	s_waitcnt_depctr 0xfff
	v_mul_f32_e32 v3, 0x4f7ffffe, v3
	s_ashr_i32 s21, s20, 31
	s_add_u32 s14, s26, s17
	s_addc_u32 s15, s27, s18
	s_lshl_b64 s[18:19], s[20:21], 3
	s_lshl_b32 s1, s16, 1
	s_add_u32 s16, s0, s18
	s_addc_u32 s17, s28, s19
	v_cvt_u32_f32_e32 v3, v3
	s_add_u32 s18, s26, s18
	s_addc_u32 s19, s27, s19
	s_add_u32 s20, s20, 1
	s_addc_u32 s21, s21, 0
	s_sub_i32 s0, 0, s2
	s_load_b64 s[22:23], s[22:23], 0x0
	v_mul_lo_u32 v4, s0, v3
	v_cmp_gt_i64_e64 s33, s[24:25], 2
	s_ashr_i32 s24, s3, 31
	s_delay_alu instid0(VALU_DEP_2) | instskip(NEXT) | instid1(VALU_DEP_1)
	v_mul_hi_u32 v4, v3, v4
	v_add_nc_u32_e32 v16, v3, v4
	s_waitcnt lgkmcnt(0)
	s_ashr_i32 s26, s23, 31
	s_branch .LBB34_3
.LBB34_2:                               ;   in Loop: Header=BB34_3 Depth=1
	s_or_b32 exec_lo, exec_lo, s25
	v_add_co_u32 v0, vcc_lo, v0, s1
	v_add_co_ci_u32_e32 v1, vcc_lo, 0, v1, vcc_lo
	s_delay_alu instid0(VALU_DEP_1) | instskip(SKIP_1) | instid1(SALU_CYCLE_1)
	v_cmp_le_i64_e32 vcc_lo, s[6:7], v[0:1]
	s_or_b32 s44, vcc_lo, s44
	s_and_not1_b32 exec_lo, exec_lo, s44
	s_cbranch_execz .LBB34_23
.LBB34_3:                               ; =>This Loop Header: Depth=1
                                        ;     Child Loop BB34_19 Depth 2
	v_or_b32_e32 v3, s3, v1
                                        ; implicit-def: $vgpr6_vgpr7
	s_mov_b32 s0, exec_lo
	s_delay_alu instid0(VALU_DEP_1)
	v_cmpx_ne_u64_e32 0, v[2:3]
	s_xor_b32 s27, exec_lo, s0
	s_cbranch_execz .LBB34_5
; %bb.4:                                ;   in Loop: Header=BB34_3 Depth=1
	s_add_u32 s28, s2, s24
	s_mov_b32 s25, s24
	s_addc_u32 s29, s3, s24
	s_delay_alu instid0(SALU_CYCLE_1) | instskip(NEXT) | instid1(SALU_CYCLE_1)
	s_xor_b64 s[28:29], s[28:29], s[24:25]
	v_cvt_f32_u32_e32 v3, s28
	v_cvt_f32_u32_e32 v4, s29
	s_sub_u32 s0, 0, s28
	s_subb_u32 s25, 0, s29
	s_delay_alu instid0(VALU_DEP_1) | instskip(NEXT) | instid1(VALU_DEP_1)
	v_fmac_f32_e32 v3, 0x4f800000, v4
	v_rcp_f32_e32 v3, v3
	s_waitcnt_depctr 0xfff
	v_mul_f32_e32 v3, 0x5f7ffffc, v3
	s_delay_alu instid0(VALU_DEP_1) | instskip(NEXT) | instid1(VALU_DEP_1)
	v_mul_f32_e32 v4, 0x2f800000, v3
	v_trunc_f32_e32 v4, v4
	s_delay_alu instid0(VALU_DEP_1) | instskip(SKIP_1) | instid1(VALU_DEP_2)
	v_fmac_f32_e32 v3, 0xcf800000, v4
	v_cvt_u32_f32_e32 v4, v4
	v_cvt_u32_f32_e32 v3, v3
	s_delay_alu instid0(VALU_DEP_2) | instskip(NEXT) | instid1(VALU_DEP_2)
	v_mul_lo_u32 v5, s0, v4
	v_mul_hi_u32 v6, s0, v3
	v_mul_lo_u32 v7, s25, v3
	s_delay_alu instid0(VALU_DEP_2) | instskip(SKIP_1) | instid1(VALU_DEP_2)
	v_add_nc_u32_e32 v5, v6, v5
	v_mul_lo_u32 v6, s0, v3
	v_add_nc_u32_e32 v5, v5, v7
	s_delay_alu instid0(VALU_DEP_2) | instskip(NEXT) | instid1(VALU_DEP_2)
	v_mul_hi_u32 v7, v3, v6
	v_mul_lo_u32 v8, v3, v5
	v_mul_hi_u32 v9, v3, v5
	v_mul_hi_u32 v10, v4, v6
	v_mul_lo_u32 v6, v4, v6
	v_mul_hi_u32 v11, v4, v5
	v_mul_lo_u32 v5, v4, v5
	v_add_co_u32 v7, vcc_lo, v7, v8
	v_add_co_ci_u32_e32 v8, vcc_lo, 0, v9, vcc_lo
	s_delay_alu instid0(VALU_DEP_2) | instskip(NEXT) | instid1(VALU_DEP_2)
	v_add_co_u32 v6, vcc_lo, v7, v6
	v_add_co_ci_u32_e32 v6, vcc_lo, v8, v10, vcc_lo
	v_add_co_ci_u32_e32 v7, vcc_lo, 0, v11, vcc_lo
	v_ashrrev_i32_e32 v10, 31, v1
	s_delay_alu instid0(VALU_DEP_3) | instskip(NEXT) | instid1(VALU_DEP_3)
	v_add_co_u32 v5, vcc_lo, v6, v5
	v_add_co_ci_u32_e32 v6, vcc_lo, 0, v7, vcc_lo
	s_delay_alu instid0(VALU_DEP_2) | instskip(NEXT) | instid1(VALU_DEP_2)
	v_add_co_u32 v3, vcc_lo, v3, v5
	v_add_co_ci_u32_e32 v4, vcc_lo, v4, v6, vcc_lo
	s_delay_alu instid0(VALU_DEP_2) | instskip(SKIP_1) | instid1(VALU_DEP_3)
	v_mul_hi_u32 v5, s0, v3
	v_mul_lo_u32 v7, s25, v3
	v_mul_lo_u32 v6, s0, v4
	s_delay_alu instid0(VALU_DEP_1) | instskip(SKIP_1) | instid1(VALU_DEP_2)
	v_add_nc_u32_e32 v5, v5, v6
	v_mul_lo_u32 v6, s0, v3
	v_add_nc_u32_e32 v5, v5, v7
	s_delay_alu instid0(VALU_DEP_2) | instskip(NEXT) | instid1(VALU_DEP_2)
	v_mul_hi_u32 v7, v3, v6
	v_mul_lo_u32 v8, v3, v5
	v_mul_hi_u32 v9, v3, v5
	v_mul_hi_u32 v11, v4, v6
	v_mul_lo_u32 v6, v4, v6
	v_mul_hi_u32 v12, v4, v5
	v_mul_lo_u32 v5, v4, v5
	v_add_co_u32 v7, vcc_lo, v7, v8
	v_add_co_ci_u32_e32 v8, vcc_lo, 0, v9, vcc_lo
	s_delay_alu instid0(VALU_DEP_2) | instskip(NEXT) | instid1(VALU_DEP_2)
	v_add_co_u32 v6, vcc_lo, v7, v6
	v_add_co_ci_u32_e32 v6, vcc_lo, v8, v11, vcc_lo
	v_add_co_ci_u32_e32 v7, vcc_lo, 0, v12, vcc_lo
	v_add_co_u32 v8, vcc_lo, v0, v10
	v_add_co_ci_u32_e32 v9, vcc_lo, v1, v10, vcc_lo
	s_delay_alu instid0(VALU_DEP_4) | instskip(NEXT) | instid1(VALU_DEP_4)
	v_add_co_u32 v5, vcc_lo, v6, v5
	v_add_co_ci_u32_e32 v6, vcc_lo, 0, v7, vcc_lo
	s_delay_alu instid0(VALU_DEP_4) | instskip(NEXT) | instid1(VALU_DEP_3)
	v_xor_b32_e32 v11, v8, v10
	v_add_co_u32 v7, vcc_lo, v3, v5
	s_delay_alu instid0(VALU_DEP_3) | instskip(SKIP_1) | instid1(VALU_DEP_3)
	v_add_co_ci_u32_e32 v12, vcc_lo, v4, v6, vcc_lo
	v_xor_b32_e32 v9, v9, v10
	v_mul_hi_u32 v13, v11, v7
	s_delay_alu instid0(VALU_DEP_3) | instskip(NEXT) | instid1(VALU_DEP_3)
	v_mad_u64_u32 v[3:4], null, v11, v12, 0
	v_mad_u64_u32 v[5:6], null, v9, v7, 0
	;; [unrolled: 1-line block ×3, first 2 shown]
	s_delay_alu instid0(VALU_DEP_3) | instskip(NEXT) | instid1(VALU_DEP_4)
	v_add_co_u32 v3, vcc_lo, v13, v3
	v_add_co_ci_u32_e32 v4, vcc_lo, 0, v4, vcc_lo
	s_delay_alu instid0(VALU_DEP_2) | instskip(NEXT) | instid1(VALU_DEP_2)
	v_add_co_u32 v3, vcc_lo, v3, v5
	v_add_co_ci_u32_e32 v3, vcc_lo, v4, v6, vcc_lo
	v_add_co_ci_u32_e32 v4, vcc_lo, 0, v8, vcc_lo
	s_delay_alu instid0(VALU_DEP_2) | instskip(NEXT) | instid1(VALU_DEP_2)
	v_add_co_u32 v5, vcc_lo, v3, v7
	v_add_co_ci_u32_e32 v6, vcc_lo, 0, v4, vcc_lo
	s_delay_alu instid0(VALU_DEP_2) | instskip(SKIP_1) | instid1(VALU_DEP_3)
	v_mul_lo_u32 v7, s29, v5
	v_mad_u64_u32 v[3:4], null, s28, v5, 0
	v_mul_lo_u32 v8, s28, v6
	s_delay_alu instid0(VALU_DEP_2) | instskip(NEXT) | instid1(VALU_DEP_2)
	v_sub_co_u32 v3, vcc_lo, v11, v3
	v_add3_u32 v4, v4, v8, v7
	s_delay_alu instid0(VALU_DEP_1) | instskip(NEXT) | instid1(VALU_DEP_1)
	v_sub_nc_u32_e32 v7, v9, v4
	v_subrev_co_ci_u32_e64 v7, s0, s29, v7, vcc_lo
	v_add_co_u32 v8, s0, v5, 2
	s_delay_alu instid0(VALU_DEP_1) | instskip(SKIP_3) | instid1(VALU_DEP_3)
	v_add_co_ci_u32_e64 v11, s0, 0, v6, s0
	v_sub_co_u32 v12, s0, v3, s28
	v_sub_co_ci_u32_e32 v4, vcc_lo, v9, v4, vcc_lo
	v_subrev_co_ci_u32_e64 v7, s0, 0, v7, s0
	v_cmp_le_u32_e32 vcc_lo, s28, v12
	s_delay_alu instid0(VALU_DEP_3) | instskip(SKIP_1) | instid1(VALU_DEP_4)
	v_cmp_eq_u32_e64 s0, s29, v4
	v_cndmask_b32_e64 v9, 0, -1, vcc_lo
	v_cmp_le_u32_e32 vcc_lo, s29, v7
	v_cndmask_b32_e64 v12, 0, -1, vcc_lo
	v_cmp_le_u32_e32 vcc_lo, s28, v3
	;; [unrolled: 2-line block ×3, first 2 shown]
	v_cndmask_b32_e64 v13, 0, -1, vcc_lo
	v_cmp_eq_u32_e32 vcc_lo, s29, v7
	s_delay_alu instid0(VALU_DEP_2) | instskip(SKIP_3) | instid1(VALU_DEP_3)
	v_cndmask_b32_e64 v3, v13, v3, s0
	v_cndmask_b32_e32 v7, v12, v9, vcc_lo
	v_add_co_u32 v9, vcc_lo, v5, 1
	v_add_co_ci_u32_e32 v12, vcc_lo, 0, v6, vcc_lo
	v_cmp_ne_u32_e32 vcc_lo, 0, v7
	s_delay_alu instid0(VALU_DEP_2) | instskip(SKIP_2) | instid1(VALU_DEP_3)
	v_dual_cndmask_b32 v4, v12, v11 :: v_dual_cndmask_b32 v7, v9, v8
	v_cmp_ne_u32_e32 vcc_lo, 0, v3
	v_xor_b32_e32 v3, s24, v10
	v_dual_cndmask_b32 v5, v5, v7 :: v_dual_cndmask_b32 v4, v6, v4
	s_delay_alu instid0(VALU_DEP_1) | instskip(NEXT) | instid1(VALU_DEP_2)
	v_xor_b32_e32 v5, v5, v3
	v_xor_b32_e32 v4, v4, v3
	s_delay_alu instid0(VALU_DEP_2) | instskip(NEXT) | instid1(VALU_DEP_2)
	v_sub_co_u32 v6, vcc_lo, v5, v3
	v_sub_co_ci_u32_e32 v7, vcc_lo, v4, v3, vcc_lo
.LBB34_5:                               ;   in Loop: Header=BB34_3 Depth=1
	s_and_not1_saveexec_b32 s0, s27
; %bb.6:                                ;   in Loop: Header=BB34_3 Depth=1
	v_mul_hi_u32 v3, v0, v16
	v_mov_b32_e32 v7, v2
	s_delay_alu instid0(VALU_DEP_2) | instskip(NEXT) | instid1(VALU_DEP_1)
	v_mul_lo_u32 v4, v3, s2
	v_sub_nc_u32_e32 v4, v0, v4
	s_delay_alu instid0(VALU_DEP_1) | instskip(SKIP_1) | instid1(VALU_DEP_2)
	v_subrev_nc_u32_e32 v6, s2, v4
	v_cmp_le_u32_e32 vcc_lo, s2, v4
	v_dual_cndmask_b32 v4, v4, v6 :: v_dual_add_nc_u32 v5, 1, v3
	s_delay_alu instid0(VALU_DEP_1) | instskip(NEXT) | instid1(VALU_DEP_2)
	v_cndmask_b32_e32 v3, v3, v5, vcc_lo
	v_cmp_le_u32_e32 vcc_lo, s2, v4
	s_delay_alu instid0(VALU_DEP_2) | instskip(NEXT) | instid1(VALU_DEP_1)
	v_add_nc_u32_e32 v5, 1, v3
	v_cndmask_b32_e32 v6, v3, v5, vcc_lo
; %bb.7:                                ;   in Loop: Header=BB34_3 Depth=1
	s_or_b32 exec_lo, exec_lo, s0
	v_or_b32_e32 v3, s23, v7
                                        ; implicit-def: $vgpr8_vgpr9
	s_mov_b32 s0, exec_lo
	s_delay_alu instid0(VALU_DEP_1)
	v_cmpx_ne_u64_e32 0, v[2:3]
	s_xor_b32 s25, exec_lo, s0
	s_cbranch_execz .LBB34_9
; %bb.8:                                ;   in Loop: Header=BB34_3 Depth=1
	s_add_u32 s28, s22, s26
	s_mov_b32 s27, s26
	s_addc_u32 s29, s23, s26
	s_delay_alu instid0(SALU_CYCLE_1) | instskip(NEXT) | instid1(SALU_CYCLE_1)
	s_xor_b64 s[28:29], s[28:29], s[26:27]
	v_cvt_f32_u32_e32 v3, s28
	v_cvt_f32_u32_e32 v4, s29
	s_sub_u32 s0, 0, s28
	s_subb_u32 s27, 0, s29
	s_delay_alu instid0(VALU_DEP_1) | instskip(NEXT) | instid1(VALU_DEP_1)
	v_fmac_f32_e32 v3, 0x4f800000, v4
	v_rcp_f32_e32 v3, v3
	s_waitcnt_depctr 0xfff
	v_mul_f32_e32 v3, 0x5f7ffffc, v3
	s_delay_alu instid0(VALU_DEP_1) | instskip(NEXT) | instid1(VALU_DEP_1)
	v_mul_f32_e32 v4, 0x2f800000, v3
	v_trunc_f32_e32 v4, v4
	s_delay_alu instid0(VALU_DEP_1) | instskip(SKIP_1) | instid1(VALU_DEP_2)
	v_fmac_f32_e32 v3, 0xcf800000, v4
	v_cvt_u32_f32_e32 v4, v4
	v_cvt_u32_f32_e32 v3, v3
	s_delay_alu instid0(VALU_DEP_2) | instskip(NEXT) | instid1(VALU_DEP_2)
	v_mul_lo_u32 v5, s0, v4
	v_mul_hi_u32 v8, s0, v3
	v_mul_lo_u32 v9, s27, v3
	s_delay_alu instid0(VALU_DEP_2) | instskip(SKIP_1) | instid1(VALU_DEP_2)
	v_add_nc_u32_e32 v5, v8, v5
	v_mul_lo_u32 v8, s0, v3
	v_add_nc_u32_e32 v5, v5, v9
	s_delay_alu instid0(VALU_DEP_2) | instskip(NEXT) | instid1(VALU_DEP_2)
	v_mul_hi_u32 v9, v3, v8
	v_mul_lo_u32 v10, v3, v5
	v_mul_hi_u32 v11, v3, v5
	v_mul_hi_u32 v12, v4, v8
	v_mul_lo_u32 v8, v4, v8
	v_mul_hi_u32 v13, v4, v5
	v_mul_lo_u32 v5, v4, v5
	v_add_co_u32 v9, vcc_lo, v9, v10
	v_add_co_ci_u32_e32 v10, vcc_lo, 0, v11, vcc_lo
	s_delay_alu instid0(VALU_DEP_2) | instskip(NEXT) | instid1(VALU_DEP_2)
	v_add_co_u32 v8, vcc_lo, v9, v8
	v_add_co_ci_u32_e32 v8, vcc_lo, v10, v12, vcc_lo
	v_add_co_ci_u32_e32 v9, vcc_lo, 0, v13, vcc_lo
	v_ashrrev_i32_e32 v12, 31, v7
	s_delay_alu instid0(VALU_DEP_3) | instskip(NEXT) | instid1(VALU_DEP_3)
	v_add_co_u32 v5, vcc_lo, v8, v5
	v_add_co_ci_u32_e32 v8, vcc_lo, 0, v9, vcc_lo
	s_delay_alu instid0(VALU_DEP_2) | instskip(NEXT) | instid1(VALU_DEP_2)
	v_add_co_u32 v3, vcc_lo, v3, v5
	v_add_co_ci_u32_e32 v4, vcc_lo, v4, v8, vcc_lo
	s_delay_alu instid0(VALU_DEP_2) | instskip(SKIP_1) | instid1(VALU_DEP_3)
	v_mul_hi_u32 v5, s0, v3
	v_mul_lo_u32 v9, s27, v3
	v_mul_lo_u32 v8, s0, v4
	s_delay_alu instid0(VALU_DEP_1) | instskip(SKIP_1) | instid1(VALU_DEP_2)
	v_add_nc_u32_e32 v5, v5, v8
	v_mul_lo_u32 v8, s0, v3
	v_add_nc_u32_e32 v5, v5, v9
	s_delay_alu instid0(VALU_DEP_2) | instskip(NEXT) | instid1(VALU_DEP_2)
	v_mul_hi_u32 v9, v3, v8
	v_mul_lo_u32 v10, v3, v5
	v_mul_hi_u32 v11, v3, v5
	v_mul_hi_u32 v13, v4, v8
	v_mul_lo_u32 v8, v4, v8
	v_mul_hi_u32 v14, v4, v5
	v_mul_lo_u32 v5, v4, v5
	v_add_co_u32 v9, vcc_lo, v9, v10
	v_add_co_ci_u32_e32 v10, vcc_lo, 0, v11, vcc_lo
	s_delay_alu instid0(VALU_DEP_2) | instskip(NEXT) | instid1(VALU_DEP_2)
	v_add_co_u32 v8, vcc_lo, v9, v8
	v_add_co_ci_u32_e32 v8, vcc_lo, v10, v13, vcc_lo
	v_add_co_ci_u32_e32 v9, vcc_lo, 0, v14, vcc_lo
	v_add_co_u32 v10, vcc_lo, v6, v12
	v_add_co_ci_u32_e32 v11, vcc_lo, v7, v12, vcc_lo
	s_delay_alu instid0(VALU_DEP_4) | instskip(NEXT) | instid1(VALU_DEP_4)
	v_add_co_u32 v5, vcc_lo, v8, v5
	v_add_co_ci_u32_e32 v8, vcc_lo, 0, v9, vcc_lo
	s_delay_alu instid0(VALU_DEP_4) | instskip(NEXT) | instid1(VALU_DEP_3)
	v_xor_b32_e32 v13, v10, v12
	v_add_co_u32 v5, vcc_lo, v3, v5
	s_delay_alu instid0(VALU_DEP_3) | instskip(SKIP_1) | instid1(VALU_DEP_3)
	v_add_co_ci_u32_e32 v14, vcc_lo, v4, v8, vcc_lo
	v_xor_b32_e32 v15, v11, v12
	v_mul_hi_u32 v17, v13, v5
	s_delay_alu instid0(VALU_DEP_3) | instskip(NEXT) | instid1(VALU_DEP_3)
	v_mad_u64_u32 v[3:4], null, v13, v14, 0
	v_mad_u64_u32 v[8:9], null, v15, v5, 0
	;; [unrolled: 1-line block ×3, first 2 shown]
	s_delay_alu instid0(VALU_DEP_3) | instskip(NEXT) | instid1(VALU_DEP_4)
	v_add_co_u32 v3, vcc_lo, v17, v3
	v_add_co_ci_u32_e32 v4, vcc_lo, 0, v4, vcc_lo
	s_delay_alu instid0(VALU_DEP_2) | instskip(NEXT) | instid1(VALU_DEP_2)
	v_add_co_u32 v3, vcc_lo, v3, v8
	v_add_co_ci_u32_e32 v3, vcc_lo, v4, v9, vcc_lo
	v_add_co_ci_u32_e32 v4, vcc_lo, 0, v11, vcc_lo
	s_delay_alu instid0(VALU_DEP_2) | instskip(NEXT) | instid1(VALU_DEP_2)
	v_add_co_u32 v5, vcc_lo, v3, v10
	v_add_co_ci_u32_e32 v8, vcc_lo, 0, v4, vcc_lo
	s_delay_alu instid0(VALU_DEP_2) | instskip(SKIP_1) | instid1(VALU_DEP_3)
	v_mul_lo_u32 v9, s29, v5
	v_mad_u64_u32 v[3:4], null, s28, v5, 0
	v_mul_lo_u32 v10, s28, v8
	s_delay_alu instid0(VALU_DEP_2) | instskip(NEXT) | instid1(VALU_DEP_2)
	v_sub_co_u32 v3, vcc_lo, v13, v3
	v_add3_u32 v4, v4, v10, v9
	s_delay_alu instid0(VALU_DEP_1) | instskip(NEXT) | instid1(VALU_DEP_1)
	v_sub_nc_u32_e32 v9, v15, v4
	v_subrev_co_ci_u32_e64 v9, s0, s29, v9, vcc_lo
	v_add_co_u32 v10, s0, v5, 2
	s_delay_alu instid0(VALU_DEP_1) | instskip(SKIP_3) | instid1(VALU_DEP_3)
	v_add_co_ci_u32_e64 v11, s0, 0, v8, s0
	v_sub_co_u32 v13, s0, v3, s28
	v_sub_co_ci_u32_e32 v4, vcc_lo, v15, v4, vcc_lo
	v_subrev_co_ci_u32_e64 v9, s0, 0, v9, s0
	v_cmp_le_u32_e32 vcc_lo, s28, v13
	s_delay_alu instid0(VALU_DEP_3) | instskip(SKIP_1) | instid1(VALU_DEP_4)
	v_cmp_eq_u32_e64 s0, s29, v4
	v_cndmask_b32_e64 v13, 0, -1, vcc_lo
	v_cmp_le_u32_e32 vcc_lo, s29, v9
	v_cndmask_b32_e64 v14, 0, -1, vcc_lo
	v_cmp_le_u32_e32 vcc_lo, s28, v3
	;; [unrolled: 2-line block ×3, first 2 shown]
	v_cndmask_b32_e64 v15, 0, -1, vcc_lo
	v_cmp_eq_u32_e32 vcc_lo, s29, v9
	s_delay_alu instid0(VALU_DEP_2) | instskip(SKIP_3) | instid1(VALU_DEP_3)
	v_cndmask_b32_e64 v3, v15, v3, s0
	v_cndmask_b32_e32 v9, v14, v13, vcc_lo
	v_add_co_u32 v13, vcc_lo, v5, 1
	v_add_co_ci_u32_e32 v14, vcc_lo, 0, v8, vcc_lo
	v_cmp_ne_u32_e32 vcc_lo, 0, v9
	s_delay_alu instid0(VALU_DEP_2) | instskip(SKIP_2) | instid1(VALU_DEP_3)
	v_dual_cndmask_b32 v4, v14, v11 :: v_dual_cndmask_b32 v9, v13, v10
	v_cmp_ne_u32_e32 vcc_lo, 0, v3
	v_xor_b32_e32 v3, s26, v12
	v_dual_cndmask_b32 v5, v5, v9 :: v_dual_cndmask_b32 v4, v8, v4
	s_delay_alu instid0(VALU_DEP_1) | instskip(NEXT) | instid1(VALU_DEP_2)
	v_xor_b32_e32 v5, v5, v3
	v_xor_b32_e32 v4, v4, v3
	s_delay_alu instid0(VALU_DEP_2) | instskip(NEXT) | instid1(VALU_DEP_2)
	v_sub_co_u32 v8, vcc_lo, v5, v3
	v_sub_co_ci_u32_e32 v9, vcc_lo, v4, v3, vcc_lo
.LBB34_9:                               ;   in Loop: Header=BB34_3 Depth=1
	s_and_not1_saveexec_b32 s0, s25
	s_cbranch_execz .LBB34_11
; %bb.10:                               ;   in Loop: Header=BB34_3 Depth=1
	v_cvt_f32_u32_e32 v3, s22
	s_sub_i32 s25, 0, s22
	v_mov_b32_e32 v9, v2
	s_delay_alu instid0(VALU_DEP_2) | instskip(SKIP_2) | instid1(VALU_DEP_1)
	v_rcp_iflag_f32_e32 v3, v3
	s_waitcnt_depctr 0xfff
	v_mul_f32_e32 v3, 0x4f7ffffe, v3
	v_cvt_u32_f32_e32 v3, v3
	s_delay_alu instid0(VALU_DEP_1) | instskip(NEXT) | instid1(VALU_DEP_1)
	v_mul_lo_u32 v4, s25, v3
	v_mul_hi_u32 v4, v3, v4
	s_delay_alu instid0(VALU_DEP_1) | instskip(NEXT) | instid1(VALU_DEP_1)
	v_add_nc_u32_e32 v3, v3, v4
	v_mul_hi_u32 v3, v6, v3
	s_delay_alu instid0(VALU_DEP_1) | instskip(SKIP_1) | instid1(VALU_DEP_2)
	v_mul_lo_u32 v4, v3, s22
	v_add_nc_u32_e32 v5, 1, v3
	v_sub_nc_u32_e32 v4, v6, v4
	s_delay_alu instid0(VALU_DEP_1) | instskip(SKIP_1) | instid1(VALU_DEP_2)
	v_subrev_nc_u32_e32 v8, s22, v4
	v_cmp_le_u32_e32 vcc_lo, s22, v4
	v_dual_cndmask_b32 v4, v4, v8 :: v_dual_cndmask_b32 v3, v3, v5
	s_delay_alu instid0(VALU_DEP_1) | instskip(NEXT) | instid1(VALU_DEP_2)
	v_cmp_le_u32_e32 vcc_lo, s22, v4
	v_add_nc_u32_e32 v5, 1, v3
	s_delay_alu instid0(VALU_DEP_1)
	v_cndmask_b32_e32 v8, v3, v5, vcc_lo
.LBB34_11:                              ;   in Loop: Header=BB34_3 Depth=1
	s_or_b32 exec_lo, exec_lo, s0
	v_mul_lo_u32 v5, v7, s2
	v_mul_lo_u32 v12, v6, s3
	v_mad_u64_u32 v[3:4], null, v6, s2, 0
	v_mul_lo_u32 v13, v9, s22
	v_mul_lo_u32 v14, v8, s23
	v_mad_u64_u32 v[10:11], null, v8, s22, 0
	s_mov_b32 s25, exec_lo
	s_delay_alu instid0(VALU_DEP_4) | instskip(SKIP_1) | instid1(VALU_DEP_3)
	v_add3_u32 v5, v4, v12, v5
	v_sub_co_u32 v4, vcc_lo, v0, v3
	v_add3_u32 v11, v11, v14, v13
	s_delay_alu instid0(VALU_DEP_3) | instskip(SKIP_1) | instid1(VALU_DEP_3)
	v_sub_co_ci_u32_e32 v5, vcc_lo, v1, v5, vcc_lo
	v_sub_co_u32 v17, vcc_lo, v6, v10
	v_sub_co_ci_u32_e32 v18, vcc_lo, v7, v11, vcc_lo
	s_delay_alu instid0(VALU_DEP_2) | instskip(NEXT) | instid1(VALU_DEP_2)
	v_sub_co_u32 v6, vcc_lo, v4, v17
	v_sub_co_ci_u32_e32 v7, vcc_lo, v5, v18, vcc_lo
	s_delay_alu instid0(VALU_DEP_2) | instskip(NEXT) | instid1(VALU_DEP_2)
	v_add_co_u32 v10, vcc_lo, v6, 2
	v_add_co_ci_u32_e32 v11, vcc_lo, 0, v7, vcc_lo
	s_delay_alu instid0(VALU_DEP_1)
	v_cmpx_lt_i64_e64 s[4:5], v[10:11]
	s_cbranch_execz .LBB34_2
; %bb.12:                               ;   in Loop: Header=BB34_3 Depth=1
	s_clause 0x1
	s_load_b64 s[28:29], s[10:11], 0x0
	s_load_b64 s[30:31], s[12:13], 0x0
	s_and_b32 vcc_lo, exec_lo, s33
	s_mov_b64 s[34:35], s[18:19]
	s_mov_b64 s[36:37], s[16:17]
	s_waitcnt lgkmcnt(0)
	v_mul_lo_u32 v3, s29, v4
	v_mul_lo_u32 v12, s28, v5
	v_mad_u64_u32 v[10:11], null, s28, v4, 0
	s_delay_alu instid0(VALU_DEP_1) | instskip(SKIP_1) | instid1(VALU_DEP_2)
	v_add3_u32 v11, v11, v12, v3
	v_mul_lo_u32 v3, s30, v18
	v_mad_u64_u32 v[14:15], null, s30, v17, v[10:11]
	v_mul_lo_u32 v10, s31, v17
	s_mov_b64 s[30:31], s[20:21]
	s_delay_alu instid0(VALU_DEP_1) | instskip(NEXT) | instid1(VALU_DEP_1)
	v_add3_u32 v15, v10, v15, v3
	v_dual_mov_b32 v10, v14 :: v_dual_mov_b32 v11, v15
	s_cbranch_vccnz .LBB34_19
.LBB34_13:                              ;   in Loop: Header=BB34_3 Depth=1
	s_load_b64 s[30:31], s[14:15], 0x0
	s_waitcnt lgkmcnt(0)
	v_cmp_gt_i64_e32 vcc_lo, s[30:31], v[4:5]
	s_and_b32 exec_lo, exec_lo, vcc_lo
	s_cbranch_execz .LBB34_2
; %bb.14:                               ;   in Loop: Header=BB34_3 Depth=1
	v_lshlrev_b64 v[8:9], 3, v[14:15]
	v_cmp_lt_i64_e32 vcc_lo, s[4:5], v[6:7]
	s_delay_alu instid0(VALU_DEP_2) | instskip(NEXT) | instid1(VALU_DEP_1)
	v_add_co_u32 v6, s0, s8, v8
	v_add_co_ci_u32_e64 v7, s0, s9, v9, s0
	s_and_saveexec_b32 s0, vcc_lo
	s_cbranch_execz .LBB34_16
; %bb.15:                               ;   in Loop: Header=BB34_3 Depth=1
	v_mov_b32_e32 v3, v2
	global_store_b64 v[6:7], v[2:3], off
.LBB34_16:                              ;   in Loop: Header=BB34_3 Depth=1
	s_or_b32 exec_lo, exec_lo, s0
	v_add_co_u32 v3, vcc_lo, v4, 1
	v_add_co_ci_u32_e32 v4, vcc_lo, 0, v5, vcc_lo
	s_delay_alu instid0(VALU_DEP_2) | instskip(NEXT) | instid1(VALU_DEP_2)
	v_sub_co_u32 v8, vcc_lo, v3, v17
	v_sub_co_ci_u32_e32 v9, vcc_lo, v4, v18, vcc_lo
	v_cmp_gt_i64_e32 vcc_lo, s[30:31], v[3:4]
	s_delay_alu instid0(VALU_DEP_2) | instskip(NEXT) | instid1(VALU_DEP_1)
	v_cmp_lt_i64_e64 s0, s[4:5], v[8:9]
	s_and_b32 s0, vcc_lo, s0
	s_delay_alu instid0(SALU_CYCLE_1)
	s_and_b32 exec_lo, exec_lo, s0
	s_cbranch_execz .LBB34_2
; %bb.17:                               ;   in Loop: Header=BB34_3 Depth=1
	s_lshl_b64 s[28:29], s[28:29], 3
	v_mov_b32_e32 v3, v2
	v_add_co_u32 v4, vcc_lo, v6, s28
	v_add_co_ci_u32_e32 v5, vcc_lo, s29, v7, vcc_lo
	global_store_b64 v[4:5], v[2:3], off
	s_branch .LBB34_2
.LBB34_18:                              ;   in Loop: Header=BB34_19 Depth=2
	s_or_b32 exec_lo, exec_lo, s0
	s_load_b64 s[40:41], s[36:37], 0x0
	s_delay_alu instid0(VALU_DEP_1)
	v_mul_lo_u32 v3, v13, s38
	v_mul_lo_u32 v19, v12, s39
	v_mad_u64_u32 v[14:15], null, v12, s38, 0
	s_add_u32 s36, s36, -8
	s_addc_u32 s37, s37, -1
	s_add_u32 s34, s34, -8
	s_addc_u32 s35, s35, -1
	s_add_u32 s30, s30, -1
	s_addc_u32 s31, s31, -1
	s_delay_alu instid0(VALU_DEP_1) | instskip(SKIP_2) | instid1(VALU_DEP_3)
	v_add3_u32 v3, v15, v19, v3
	v_sub_co_u32 v8, vcc_lo, v8, v14
	v_cmp_lt_i64_e64 s0, s[30:31], 1
	v_sub_co_ci_u32_e32 v3, vcc_lo, v9, v3, vcc_lo
	s_delay_alu instid0(VALU_DEP_2) | instskip(SKIP_1) | instid1(VALU_DEP_1)
	s_and_b32 vcc_lo, exec_lo, s0
	s_waitcnt lgkmcnt(0)
	v_mul_lo_u32 v3, s40, v3
	v_mul_lo_u32 v9, s41, v8
	v_mad_u64_u32 v[14:15], null, s40, v8, v[10:11]
	s_delay_alu instid0(VALU_DEP_1) | instskip(NEXT) | instid1(VALU_DEP_2)
	v_add3_u32 v15, v9, v15, v3
	v_mov_b32_e32 v10, v14
	v_dual_mov_b32 v8, v12 :: v_dual_mov_b32 v9, v13
	s_delay_alu instid0(VALU_DEP_3)
	v_mov_b32_e32 v11, v15
	s_cbranch_vccnz .LBB34_13
.LBB34_19:                              ;   Parent Loop BB34_3 Depth=1
                                        ; =>  This Inner Loop Header: Depth=2
	s_load_b64 s[38:39], s[34:35], 0x0
                                        ; implicit-def: $vgpr12_vgpr13
	s_mov_b32 s0, exec_lo
	s_waitcnt lgkmcnt(0)
	v_or_b32_e32 v3, s39, v9
	s_delay_alu instid0(VALU_DEP_1)
	v_cmpx_ne_u64_e32 0, v[2:3]
	s_xor_b32 s27, exec_lo, s0
	s_cbranch_execz .LBB34_21
; %bb.20:                               ;   in Loop: Header=BB34_19 Depth=2
	s_ashr_i32 s40, s39, 31
	s_delay_alu instid0(SALU_CYCLE_1) | instskip(SKIP_2) | instid1(SALU_CYCLE_1)
	s_add_u32 s42, s38, s40
	s_mov_b32 s41, s40
	s_addc_u32 s43, s39, s40
	s_xor_b64 s[42:43], s[42:43], s[40:41]
	s_delay_alu instid0(SALU_CYCLE_1) | instskip(SKIP_3) | instid1(VALU_DEP_1)
	v_cvt_f32_u32_e32 v3, s42
	v_cvt_f32_u32_e32 v12, s43
	s_sub_u32 s0, 0, s42
	s_subb_u32 s41, 0, s43
	v_fmac_f32_e32 v3, 0x4f800000, v12
	s_delay_alu instid0(VALU_DEP_1) | instskip(SKIP_2) | instid1(VALU_DEP_1)
	v_rcp_f32_e32 v3, v3
	s_waitcnt_depctr 0xfff
	v_mul_f32_e32 v3, 0x5f7ffffc, v3
	v_mul_f32_e32 v12, 0x2f800000, v3
	s_delay_alu instid0(VALU_DEP_1) | instskip(NEXT) | instid1(VALU_DEP_1)
	v_trunc_f32_e32 v12, v12
	v_fmac_f32_e32 v3, 0xcf800000, v12
	v_cvt_u32_f32_e32 v12, v12
	s_delay_alu instid0(VALU_DEP_2) | instskip(NEXT) | instid1(VALU_DEP_2)
	v_cvt_u32_f32_e32 v3, v3
	v_mul_lo_u32 v13, s0, v12
	s_delay_alu instid0(VALU_DEP_2) | instskip(SKIP_1) | instid1(VALU_DEP_2)
	v_mul_hi_u32 v14, s0, v3
	v_mul_lo_u32 v15, s41, v3
	v_add_nc_u32_e32 v13, v14, v13
	v_mul_lo_u32 v14, s0, v3
	s_delay_alu instid0(VALU_DEP_2) | instskip(NEXT) | instid1(VALU_DEP_2)
	v_add_nc_u32_e32 v13, v13, v15
	v_mul_hi_u32 v15, v3, v14
	s_delay_alu instid0(VALU_DEP_2)
	v_mul_lo_u32 v19, v3, v13
	v_mul_hi_u32 v20, v3, v13
	v_mul_hi_u32 v21, v12, v14
	v_mul_lo_u32 v14, v12, v14
	v_mul_hi_u32 v22, v12, v13
	v_mul_lo_u32 v13, v12, v13
	v_add_co_u32 v15, vcc_lo, v15, v19
	v_add_co_ci_u32_e32 v19, vcc_lo, 0, v20, vcc_lo
	s_delay_alu instid0(VALU_DEP_2) | instskip(NEXT) | instid1(VALU_DEP_2)
	v_add_co_u32 v14, vcc_lo, v15, v14
	v_add_co_ci_u32_e32 v14, vcc_lo, v19, v21, vcc_lo
	v_add_co_ci_u32_e32 v15, vcc_lo, 0, v22, vcc_lo
	v_ashrrev_i32_e32 v21, 31, v9
	s_delay_alu instid0(VALU_DEP_3) | instskip(NEXT) | instid1(VALU_DEP_3)
	v_add_co_u32 v13, vcc_lo, v14, v13
	v_add_co_ci_u32_e32 v14, vcc_lo, 0, v15, vcc_lo
	s_delay_alu instid0(VALU_DEP_2) | instskip(NEXT) | instid1(VALU_DEP_2)
	v_add_co_u32 v3, vcc_lo, v3, v13
	v_add_co_ci_u32_e32 v12, vcc_lo, v12, v14, vcc_lo
	s_delay_alu instid0(VALU_DEP_2) | instskip(SKIP_1) | instid1(VALU_DEP_3)
	v_mul_hi_u32 v13, s0, v3
	v_mul_lo_u32 v15, s41, v3
	v_mul_lo_u32 v14, s0, v12
	s_delay_alu instid0(VALU_DEP_1) | instskip(SKIP_1) | instid1(VALU_DEP_2)
	v_add_nc_u32_e32 v13, v13, v14
	v_mul_lo_u32 v14, s0, v3
	v_add_nc_u32_e32 v13, v13, v15
	s_delay_alu instid0(VALU_DEP_2) | instskip(NEXT) | instid1(VALU_DEP_2)
	v_mul_hi_u32 v15, v3, v14
	v_mul_lo_u32 v19, v3, v13
	v_mul_hi_u32 v20, v3, v13
	v_mul_hi_u32 v22, v12, v14
	v_mul_lo_u32 v14, v12, v14
	v_mul_hi_u32 v23, v12, v13
	v_mul_lo_u32 v13, v12, v13
	v_add_co_u32 v15, vcc_lo, v15, v19
	v_add_co_ci_u32_e32 v19, vcc_lo, 0, v20, vcc_lo
	s_delay_alu instid0(VALU_DEP_2) | instskip(NEXT) | instid1(VALU_DEP_2)
	v_add_co_u32 v14, vcc_lo, v15, v14
	v_add_co_ci_u32_e32 v14, vcc_lo, v19, v22, vcc_lo
	v_add_co_ci_u32_e32 v15, vcc_lo, 0, v23, vcc_lo
	v_add_co_u32 v19, vcc_lo, v8, v21
	v_add_co_ci_u32_e32 v20, vcc_lo, v9, v21, vcc_lo
	s_delay_alu instid0(VALU_DEP_4) | instskip(NEXT) | instid1(VALU_DEP_4)
	v_add_co_u32 v13, vcc_lo, v14, v13
	v_add_co_ci_u32_e32 v14, vcc_lo, 0, v15, vcc_lo
	s_delay_alu instid0(VALU_DEP_4) | instskip(NEXT) | instid1(VALU_DEP_3)
	v_xor_b32_e32 v22, v19, v21
	v_add_co_u32 v3, vcc_lo, v3, v13
	s_delay_alu instid0(VALU_DEP_3) | instskip(SKIP_1) | instid1(VALU_DEP_3)
	v_add_co_ci_u32_e32 v23, vcc_lo, v12, v14, vcc_lo
	v_xor_b32_e32 v24, v20, v21
	v_mul_hi_u32 v25, v22, v3
	s_delay_alu instid0(VALU_DEP_3) | instskip(NEXT) | instid1(VALU_DEP_3)
	v_mad_u64_u32 v[12:13], null, v22, v23, 0
	v_mad_u64_u32 v[14:15], null, v24, v3, 0
	;; [unrolled: 1-line block ×3, first 2 shown]
	s_delay_alu instid0(VALU_DEP_3) | instskip(NEXT) | instid1(VALU_DEP_4)
	v_add_co_u32 v3, vcc_lo, v25, v12
	v_add_co_ci_u32_e32 v12, vcc_lo, 0, v13, vcc_lo
	s_delay_alu instid0(VALU_DEP_2) | instskip(NEXT) | instid1(VALU_DEP_2)
	v_add_co_u32 v3, vcc_lo, v3, v14
	v_add_co_ci_u32_e32 v3, vcc_lo, v12, v15, vcc_lo
	v_add_co_ci_u32_e32 v12, vcc_lo, 0, v20, vcc_lo
	s_delay_alu instid0(VALU_DEP_2) | instskip(NEXT) | instid1(VALU_DEP_2)
	v_add_co_u32 v3, vcc_lo, v3, v19
	v_add_co_ci_u32_e32 v14, vcc_lo, 0, v12, vcc_lo
	s_delay_alu instid0(VALU_DEP_2) | instskip(SKIP_1) | instid1(VALU_DEP_3)
	v_mul_lo_u32 v15, s43, v3
	v_mad_u64_u32 v[12:13], null, s42, v3, 0
	v_mul_lo_u32 v19, s42, v14
	s_delay_alu instid0(VALU_DEP_2) | instskip(NEXT) | instid1(VALU_DEP_2)
	v_sub_co_u32 v12, vcc_lo, v22, v12
	v_add3_u32 v13, v13, v19, v15
	s_delay_alu instid0(VALU_DEP_1) | instskip(NEXT) | instid1(VALU_DEP_1)
	v_sub_nc_u32_e32 v15, v24, v13
	v_subrev_co_ci_u32_e64 v15, s0, s43, v15, vcc_lo
	v_add_co_u32 v19, s0, v3, 2
	s_delay_alu instid0(VALU_DEP_1) | instskip(SKIP_3) | instid1(VALU_DEP_3)
	v_add_co_ci_u32_e64 v20, s0, 0, v14, s0
	v_sub_co_u32 v22, s0, v12, s42
	v_sub_co_ci_u32_e32 v13, vcc_lo, v24, v13, vcc_lo
	v_subrev_co_ci_u32_e64 v15, s0, 0, v15, s0
	v_cmp_le_u32_e32 vcc_lo, s42, v22
	s_delay_alu instid0(VALU_DEP_3) | instskip(SKIP_1) | instid1(VALU_DEP_4)
	v_cmp_eq_u32_e64 s0, s43, v13
	v_cndmask_b32_e64 v22, 0, -1, vcc_lo
	v_cmp_le_u32_e32 vcc_lo, s43, v15
	v_cndmask_b32_e64 v23, 0, -1, vcc_lo
	v_cmp_le_u32_e32 vcc_lo, s42, v12
	;; [unrolled: 2-line block ×3, first 2 shown]
	v_cndmask_b32_e64 v24, 0, -1, vcc_lo
	v_cmp_eq_u32_e32 vcc_lo, s43, v15
	s_delay_alu instid0(VALU_DEP_2) | instskip(SKIP_3) | instid1(VALU_DEP_3)
	v_cndmask_b32_e64 v12, v24, v12, s0
	v_cndmask_b32_e32 v15, v23, v22, vcc_lo
	v_add_co_u32 v22, vcc_lo, v3, 1
	v_add_co_ci_u32_e32 v23, vcc_lo, 0, v14, vcc_lo
	v_cmp_ne_u32_e32 vcc_lo, 0, v15
	s_delay_alu instid0(VALU_DEP_2) | instskip(NEXT) | instid1(VALU_DEP_4)
	v_cndmask_b32_e32 v13, v23, v20, vcc_lo
	v_cndmask_b32_e32 v15, v22, v19, vcc_lo
	v_cmp_ne_u32_e32 vcc_lo, 0, v12
	v_xor_b32_e32 v19, s40, v21
	s_delay_alu instid0(VALU_DEP_3) | instskip(NEXT) | instid1(VALU_DEP_1)
	v_dual_cndmask_b32 v3, v3, v15 :: v_dual_cndmask_b32 v12, v14, v13
	v_xor_b32_e32 v3, v3, v19
	s_delay_alu instid0(VALU_DEP_2) | instskip(NEXT) | instid1(VALU_DEP_2)
	v_xor_b32_e32 v13, v12, v19
	v_sub_co_u32 v12, vcc_lo, v3, v19
	s_delay_alu instid0(VALU_DEP_2)
	v_sub_co_ci_u32_e32 v13, vcc_lo, v13, v19, vcc_lo
.LBB34_21:                              ;   in Loop: Header=BB34_19 Depth=2
	s_and_not1_saveexec_b32 s0, s27
	s_cbranch_execz .LBB34_18
; %bb.22:                               ;   in Loop: Header=BB34_19 Depth=2
	v_cvt_f32_u32_e32 v3, s38
	s_sub_i32 s27, 0, s38
	s_delay_alu instid0(VALU_DEP_1) | instskip(SKIP_2) | instid1(VALU_DEP_1)
	v_rcp_iflag_f32_e32 v3, v3
	s_waitcnt_depctr 0xfff
	v_mul_f32_e32 v3, 0x4f7ffffe, v3
	v_cvt_u32_f32_e32 v3, v3
	s_delay_alu instid0(VALU_DEP_1) | instskip(NEXT) | instid1(VALU_DEP_1)
	v_mul_lo_u32 v12, s27, v3
	v_mul_hi_u32 v12, v3, v12
	s_delay_alu instid0(VALU_DEP_1) | instskip(NEXT) | instid1(VALU_DEP_1)
	v_add_nc_u32_e32 v3, v3, v12
	v_mul_hi_u32 v3, v8, v3
	s_delay_alu instid0(VALU_DEP_1) | instskip(SKIP_1) | instid1(VALU_DEP_2)
	v_mul_lo_u32 v12, v3, s38
	v_add_nc_u32_e32 v13, 1, v3
	v_sub_nc_u32_e32 v12, v8, v12
	s_delay_alu instid0(VALU_DEP_1) | instskip(SKIP_1) | instid1(VALU_DEP_2)
	v_subrev_nc_u32_e32 v14, s38, v12
	v_cmp_le_u32_e32 vcc_lo, s38, v12
	v_dual_cndmask_b32 v12, v12, v14 :: v_dual_cndmask_b32 v3, v3, v13
	s_delay_alu instid0(VALU_DEP_1) | instskip(NEXT) | instid1(VALU_DEP_2)
	v_cmp_le_u32_e32 vcc_lo, s38, v12
	v_add_nc_u32_e32 v13, 1, v3
	s_delay_alu instid0(VALU_DEP_1)
	v_dual_cndmask_b32 v12, v3, v13 :: v_dual_mov_b32 v13, v2
	s_branch .LBB34_18
.LBB34_23:
	s_nop 0
	s_sendmsg sendmsg(MSG_DEALLOC_VGPRS)
	s_endpgm
	.section	.rodata,"a",@progbits
	.p2align	6, 0x0
	.amdhsa_kernel _ZN2at6native16triu_tril_kernelIN3c107complexIfEElLb0ELi2ELb1EEEvNS_4cuda6detail10TensorInfoIT_T0_EENS7_IKS8_S9_EEllS9_
		.amdhsa_group_segment_fixed_size 0
		.amdhsa_private_segment_fixed_size 0
		.amdhsa_kernarg_size 1112
		.amdhsa_user_sgpr_count 15
		.amdhsa_user_sgpr_dispatch_ptr 0
		.amdhsa_user_sgpr_queue_ptr 0
		.amdhsa_user_sgpr_kernarg_segment_ptr 1
		.amdhsa_user_sgpr_dispatch_id 0
		.amdhsa_user_sgpr_private_segment_size 0
		.amdhsa_wavefront_size32 1
		.amdhsa_uses_dynamic_stack 0
		.amdhsa_enable_private_segment 0
		.amdhsa_system_sgpr_workgroup_id_x 1
		.amdhsa_system_sgpr_workgroup_id_y 0
		.amdhsa_system_sgpr_workgroup_id_z 0
		.amdhsa_system_sgpr_workgroup_info 0
		.amdhsa_system_vgpr_workitem_id 0
		.amdhsa_next_free_vgpr 26
		.amdhsa_next_free_sgpr 45
		.amdhsa_reserve_vcc 1
		.amdhsa_float_round_mode_32 0
		.amdhsa_float_round_mode_16_64 0
		.amdhsa_float_denorm_mode_32 3
		.amdhsa_float_denorm_mode_16_64 3
		.amdhsa_dx10_clamp 1
		.amdhsa_ieee_mode 1
		.amdhsa_fp16_overflow 0
		.amdhsa_workgroup_processor_mode 1
		.amdhsa_memory_ordered 1
		.amdhsa_forward_progress 0
		.amdhsa_shared_vgpr_count 0
		.amdhsa_exception_fp_ieee_invalid_op 0
		.amdhsa_exception_fp_denorm_src 0
		.amdhsa_exception_fp_ieee_div_zero 0
		.amdhsa_exception_fp_ieee_overflow 0
		.amdhsa_exception_fp_ieee_underflow 0
		.amdhsa_exception_fp_ieee_inexact 0
		.amdhsa_exception_int_div_zero 0
	.end_amdhsa_kernel
	.section	.text._ZN2at6native16triu_tril_kernelIN3c107complexIfEElLb0ELi2ELb1EEEvNS_4cuda6detail10TensorInfoIT_T0_EENS7_IKS8_S9_EEllS9_,"axG",@progbits,_ZN2at6native16triu_tril_kernelIN3c107complexIfEElLb0ELi2ELb1EEEvNS_4cuda6detail10TensorInfoIT_T0_EENS7_IKS8_S9_EEllS9_,comdat
.Lfunc_end34:
	.size	_ZN2at6native16triu_tril_kernelIN3c107complexIfEElLb0ELi2ELb1EEEvNS_4cuda6detail10TensorInfoIT_T0_EENS7_IKS8_S9_EEllS9_, .Lfunc_end34-_ZN2at6native16triu_tril_kernelIN3c107complexIfEElLb0ELi2ELb1EEEvNS_4cuda6detail10TensorInfoIT_T0_EENS7_IKS8_S9_EEllS9_
                                        ; -- End function
	.section	.AMDGPU.csdata,"",@progbits
; Kernel info:
; codeLenInByte = 3916
; NumSgprs: 47
; NumVgprs: 26
; ScratchSize: 0
; MemoryBound: 0
; FloatMode: 240
; IeeeMode: 1
; LDSByteSize: 0 bytes/workgroup (compile time only)
; SGPRBlocks: 5
; VGPRBlocks: 3
; NumSGPRsForWavesPerEU: 47
; NumVGPRsForWavesPerEU: 26
; Occupancy: 16
; WaveLimiterHint : 0
; COMPUTE_PGM_RSRC2:SCRATCH_EN: 0
; COMPUTE_PGM_RSRC2:USER_SGPR: 15
; COMPUTE_PGM_RSRC2:TRAP_HANDLER: 0
; COMPUTE_PGM_RSRC2:TGID_X_EN: 1
; COMPUTE_PGM_RSRC2:TGID_Y_EN: 0
; COMPUTE_PGM_RSRC2:TGID_Z_EN: 0
; COMPUTE_PGM_RSRC2:TIDIG_COMP_CNT: 0
	.section	.text._ZN2at6native16triu_tril_kernelIN3c107complexIfEElLb0ELi2ELb0EEEvNS_4cuda6detail10TensorInfoIT_T0_EENS7_IKS8_S9_EEllS9_,"axG",@progbits,_ZN2at6native16triu_tril_kernelIN3c107complexIfEElLb0ELi2ELb0EEEvNS_4cuda6detail10TensorInfoIT_T0_EENS7_IKS8_S9_EEllS9_,comdat
	.protected	_ZN2at6native16triu_tril_kernelIN3c107complexIfEElLb0ELi2ELb0EEEvNS_4cuda6detail10TensorInfoIT_T0_EENS7_IKS8_S9_EEllS9_ ; -- Begin function _ZN2at6native16triu_tril_kernelIN3c107complexIfEElLb0ELi2ELb0EEEvNS_4cuda6detail10TensorInfoIT_T0_EENS7_IKS8_S9_EEllS9_
	.globl	_ZN2at6native16triu_tril_kernelIN3c107complexIfEElLb0ELi2ELb0EEEvNS_4cuda6detail10TensorInfoIT_T0_EENS7_IKS8_S9_EEllS9_
	.p2align	8
	.type	_ZN2at6native16triu_tril_kernelIN3c107complexIfEElLb0ELi2ELb0EEEvNS_4cuda6detail10TensorInfoIT_T0_EENS7_IKS8_S9_EEllS9_,@function
_ZN2at6native16triu_tril_kernelIN3c107complexIfEElLb0ELi2ELb0EEEvNS_4cuda6detail10TensorInfoIT_T0_EENS7_IKS8_S9_EEllS9_: ; @_ZN2at6native16triu_tril_kernelIN3c107complexIfEElLb0ELi2ELb0EEEvNS_4cuda6detail10TensorInfoIT_T0_EENS7_IKS8_S9_EEllS9_
; %bb.0:
	s_clause 0x1
	s_load_b32 s2, s[0:1], 0x364
	s_load_b128 s[4:7], s[0:1], 0x340
	v_mov_b32_e32 v2, 0
	s_add_u32 s8, s0, 0x358
	s_addc_u32 s9, s1, 0
	s_delay_alu instid0(VALU_DEP_1) | instskip(SKIP_3) | instid1(VALU_DEP_1)
	v_mov_b32_e32 v1, v2
	s_waitcnt lgkmcnt(0)
	s_and_b32 s24, s2, 0xffff
	s_mov_b32 s2, exec_lo
	v_mad_u64_u32 v[3:4], null, s24, s15, v[0:1]
	s_delay_alu instid0(VALU_DEP_1) | instskip(NEXT) | instid1(VALU_DEP_1)
	v_lshlrev_b64 v[0:1], 1, v[3:4]
	v_cmpx_gt_i64_e64 s[6:7], v[0:1]
	s_cbranch_execz .LBB35_26
; %bb.1:
	s_clause 0x1
	s_load_b32 s26, s[0:1], 0x338
	s_load_b64 s[2:3], s[0:1], 0x350
	s_add_u32 s10, s0, 0x1a0
	s_addc_u32 s11, s1, 0
	s_load_b32 s25, s[8:9], 0x0
	s_clause 0x1
	s_load_b64 s[20:21], s[0:1], 0x1a0
	s_load_b64 s[22:23], s[0:1], 0x0
	s_mov_b32 s46, 0
	s_waitcnt lgkmcnt(0)
	s_ashr_i32 s27, s26, 31
	s_add_u32 s30, s0, 0x1a8
	s_addc_u32 s31, s1, 0
	s_lshl_b64 s[8:9], s[26:27], 3
	v_cvt_f32_u32_e32 v3, s2
	s_add_u32 s14, s8, -16
	s_addc_u32 s15, s9, -1
	s_add_u32 s8, s30, s14
	s_addc_u32 s9, s31, s15
	s_add_u32 s12, s10, s14
	s_addc_u32 s13, s11, s15
	s_add_u32 s34, s0, 0xd0
	s_addc_u32 s35, s1, 0
	s_add_u32 s0, s34, s14
	s_addc_u32 s1, s35, s15
	s_clause 0x2
	s_load_b128 s[8:11], s[8:9], 0x0
	s_load_b128 s[12:15], s[12:13], 0xd0
	;; [unrolled: 1-line block ×3, first 2 shown]
	v_rcp_iflag_f32_e32 v3, v3
	s_add_i32 s28, s26, -3
	s_mul_i32 s25, s25, s24
	s_ashr_i32 s29, s28, 31
	v_cmp_gt_i64_e64 s1, s[26:27], 2
	s_lshl_b64 s[26:27], s[28:29], 3
	s_lshl_b32 s33, s25, 1
	s_add_u32 s24, s34, s26
	s_addc_u32 s25, s35, s27
	s_add_u32 s26, s30, s26
	s_waitcnt_depctr 0xfff
	v_mul_f32_e32 v3, 0x4f7ffffe, v3
	s_addc_u32 s27, s31, s27
	s_add_u32 s28, s28, 1
	s_addc_u32 s29, s29, 0
	s_ashr_i32 s30, s3, 31
	v_cvt_u32_f32_e32 v18, v3
	s_branch .LBB35_3
.LBB35_2:                               ;   in Loop: Header=BB35_3 Depth=1
	s_or_b32 exec_lo, exec_lo, s0
	v_add_co_u32 v0, vcc_lo, v0, s33
	v_add_co_ci_u32_e32 v1, vcc_lo, 0, v1, vcc_lo
	s_delay_alu instid0(VALU_DEP_1) | instskip(SKIP_1) | instid1(SALU_CYCLE_1)
	v_cmp_le_i64_e32 vcc_lo, s[6:7], v[0:1]
	s_or_b32 s46, vcc_lo, s46
	s_and_not1_b32 exec_lo, exec_lo, s46
	s_cbranch_execz .LBB35_26
.LBB35_3:                               ; =>This Loop Header: Depth=1
                                        ;     Child Loop BB35_22 Depth 2
	v_or_b32_e32 v3, s3, v1
                                        ; implicit-def: $vgpr8_vgpr9
	s_mov_b32 s0, exec_lo
	s_delay_alu instid0(VALU_DEP_1)
	v_cmpx_ne_u64_e32 0, v[2:3]
	s_xor_b32 s36, exec_lo, s0
	s_cbranch_execz .LBB35_5
; %bb.4:                                ;   in Loop: Header=BB35_3 Depth=1
	s_add_u32 s34, s2, s30
	s_mov_b32 s31, s30
	s_addc_u32 s35, s3, s30
	s_delay_alu instid0(SALU_CYCLE_1) | instskip(NEXT) | instid1(SALU_CYCLE_1)
	s_xor_b64 s[34:35], s[34:35], s[30:31]
	v_cvt_f32_u32_e32 v3, s34
	v_cvt_f32_u32_e32 v4, s35
	s_sub_u32 s0, 0, s34
	s_subb_u32 s31, 0, s35
	s_delay_alu instid0(VALU_DEP_1) | instskip(NEXT) | instid1(VALU_DEP_1)
	v_fmac_f32_e32 v3, 0x4f800000, v4
	v_rcp_f32_e32 v3, v3
	s_waitcnt_depctr 0xfff
	v_mul_f32_e32 v3, 0x5f7ffffc, v3
	s_delay_alu instid0(VALU_DEP_1) | instskip(NEXT) | instid1(VALU_DEP_1)
	v_mul_f32_e32 v4, 0x2f800000, v3
	v_trunc_f32_e32 v4, v4
	s_delay_alu instid0(VALU_DEP_1) | instskip(SKIP_1) | instid1(VALU_DEP_2)
	v_fmac_f32_e32 v3, 0xcf800000, v4
	v_cvt_u32_f32_e32 v4, v4
	v_cvt_u32_f32_e32 v3, v3
	s_delay_alu instid0(VALU_DEP_2) | instskip(NEXT) | instid1(VALU_DEP_2)
	v_mul_lo_u32 v5, s0, v4
	v_mul_hi_u32 v6, s0, v3
	v_mul_lo_u32 v7, s31, v3
	s_delay_alu instid0(VALU_DEP_2) | instskip(SKIP_1) | instid1(VALU_DEP_2)
	v_add_nc_u32_e32 v5, v6, v5
	v_mul_lo_u32 v6, s0, v3
	v_add_nc_u32_e32 v5, v5, v7
	s_delay_alu instid0(VALU_DEP_2) | instskip(NEXT) | instid1(VALU_DEP_2)
	v_mul_hi_u32 v7, v3, v6
	v_mul_lo_u32 v8, v3, v5
	v_mul_hi_u32 v9, v3, v5
	v_mul_hi_u32 v10, v4, v6
	v_mul_lo_u32 v6, v4, v6
	v_mul_hi_u32 v11, v4, v5
	v_mul_lo_u32 v5, v4, v5
	v_add_co_u32 v7, vcc_lo, v7, v8
	v_add_co_ci_u32_e32 v8, vcc_lo, 0, v9, vcc_lo
	s_delay_alu instid0(VALU_DEP_2) | instskip(NEXT) | instid1(VALU_DEP_2)
	v_add_co_u32 v6, vcc_lo, v7, v6
	v_add_co_ci_u32_e32 v6, vcc_lo, v8, v10, vcc_lo
	v_add_co_ci_u32_e32 v7, vcc_lo, 0, v11, vcc_lo
	v_ashrrev_i32_e32 v10, 31, v1
	s_delay_alu instid0(VALU_DEP_3) | instskip(NEXT) | instid1(VALU_DEP_3)
	v_add_co_u32 v5, vcc_lo, v6, v5
	v_add_co_ci_u32_e32 v6, vcc_lo, 0, v7, vcc_lo
	s_delay_alu instid0(VALU_DEP_2) | instskip(NEXT) | instid1(VALU_DEP_2)
	v_add_co_u32 v3, vcc_lo, v3, v5
	v_add_co_ci_u32_e32 v4, vcc_lo, v4, v6, vcc_lo
	s_delay_alu instid0(VALU_DEP_2) | instskip(SKIP_1) | instid1(VALU_DEP_3)
	v_mul_hi_u32 v5, s0, v3
	v_mul_lo_u32 v7, s31, v3
	v_mul_lo_u32 v6, s0, v4
	s_delay_alu instid0(VALU_DEP_1) | instskip(SKIP_1) | instid1(VALU_DEP_2)
	v_add_nc_u32_e32 v5, v5, v6
	v_mul_lo_u32 v6, s0, v3
	v_add_nc_u32_e32 v5, v5, v7
	s_delay_alu instid0(VALU_DEP_2) | instskip(NEXT) | instid1(VALU_DEP_2)
	v_mul_hi_u32 v7, v3, v6
	v_mul_lo_u32 v8, v3, v5
	v_mul_hi_u32 v9, v3, v5
	v_mul_hi_u32 v11, v4, v6
	v_mul_lo_u32 v6, v4, v6
	v_mul_hi_u32 v12, v4, v5
	v_mul_lo_u32 v5, v4, v5
	v_add_co_u32 v7, vcc_lo, v7, v8
	v_add_co_ci_u32_e32 v8, vcc_lo, 0, v9, vcc_lo
	s_delay_alu instid0(VALU_DEP_2) | instskip(NEXT) | instid1(VALU_DEP_2)
	v_add_co_u32 v6, vcc_lo, v7, v6
	v_add_co_ci_u32_e32 v6, vcc_lo, v8, v11, vcc_lo
	v_add_co_ci_u32_e32 v7, vcc_lo, 0, v12, vcc_lo
	v_add_co_u32 v8, vcc_lo, v0, v10
	v_add_co_ci_u32_e32 v9, vcc_lo, v1, v10, vcc_lo
	s_delay_alu instid0(VALU_DEP_4) | instskip(NEXT) | instid1(VALU_DEP_4)
	v_add_co_u32 v5, vcc_lo, v6, v5
	v_add_co_ci_u32_e32 v6, vcc_lo, 0, v7, vcc_lo
	s_delay_alu instid0(VALU_DEP_4) | instskip(NEXT) | instid1(VALU_DEP_3)
	v_xor_b32_e32 v11, v8, v10
	v_add_co_u32 v7, vcc_lo, v3, v5
	s_delay_alu instid0(VALU_DEP_3) | instskip(SKIP_1) | instid1(VALU_DEP_3)
	v_add_co_ci_u32_e32 v12, vcc_lo, v4, v6, vcc_lo
	v_xor_b32_e32 v9, v9, v10
	v_mul_hi_u32 v13, v11, v7
	s_delay_alu instid0(VALU_DEP_3) | instskip(NEXT) | instid1(VALU_DEP_3)
	v_mad_u64_u32 v[3:4], null, v11, v12, 0
	v_mad_u64_u32 v[5:6], null, v9, v7, 0
	;; [unrolled: 1-line block ×3, first 2 shown]
	s_delay_alu instid0(VALU_DEP_3) | instskip(NEXT) | instid1(VALU_DEP_4)
	v_add_co_u32 v3, vcc_lo, v13, v3
	v_add_co_ci_u32_e32 v4, vcc_lo, 0, v4, vcc_lo
	s_delay_alu instid0(VALU_DEP_2) | instskip(NEXT) | instid1(VALU_DEP_2)
	v_add_co_u32 v3, vcc_lo, v3, v5
	v_add_co_ci_u32_e32 v3, vcc_lo, v4, v6, vcc_lo
	v_add_co_ci_u32_e32 v4, vcc_lo, 0, v8, vcc_lo
	s_delay_alu instid0(VALU_DEP_2) | instskip(NEXT) | instid1(VALU_DEP_2)
	v_add_co_u32 v5, vcc_lo, v3, v7
	v_add_co_ci_u32_e32 v6, vcc_lo, 0, v4, vcc_lo
	s_delay_alu instid0(VALU_DEP_2) | instskip(SKIP_1) | instid1(VALU_DEP_3)
	v_mul_lo_u32 v7, s35, v5
	v_mad_u64_u32 v[3:4], null, s34, v5, 0
	v_mul_lo_u32 v8, s34, v6
	s_delay_alu instid0(VALU_DEP_2) | instskip(NEXT) | instid1(VALU_DEP_2)
	v_sub_co_u32 v3, vcc_lo, v11, v3
	v_add3_u32 v4, v4, v8, v7
	s_delay_alu instid0(VALU_DEP_1) | instskip(NEXT) | instid1(VALU_DEP_1)
	v_sub_nc_u32_e32 v7, v9, v4
	v_subrev_co_ci_u32_e64 v7, s0, s35, v7, vcc_lo
	v_add_co_u32 v8, s0, v5, 2
	s_delay_alu instid0(VALU_DEP_1) | instskip(SKIP_3) | instid1(VALU_DEP_3)
	v_add_co_ci_u32_e64 v11, s0, 0, v6, s0
	v_sub_co_u32 v12, s0, v3, s34
	v_sub_co_ci_u32_e32 v4, vcc_lo, v9, v4, vcc_lo
	v_subrev_co_ci_u32_e64 v7, s0, 0, v7, s0
	v_cmp_le_u32_e32 vcc_lo, s34, v12
	s_delay_alu instid0(VALU_DEP_3) | instskip(SKIP_1) | instid1(VALU_DEP_4)
	v_cmp_eq_u32_e64 s0, s35, v4
	v_cndmask_b32_e64 v9, 0, -1, vcc_lo
	v_cmp_le_u32_e32 vcc_lo, s35, v7
	v_cndmask_b32_e64 v12, 0, -1, vcc_lo
	v_cmp_le_u32_e32 vcc_lo, s34, v3
	;; [unrolled: 2-line block ×3, first 2 shown]
	v_cndmask_b32_e64 v13, 0, -1, vcc_lo
	v_cmp_eq_u32_e32 vcc_lo, s35, v7
	s_delay_alu instid0(VALU_DEP_2) | instskip(SKIP_3) | instid1(VALU_DEP_3)
	v_cndmask_b32_e64 v3, v13, v3, s0
	v_cndmask_b32_e32 v7, v12, v9, vcc_lo
	v_add_co_u32 v9, vcc_lo, v5, 1
	v_add_co_ci_u32_e32 v12, vcc_lo, 0, v6, vcc_lo
	v_cmp_ne_u32_e32 vcc_lo, 0, v7
	s_delay_alu instid0(VALU_DEP_2) | instskip(SKIP_2) | instid1(VALU_DEP_3)
	v_dual_cndmask_b32 v4, v12, v11 :: v_dual_cndmask_b32 v7, v9, v8
	v_cmp_ne_u32_e32 vcc_lo, 0, v3
	v_xor_b32_e32 v3, s30, v10
	v_dual_cndmask_b32 v5, v5, v7 :: v_dual_cndmask_b32 v4, v6, v4
	s_delay_alu instid0(VALU_DEP_1) | instskip(NEXT) | instid1(VALU_DEP_2)
	v_xor_b32_e32 v5, v5, v3
	v_xor_b32_e32 v4, v4, v3
	s_delay_alu instid0(VALU_DEP_2) | instskip(NEXT) | instid1(VALU_DEP_2)
	v_sub_co_u32 v8, vcc_lo, v5, v3
	v_sub_co_ci_u32_e32 v9, vcc_lo, v4, v3, vcc_lo
.LBB35_5:                               ;   in Loop: Header=BB35_3 Depth=1
	s_and_not1_saveexec_b32 s0, s36
	s_cbranch_execz .LBB35_7
; %bb.6:                                ;   in Loop: Header=BB35_3 Depth=1
	s_sub_i32 s31, 0, s2
	v_mov_b32_e32 v9, v2
	v_mul_lo_u32 v3, s31, v18
	s_delay_alu instid0(VALU_DEP_1) | instskip(NEXT) | instid1(VALU_DEP_1)
	v_mul_hi_u32 v3, v18, v3
	v_add_nc_u32_e32 v3, v18, v3
	s_delay_alu instid0(VALU_DEP_1) | instskip(NEXT) | instid1(VALU_DEP_1)
	v_mul_hi_u32 v3, v0, v3
	v_mul_lo_u32 v4, v3, s2
	v_add_nc_u32_e32 v5, 1, v3
	s_delay_alu instid0(VALU_DEP_2) | instskip(NEXT) | instid1(VALU_DEP_1)
	v_sub_nc_u32_e32 v4, v0, v4
	v_subrev_nc_u32_e32 v6, s2, v4
	v_cmp_le_u32_e32 vcc_lo, s2, v4
	s_delay_alu instid0(VALU_DEP_2) | instskip(NEXT) | instid1(VALU_DEP_1)
	v_dual_cndmask_b32 v4, v4, v6 :: v_dual_cndmask_b32 v3, v3, v5
	v_cmp_le_u32_e32 vcc_lo, s2, v4
	s_delay_alu instid0(VALU_DEP_2) | instskip(NEXT) | instid1(VALU_DEP_1)
	v_add_nc_u32_e32 v5, 1, v3
	v_cndmask_b32_e32 v8, v3, v5, vcc_lo
.LBB35_7:                               ;   in Loop: Header=BB35_3 Depth=1
	s_or_b32 exec_lo, exec_lo, s0
	s_waitcnt lgkmcnt(0)
	v_or_b32_e32 v3, s9, v9
                                        ; implicit-def: $vgpr6_vgpr7
	s_mov_b32 s0, exec_lo
	s_delay_alu instid0(VALU_DEP_1)
	v_cmpx_ne_u64_e32 0, v[2:3]
	s_xor_b32 s31, exec_lo, s0
	s_cbranch_execz .LBB35_9
; %bb.8:                                ;   in Loop: Header=BB35_3 Depth=1
	s_ashr_i32 s34, s9, 31
	s_delay_alu instid0(SALU_CYCLE_1) | instskip(SKIP_2) | instid1(SALU_CYCLE_1)
	s_add_u32 s36, s8, s34
	s_mov_b32 s35, s34
	s_addc_u32 s37, s9, s34
	s_xor_b64 s[36:37], s[36:37], s[34:35]
	s_delay_alu instid0(SALU_CYCLE_1) | instskip(SKIP_3) | instid1(VALU_DEP_1)
	v_cvt_f32_u32_e32 v3, s36
	v_cvt_f32_u32_e32 v4, s37
	s_sub_u32 s0, 0, s36
	s_subb_u32 s35, 0, s37
	v_fmac_f32_e32 v3, 0x4f800000, v4
	s_delay_alu instid0(VALU_DEP_1) | instskip(SKIP_2) | instid1(VALU_DEP_1)
	v_rcp_f32_e32 v3, v3
	s_waitcnt_depctr 0xfff
	v_mul_f32_e32 v3, 0x5f7ffffc, v3
	v_mul_f32_e32 v4, 0x2f800000, v3
	s_delay_alu instid0(VALU_DEP_1) | instskip(NEXT) | instid1(VALU_DEP_1)
	v_trunc_f32_e32 v4, v4
	v_fmac_f32_e32 v3, 0xcf800000, v4
	v_cvt_u32_f32_e32 v4, v4
	s_delay_alu instid0(VALU_DEP_2) | instskip(NEXT) | instid1(VALU_DEP_2)
	v_cvt_u32_f32_e32 v3, v3
	v_mul_lo_u32 v5, s0, v4
	s_delay_alu instid0(VALU_DEP_2) | instskip(SKIP_1) | instid1(VALU_DEP_2)
	v_mul_hi_u32 v6, s0, v3
	v_mul_lo_u32 v7, s35, v3
	v_add_nc_u32_e32 v5, v6, v5
	v_mul_lo_u32 v6, s0, v3
	s_delay_alu instid0(VALU_DEP_2) | instskip(NEXT) | instid1(VALU_DEP_2)
	v_add_nc_u32_e32 v5, v5, v7
	v_mul_hi_u32 v7, v3, v6
	s_delay_alu instid0(VALU_DEP_2)
	v_mul_lo_u32 v10, v3, v5
	v_mul_hi_u32 v11, v3, v5
	v_mul_hi_u32 v12, v4, v6
	v_mul_lo_u32 v6, v4, v6
	v_mul_hi_u32 v13, v4, v5
	v_mul_lo_u32 v5, v4, v5
	v_add_co_u32 v7, vcc_lo, v7, v10
	v_add_co_ci_u32_e32 v10, vcc_lo, 0, v11, vcc_lo
	s_delay_alu instid0(VALU_DEP_2) | instskip(NEXT) | instid1(VALU_DEP_2)
	v_add_co_u32 v6, vcc_lo, v7, v6
	v_add_co_ci_u32_e32 v6, vcc_lo, v10, v12, vcc_lo
	v_add_co_ci_u32_e32 v7, vcc_lo, 0, v13, vcc_lo
	v_ashrrev_i32_e32 v12, 31, v9
	s_delay_alu instid0(VALU_DEP_3) | instskip(NEXT) | instid1(VALU_DEP_3)
	v_add_co_u32 v5, vcc_lo, v6, v5
	v_add_co_ci_u32_e32 v6, vcc_lo, 0, v7, vcc_lo
	s_delay_alu instid0(VALU_DEP_2) | instskip(NEXT) | instid1(VALU_DEP_2)
	v_add_co_u32 v3, vcc_lo, v3, v5
	v_add_co_ci_u32_e32 v4, vcc_lo, v4, v6, vcc_lo
	s_delay_alu instid0(VALU_DEP_2) | instskip(SKIP_1) | instid1(VALU_DEP_3)
	v_mul_hi_u32 v5, s0, v3
	v_mul_lo_u32 v7, s35, v3
	v_mul_lo_u32 v6, s0, v4
	s_delay_alu instid0(VALU_DEP_1) | instskip(SKIP_1) | instid1(VALU_DEP_2)
	v_add_nc_u32_e32 v5, v5, v6
	v_mul_lo_u32 v6, s0, v3
	v_add_nc_u32_e32 v5, v5, v7
	s_delay_alu instid0(VALU_DEP_2) | instskip(NEXT) | instid1(VALU_DEP_2)
	v_mul_hi_u32 v7, v3, v6
	v_mul_lo_u32 v10, v3, v5
	v_mul_hi_u32 v11, v3, v5
	v_mul_hi_u32 v13, v4, v6
	v_mul_lo_u32 v6, v4, v6
	v_mul_hi_u32 v14, v4, v5
	v_mul_lo_u32 v5, v4, v5
	v_add_co_u32 v7, vcc_lo, v7, v10
	v_add_co_ci_u32_e32 v10, vcc_lo, 0, v11, vcc_lo
	s_delay_alu instid0(VALU_DEP_2) | instskip(NEXT) | instid1(VALU_DEP_2)
	v_add_co_u32 v6, vcc_lo, v7, v6
	v_add_co_ci_u32_e32 v6, vcc_lo, v10, v13, vcc_lo
	v_add_co_ci_u32_e32 v7, vcc_lo, 0, v14, vcc_lo
	v_add_co_u32 v10, vcc_lo, v8, v12
	v_add_co_ci_u32_e32 v11, vcc_lo, v9, v12, vcc_lo
	s_delay_alu instid0(VALU_DEP_4) | instskip(NEXT) | instid1(VALU_DEP_4)
	v_add_co_u32 v5, vcc_lo, v6, v5
	v_add_co_ci_u32_e32 v6, vcc_lo, 0, v7, vcc_lo
	s_delay_alu instid0(VALU_DEP_4) | instskip(NEXT) | instid1(VALU_DEP_3)
	v_xor_b32_e32 v7, v10, v12
	v_add_co_u32 v10, vcc_lo, v3, v5
	s_delay_alu instid0(VALU_DEP_3) | instskip(SKIP_1) | instid1(VALU_DEP_3)
	v_add_co_ci_u32_e32 v13, vcc_lo, v4, v6, vcc_lo
	v_xor_b32_e32 v14, v11, v12
	v_mul_hi_u32 v15, v7, v10
	s_delay_alu instid0(VALU_DEP_3) | instskip(NEXT) | instid1(VALU_DEP_3)
	v_mad_u64_u32 v[3:4], null, v7, v13, 0
	v_mad_u64_u32 v[5:6], null, v14, v10, 0
	;; [unrolled: 1-line block ×3, first 2 shown]
	s_delay_alu instid0(VALU_DEP_3) | instskip(NEXT) | instid1(VALU_DEP_4)
	v_add_co_u32 v3, vcc_lo, v15, v3
	v_add_co_ci_u32_e32 v4, vcc_lo, 0, v4, vcc_lo
	s_delay_alu instid0(VALU_DEP_2) | instskip(NEXT) | instid1(VALU_DEP_2)
	v_add_co_u32 v3, vcc_lo, v3, v5
	v_add_co_ci_u32_e32 v3, vcc_lo, v4, v6, vcc_lo
	v_add_co_ci_u32_e32 v4, vcc_lo, 0, v11, vcc_lo
	s_delay_alu instid0(VALU_DEP_2) | instskip(NEXT) | instid1(VALU_DEP_2)
	v_add_co_u32 v5, vcc_lo, v3, v10
	v_add_co_ci_u32_e32 v6, vcc_lo, 0, v4, vcc_lo
	s_delay_alu instid0(VALU_DEP_2) | instskip(SKIP_1) | instid1(VALU_DEP_3)
	v_mul_lo_u32 v10, s37, v5
	v_mad_u64_u32 v[3:4], null, s36, v5, 0
	v_mul_lo_u32 v11, s36, v6
	s_delay_alu instid0(VALU_DEP_2) | instskip(NEXT) | instid1(VALU_DEP_2)
	v_sub_co_u32 v3, vcc_lo, v7, v3
	v_add3_u32 v4, v4, v11, v10
	s_delay_alu instid0(VALU_DEP_1) | instskip(NEXT) | instid1(VALU_DEP_1)
	v_sub_nc_u32_e32 v10, v14, v4
	v_subrev_co_ci_u32_e64 v7, s0, s37, v10, vcc_lo
	v_add_co_u32 v10, s0, v5, 2
	s_delay_alu instid0(VALU_DEP_1) | instskip(SKIP_3) | instid1(VALU_DEP_3)
	v_add_co_ci_u32_e64 v11, s0, 0, v6, s0
	v_sub_co_u32 v13, s0, v3, s36
	v_sub_co_ci_u32_e32 v4, vcc_lo, v14, v4, vcc_lo
	v_subrev_co_ci_u32_e64 v7, s0, 0, v7, s0
	v_cmp_le_u32_e32 vcc_lo, s36, v13
	s_delay_alu instid0(VALU_DEP_3) | instskip(SKIP_1) | instid1(VALU_DEP_4)
	v_cmp_eq_u32_e64 s0, s37, v4
	v_cndmask_b32_e64 v13, 0, -1, vcc_lo
	v_cmp_le_u32_e32 vcc_lo, s37, v7
	v_cndmask_b32_e64 v14, 0, -1, vcc_lo
	v_cmp_le_u32_e32 vcc_lo, s36, v3
	;; [unrolled: 2-line block ×3, first 2 shown]
	v_cndmask_b32_e64 v15, 0, -1, vcc_lo
	v_cmp_eq_u32_e32 vcc_lo, s37, v7
	s_delay_alu instid0(VALU_DEP_2) | instskip(SKIP_3) | instid1(VALU_DEP_3)
	v_cndmask_b32_e64 v3, v15, v3, s0
	v_cndmask_b32_e32 v7, v14, v13, vcc_lo
	v_add_co_u32 v13, vcc_lo, v5, 1
	v_add_co_ci_u32_e32 v14, vcc_lo, 0, v6, vcc_lo
	v_cmp_ne_u32_e32 vcc_lo, 0, v7
	s_delay_alu instid0(VALU_DEP_2) | instskip(SKIP_2) | instid1(VALU_DEP_3)
	v_dual_cndmask_b32 v4, v14, v11 :: v_dual_cndmask_b32 v7, v13, v10
	v_cmp_ne_u32_e32 vcc_lo, 0, v3
	v_xor_b32_e32 v3, s34, v12
	v_dual_cndmask_b32 v5, v5, v7 :: v_dual_cndmask_b32 v4, v6, v4
	s_delay_alu instid0(VALU_DEP_1) | instskip(NEXT) | instid1(VALU_DEP_2)
	v_xor_b32_e32 v5, v5, v3
	v_xor_b32_e32 v4, v4, v3
	s_delay_alu instid0(VALU_DEP_2) | instskip(NEXT) | instid1(VALU_DEP_2)
	v_sub_co_u32 v6, vcc_lo, v5, v3
	v_sub_co_ci_u32_e32 v7, vcc_lo, v4, v3, vcc_lo
.LBB35_9:                               ;   in Loop: Header=BB35_3 Depth=1
	s_and_not1_saveexec_b32 s0, s31
	s_cbranch_execz .LBB35_11
; %bb.10:                               ;   in Loop: Header=BB35_3 Depth=1
	v_cvt_f32_u32_e32 v3, s8
	s_sub_i32 s31, 0, s8
	v_mov_b32_e32 v7, v2
	s_delay_alu instid0(VALU_DEP_2) | instskip(SKIP_2) | instid1(VALU_DEP_1)
	v_rcp_iflag_f32_e32 v3, v3
	s_waitcnt_depctr 0xfff
	v_mul_f32_e32 v3, 0x4f7ffffe, v3
	v_cvt_u32_f32_e32 v3, v3
	s_delay_alu instid0(VALU_DEP_1) | instskip(NEXT) | instid1(VALU_DEP_1)
	v_mul_lo_u32 v4, s31, v3
	v_mul_hi_u32 v4, v3, v4
	s_delay_alu instid0(VALU_DEP_1) | instskip(NEXT) | instid1(VALU_DEP_1)
	v_add_nc_u32_e32 v3, v3, v4
	v_mul_hi_u32 v3, v8, v3
	s_delay_alu instid0(VALU_DEP_1) | instskip(SKIP_1) | instid1(VALU_DEP_2)
	v_mul_lo_u32 v4, v3, s8
	v_add_nc_u32_e32 v5, 1, v3
	v_sub_nc_u32_e32 v4, v8, v4
	s_delay_alu instid0(VALU_DEP_1) | instskip(SKIP_1) | instid1(VALU_DEP_2)
	v_subrev_nc_u32_e32 v6, s8, v4
	v_cmp_le_u32_e32 vcc_lo, s8, v4
	v_dual_cndmask_b32 v4, v4, v6 :: v_dual_cndmask_b32 v3, v3, v5
	s_delay_alu instid0(VALU_DEP_1) | instskip(NEXT) | instid1(VALU_DEP_2)
	v_cmp_le_u32_e32 vcc_lo, s8, v4
	v_add_nc_u32_e32 v5, 1, v3
	s_delay_alu instid0(VALU_DEP_1)
	v_cndmask_b32_e32 v6, v3, v5, vcc_lo
.LBB35_11:                              ;   in Loop: Header=BB35_3 Depth=1
	s_or_b32 exec_lo, exec_lo, s0
	v_mul_lo_u32 v5, v9, s2
	v_mul_lo_u32 v12, v8, s3
	v_mad_u64_u32 v[3:4], null, v8, s2, 0
	v_mul_lo_u32 v13, v7, s8
	v_mul_lo_u32 v14, v6, s9
	v_mad_u64_u32 v[10:11], null, v6, s8, 0
	s_mov_b64 s[34:35], s[28:29]
	s_mov_b64 s[36:37], s[26:27]
	s_delay_alu instid0(VALU_DEP_4) | instskip(SKIP_2) | instid1(VALU_DEP_3)
	v_add3_u32 v5, v4, v12, v5
	v_sub_co_u32 v4, vcc_lo, v0, v3
	s_mov_b64 s[38:39], s[24:25]
	v_add3_u32 v3, v11, v14, v13
	s_delay_alu instid0(VALU_DEP_3) | instskip(NEXT) | instid1(VALU_DEP_3)
	v_sub_co_ci_u32_e32 v5, vcc_lo, v1, v5, vcc_lo
	v_mul_lo_u32 v11, s15, v4
	v_mul_lo_u32 v12, s19, v4
	v_mad_u64_u32 v[14:15], null, s18, v4, 0
	s_delay_alu instid0(VALU_DEP_4)
	v_mul_lo_u32 v13, s14, v5
	v_mul_lo_u32 v16, s18, v5
	v_mad_u64_u32 v[21:22], null, s14, v4, 0
	v_sub_co_u32 v19, vcc_lo, v8, v10
	v_sub_co_ci_u32_e32 v20, vcc_lo, v9, v3, vcc_lo
	s_and_b32 vcc_lo, exec_lo, s1
	s_delay_alu instid0(VALU_DEP_4) | instskip(NEXT) | instid1(VALU_DEP_4)
	v_add3_u32 v15, v15, v16, v12
	v_add3_u32 v22, v22, v13, v11
	v_mul_lo_u32 v3, s13, v19
	v_mul_lo_u32 v8, s12, v20
	;; [unrolled: 1-line block ×3, first 2 shown]
	v_mad_u64_u32 v[12:13], null, s16, v19, v[14:15]
	v_mul_lo_u32 v10, s17, v19
	v_mad_u64_u32 v[16:17], null, s12, v19, v[21:22]
	s_delay_alu instid0(VALU_DEP_2) | instskip(NEXT) | instid1(VALU_DEP_2)
	v_add3_u32 v13, v10, v13, v9
	v_add3_u32 v17, v3, v17, v8
	v_mov_b32_e32 v8, v12
	s_delay_alu instid0(VALU_DEP_3) | instskip(NEXT) | instid1(VALU_DEP_3)
	v_dual_mov_b32 v10, v16 :: v_dual_mov_b32 v9, v13
	v_mov_b32_e32 v11, v17
	s_cbranch_vccnz .LBB35_22
.LBB35_12:                              ;   in Loop: Header=BB35_3 Depth=1
	v_sub_co_u32 v8, vcc_lo, v4, v19
	v_sub_co_ci_u32_e32 v9, vcc_lo, v5, v20, vcc_lo
	v_dual_mov_b32 v10, 0 :: v_dual_mov_b32 v11, 0
	v_dual_mov_b32 v6, 0 :: v_dual_mov_b32 v7, 0
	s_mov_b32 s0, exec_lo
	s_delay_alu instid0(VALU_DEP_3)
	v_cmpx_ge_i64_e64 s[4:5], v[8:9]
	s_cbranch_execz .LBB35_18
; %bb.13:                               ;   in Loop: Header=BB35_3 Depth=1
	v_dual_mov_b32 v7, 0 :: v_dual_mov_b32 v6, 0
	v_dual_mov_b32 v11, 0 :: v_dual_mov_b32 v10, 0
	s_mov_b32 s31, exec_lo
	v_cmpx_gt_i64_e64 s[10:11], v[4:5]
	s_cbranch_execz .LBB35_17
; %bb.14:                               ;   in Loop: Header=BB35_3 Depth=1
	v_lshlrev_b64 v[6:7], 3, v[16:17]
	s_delay_alu instid0(VALU_DEP_1) | instskip(NEXT) | instid1(VALU_DEP_2)
	v_add_co_u32 v14, vcc_lo, s20, v6
	v_add_co_ci_u32_e32 v15, vcc_lo, s21, v7, vcc_lo
	v_add_co_u32 v10, vcc_lo, v4, 1
	v_add_co_ci_u32_e32 v11, vcc_lo, 0, v5, vcc_lo
	global_load_b64 v[6:7], v[14:15], off
	v_cmp_gt_i64_e32 vcc_lo, s[10:11], v[10:11]
	v_dual_mov_b32 v10, 0 :: v_dual_mov_b32 v11, 0
	s_and_saveexec_b32 s34, vcc_lo
	s_cbranch_execz .LBB35_16
; %bb.15:                               ;   in Loop: Header=BB35_3 Depth=1
	s_lshl_b64 s[36:37], s[14:15], 3
	s_delay_alu instid0(SALU_CYCLE_1)
	v_add_co_u32 v10, vcc_lo, v14, s36
	v_add_co_ci_u32_e32 v11, vcc_lo, s37, v15, vcc_lo
	global_load_b64 v[10:11], v[10:11], off
.LBB35_16:                              ;   in Loop: Header=BB35_3 Depth=1
	s_or_b32 exec_lo, exec_lo, s34
.LBB35_17:                              ;   in Loop: Header=BB35_3 Depth=1
	s_delay_alu instid0(SALU_CYCLE_1) | instskip(SKIP_2) | instid1(VALU_DEP_1)
	s_or_b32 exec_lo, exec_lo, s31
	v_add_co_u32 v8, vcc_lo, v8, 1
	v_add_co_ci_u32_e32 v9, vcc_lo, 0, v9, vcc_lo
	v_cmp_lt_i64_e32 vcc_lo, s[4:5], v[8:9]
	s_waitcnt vmcnt(0)
	v_cndmask_b32_e64 v10, v10, 0, vcc_lo
	v_cndmask_b32_e64 v11, v11, 0, vcc_lo
.LBB35_18:                              ;   in Loop: Header=BB35_3 Depth=1
	s_or_b32 exec_lo, exec_lo, s0
	s_delay_alu instid0(SALU_CYCLE_1)
	s_mov_b32 s0, exec_lo
	v_cmpx_gt_i64_e64 s[10:11], v[4:5]
	s_cbranch_execz .LBB35_2
; %bb.19:                               ;   in Loop: Header=BB35_3 Depth=1
	v_lshlrev_b64 v[8:9], 3, v[12:13]
	v_add_co_u32 v12, vcc_lo, v4, 1
	v_add_co_ci_u32_e32 v13, vcc_lo, 0, v5, vcc_lo
	s_mov_b32 s31, exec_lo
	s_delay_alu instid0(VALU_DEP_3) | instskip(NEXT) | instid1(VALU_DEP_4)
	v_add_co_u32 v3, vcc_lo, s22, v8
	v_add_co_ci_u32_e32 v4, vcc_lo, s23, v9, vcc_lo
	global_store_b64 v[3:4], v[6:7], off
	v_cmpx_gt_i64_e64 s[10:11], v[12:13]
	s_xor_b32 s31, exec_lo, s31
	s_cbranch_execz .LBB35_2
; %bb.20:                               ;   in Loop: Header=BB35_3 Depth=1
	s_lshl_b64 s[34:35], s[18:19], 3
	s_delay_alu instid0(SALU_CYCLE_1)
	v_add_co_u32 v3, vcc_lo, v3, s34
	v_add_co_ci_u32_e32 v4, vcc_lo, s35, v4, vcc_lo
	global_store_b64 v[3:4], v[10:11], off
	s_branch .LBB35_2
.LBB35_21:                              ;   in Loop: Header=BB35_22 Depth=2
	s_or_b32 exec_lo, exec_lo, s0
	s_delay_alu instid0(VALU_DEP_1) | instskip(NEXT) | instid1(VALU_DEP_2)
	v_mul_lo_u32 v3, v15, s40
	v_mul_lo_u32 v16, v14, s41
	s_load_b64 s[42:43], s[36:37], 0xc8
	v_mad_u64_u32 v[12:13], null, v14, s40, 0
	s_load_b64 s[40:41], s[38:39], 0x0
	s_add_u32 s38, s38, -8
	s_addc_u32 s39, s39, -1
	s_add_u32 s36, s36, -8
	s_addc_u32 s37, s37, -1
	s_add_u32 s34, s34, -1
	s_delay_alu instid0(VALU_DEP_1) | instskip(SKIP_2) | instid1(VALU_DEP_2)
	v_add3_u32 v3, v13, v16, v3
	v_sub_co_u32 v6, vcc_lo, v6, v12
	s_addc_u32 s35, s35, -1
	v_sub_co_ci_u32_e32 v3, vcc_lo, v7, v3, vcc_lo
	v_cmp_lt_i64_e64 s0, s[34:35], 1
	s_waitcnt lgkmcnt(0)
	s_delay_alu instid0(VALU_DEP_2)
	v_mul_lo_u32 v7, s42, v3
	v_mul_lo_u32 v21, s43, v6
	v_mad_u64_u32 v[16:17], null, s42, v6, v[10:11]
	v_mul_lo_u32 v3, s40, v3
	v_mul_lo_u32 v10, s41, v6
	v_mad_u64_u32 v[12:13], null, s40, v6, v[8:9]
	s_and_b32 vcc_lo, exec_lo, s0
	s_delay_alu instid0(VALU_DEP_4) | instskip(SKIP_1) | instid1(VALU_DEP_3)
	v_add3_u32 v17, v21, v17, v7
	v_dual_mov_b32 v6, v14 :: v_dual_mov_b32 v7, v15
	v_add3_u32 v13, v10, v13, v3
	s_delay_alu instid0(VALU_DEP_4) | instskip(NEXT) | instid1(VALU_DEP_4)
	v_mov_b32_e32 v8, v12
	v_dual_mov_b32 v10, v16 :: v_dual_mov_b32 v11, v17
	s_delay_alu instid0(VALU_DEP_3)
	v_mov_b32_e32 v9, v13
	s_cbranch_vccnz .LBB35_12
.LBB35_22:                              ;   Parent Loop BB35_3 Depth=1
                                        ; =>  This Inner Loop Header: Depth=2
	s_load_b64 s[40:41], s[36:37], 0x0
                                        ; implicit-def: $vgpr14_vgpr15
	s_mov_b32 s0, exec_lo
	s_waitcnt lgkmcnt(0)
	v_or_b32_e32 v3, s41, v7
	s_delay_alu instid0(VALU_DEP_1)
	v_cmpx_ne_u64_e32 0, v[2:3]
	s_xor_b32 s31, exec_lo, s0
	s_cbranch_execz .LBB35_24
; %bb.23:                               ;   in Loop: Header=BB35_22 Depth=2
	s_ashr_i32 s42, s41, 31
	s_delay_alu instid0(SALU_CYCLE_1) | instskip(SKIP_2) | instid1(SALU_CYCLE_1)
	s_add_u32 s44, s40, s42
	s_mov_b32 s43, s42
	s_addc_u32 s45, s41, s42
	s_xor_b64 s[44:45], s[44:45], s[42:43]
	s_delay_alu instid0(SALU_CYCLE_1) | instskip(SKIP_3) | instid1(VALU_DEP_1)
	v_cvt_f32_u32_e32 v3, s44
	v_cvt_f32_u32_e32 v12, s45
	s_sub_u32 s0, 0, s44
	s_subb_u32 s43, 0, s45
	v_fmac_f32_e32 v3, 0x4f800000, v12
	s_delay_alu instid0(VALU_DEP_1) | instskip(SKIP_2) | instid1(VALU_DEP_1)
	v_rcp_f32_e32 v3, v3
	s_waitcnt_depctr 0xfff
	v_mul_f32_e32 v3, 0x5f7ffffc, v3
	v_mul_f32_e32 v12, 0x2f800000, v3
	s_delay_alu instid0(VALU_DEP_1) | instskip(NEXT) | instid1(VALU_DEP_1)
	v_trunc_f32_e32 v12, v12
	v_fmac_f32_e32 v3, 0xcf800000, v12
	v_cvt_u32_f32_e32 v12, v12
	s_delay_alu instid0(VALU_DEP_2) | instskip(NEXT) | instid1(VALU_DEP_2)
	v_cvt_u32_f32_e32 v3, v3
	v_mul_lo_u32 v13, s0, v12
	s_delay_alu instid0(VALU_DEP_2) | instskip(SKIP_1) | instid1(VALU_DEP_2)
	v_mul_hi_u32 v14, s0, v3
	v_mul_lo_u32 v15, s43, v3
	v_add_nc_u32_e32 v13, v14, v13
	v_mul_lo_u32 v14, s0, v3
	s_delay_alu instid0(VALU_DEP_2) | instskip(NEXT) | instid1(VALU_DEP_2)
	v_add_nc_u32_e32 v13, v13, v15
	v_mul_hi_u32 v15, v3, v14
	s_delay_alu instid0(VALU_DEP_2)
	v_mul_lo_u32 v16, v3, v13
	v_mul_hi_u32 v17, v3, v13
	v_mul_hi_u32 v21, v12, v14
	v_mul_lo_u32 v14, v12, v14
	v_mul_hi_u32 v22, v12, v13
	v_mul_lo_u32 v13, v12, v13
	v_add_co_u32 v15, vcc_lo, v15, v16
	v_add_co_ci_u32_e32 v16, vcc_lo, 0, v17, vcc_lo
	s_delay_alu instid0(VALU_DEP_2) | instskip(NEXT) | instid1(VALU_DEP_2)
	v_add_co_u32 v14, vcc_lo, v15, v14
	v_add_co_ci_u32_e32 v14, vcc_lo, v16, v21, vcc_lo
	v_add_co_ci_u32_e32 v15, vcc_lo, 0, v22, vcc_lo
	v_ashrrev_i32_e32 v21, 31, v7
	s_delay_alu instid0(VALU_DEP_3) | instskip(NEXT) | instid1(VALU_DEP_3)
	v_add_co_u32 v13, vcc_lo, v14, v13
	v_add_co_ci_u32_e32 v14, vcc_lo, 0, v15, vcc_lo
	s_delay_alu instid0(VALU_DEP_2) | instskip(NEXT) | instid1(VALU_DEP_2)
	v_add_co_u32 v3, vcc_lo, v3, v13
	v_add_co_ci_u32_e32 v12, vcc_lo, v12, v14, vcc_lo
	s_delay_alu instid0(VALU_DEP_2) | instskip(SKIP_1) | instid1(VALU_DEP_3)
	v_mul_hi_u32 v13, s0, v3
	v_mul_lo_u32 v15, s43, v3
	v_mul_lo_u32 v14, s0, v12
	s_delay_alu instid0(VALU_DEP_1) | instskip(SKIP_1) | instid1(VALU_DEP_2)
	v_add_nc_u32_e32 v13, v13, v14
	v_mul_lo_u32 v14, s0, v3
	v_add_nc_u32_e32 v13, v13, v15
	s_delay_alu instid0(VALU_DEP_2) | instskip(NEXT) | instid1(VALU_DEP_2)
	v_mul_hi_u32 v15, v3, v14
	v_mul_lo_u32 v16, v3, v13
	v_mul_hi_u32 v17, v3, v13
	v_mul_hi_u32 v22, v12, v14
	v_mul_lo_u32 v14, v12, v14
	v_mul_hi_u32 v23, v12, v13
	v_mul_lo_u32 v13, v12, v13
	v_add_co_u32 v15, vcc_lo, v15, v16
	v_add_co_ci_u32_e32 v16, vcc_lo, 0, v17, vcc_lo
	s_delay_alu instid0(VALU_DEP_2) | instskip(NEXT) | instid1(VALU_DEP_2)
	v_add_co_u32 v14, vcc_lo, v15, v14
	v_add_co_ci_u32_e32 v14, vcc_lo, v16, v22, vcc_lo
	v_add_co_ci_u32_e32 v15, vcc_lo, 0, v23, vcc_lo
	v_add_co_u32 v16, vcc_lo, v6, v21
	v_add_co_ci_u32_e32 v17, vcc_lo, v7, v21, vcc_lo
	s_delay_alu instid0(VALU_DEP_4) | instskip(NEXT) | instid1(VALU_DEP_4)
	v_add_co_u32 v13, vcc_lo, v14, v13
	v_add_co_ci_u32_e32 v14, vcc_lo, 0, v15, vcc_lo
	s_delay_alu instid0(VALU_DEP_4) | instskip(NEXT) | instid1(VALU_DEP_3)
	v_xor_b32_e32 v22, v16, v21
	v_add_co_u32 v3, vcc_lo, v3, v13
	s_delay_alu instid0(VALU_DEP_3) | instskip(SKIP_1) | instid1(VALU_DEP_3)
	v_add_co_ci_u32_e32 v23, vcc_lo, v12, v14, vcc_lo
	v_xor_b32_e32 v24, v17, v21
	v_mul_hi_u32 v25, v22, v3
	s_delay_alu instid0(VALU_DEP_3) | instskip(NEXT) | instid1(VALU_DEP_3)
	v_mad_u64_u32 v[12:13], null, v22, v23, 0
	v_mad_u64_u32 v[14:15], null, v24, v3, 0
	;; [unrolled: 1-line block ×3, first 2 shown]
	s_delay_alu instid0(VALU_DEP_3) | instskip(NEXT) | instid1(VALU_DEP_4)
	v_add_co_u32 v3, vcc_lo, v25, v12
	v_add_co_ci_u32_e32 v12, vcc_lo, 0, v13, vcc_lo
	s_delay_alu instid0(VALU_DEP_2) | instskip(NEXT) | instid1(VALU_DEP_2)
	v_add_co_u32 v3, vcc_lo, v3, v14
	v_add_co_ci_u32_e32 v3, vcc_lo, v12, v15, vcc_lo
	v_add_co_ci_u32_e32 v12, vcc_lo, 0, v17, vcc_lo
	s_delay_alu instid0(VALU_DEP_2) | instskip(NEXT) | instid1(VALU_DEP_2)
	v_add_co_u32 v3, vcc_lo, v3, v16
	v_add_co_ci_u32_e32 v14, vcc_lo, 0, v12, vcc_lo
	s_delay_alu instid0(VALU_DEP_2) | instskip(SKIP_1) | instid1(VALU_DEP_3)
	v_mul_lo_u32 v15, s45, v3
	v_mad_u64_u32 v[12:13], null, s44, v3, 0
	v_mul_lo_u32 v16, s44, v14
	s_delay_alu instid0(VALU_DEP_2) | instskip(NEXT) | instid1(VALU_DEP_2)
	v_sub_co_u32 v12, vcc_lo, v22, v12
	v_add3_u32 v13, v13, v16, v15
	s_delay_alu instid0(VALU_DEP_1) | instskip(NEXT) | instid1(VALU_DEP_1)
	v_sub_nc_u32_e32 v15, v24, v13
	v_subrev_co_ci_u32_e64 v15, s0, s45, v15, vcc_lo
	v_add_co_u32 v16, s0, v3, 2
	s_delay_alu instid0(VALU_DEP_1) | instskip(SKIP_3) | instid1(VALU_DEP_3)
	v_add_co_ci_u32_e64 v17, s0, 0, v14, s0
	v_sub_co_u32 v22, s0, v12, s44
	v_sub_co_ci_u32_e32 v13, vcc_lo, v24, v13, vcc_lo
	v_subrev_co_ci_u32_e64 v15, s0, 0, v15, s0
	v_cmp_le_u32_e32 vcc_lo, s44, v22
	s_delay_alu instid0(VALU_DEP_3) | instskip(SKIP_1) | instid1(VALU_DEP_4)
	v_cmp_eq_u32_e64 s0, s45, v13
	v_cndmask_b32_e64 v22, 0, -1, vcc_lo
	v_cmp_le_u32_e32 vcc_lo, s45, v15
	v_cndmask_b32_e64 v23, 0, -1, vcc_lo
	v_cmp_le_u32_e32 vcc_lo, s44, v12
	;; [unrolled: 2-line block ×3, first 2 shown]
	v_cndmask_b32_e64 v24, 0, -1, vcc_lo
	v_cmp_eq_u32_e32 vcc_lo, s45, v15
	s_delay_alu instid0(VALU_DEP_2) | instskip(SKIP_3) | instid1(VALU_DEP_3)
	v_cndmask_b32_e64 v12, v24, v12, s0
	v_cndmask_b32_e32 v15, v23, v22, vcc_lo
	v_add_co_u32 v22, vcc_lo, v3, 1
	v_add_co_ci_u32_e32 v23, vcc_lo, 0, v14, vcc_lo
	v_cmp_ne_u32_e32 vcc_lo, 0, v15
	s_delay_alu instid0(VALU_DEP_2) | instskip(NEXT) | instid1(VALU_DEP_4)
	v_cndmask_b32_e32 v13, v23, v17, vcc_lo
	v_cndmask_b32_e32 v15, v22, v16, vcc_lo
	v_cmp_ne_u32_e32 vcc_lo, 0, v12
	v_xor_b32_e32 v12, s42, v21
	s_delay_alu instid0(VALU_DEP_3) | instskip(SKIP_1) | instid1(VALU_DEP_2)
	v_cndmask_b32_e32 v3, v3, v15, vcc_lo
	v_cndmask_b32_e32 v13, v14, v13, vcc_lo
	v_xor_b32_e32 v3, v3, v12
	s_delay_alu instid0(VALU_DEP_2) | instskip(NEXT) | instid1(VALU_DEP_2)
	v_xor_b32_e32 v13, v13, v12
	v_sub_co_u32 v14, vcc_lo, v3, v12
	s_delay_alu instid0(VALU_DEP_2)
	v_sub_co_ci_u32_e32 v15, vcc_lo, v13, v12, vcc_lo
.LBB35_24:                              ;   in Loop: Header=BB35_22 Depth=2
	s_and_not1_saveexec_b32 s0, s31
	s_cbranch_execz .LBB35_21
; %bb.25:                               ;   in Loop: Header=BB35_22 Depth=2
	v_cvt_f32_u32_e32 v3, s40
	s_sub_i32 s31, 0, s40
	v_mov_b32_e32 v15, v2
	s_delay_alu instid0(VALU_DEP_2) | instskip(SKIP_2) | instid1(VALU_DEP_1)
	v_rcp_iflag_f32_e32 v3, v3
	s_waitcnt_depctr 0xfff
	v_mul_f32_e32 v3, 0x4f7ffffe, v3
	v_cvt_u32_f32_e32 v3, v3
	s_delay_alu instid0(VALU_DEP_1) | instskip(NEXT) | instid1(VALU_DEP_1)
	v_mul_lo_u32 v12, s31, v3
	v_mul_hi_u32 v12, v3, v12
	s_delay_alu instid0(VALU_DEP_1) | instskip(NEXT) | instid1(VALU_DEP_1)
	v_add_nc_u32_e32 v3, v3, v12
	v_mul_hi_u32 v3, v6, v3
	s_delay_alu instid0(VALU_DEP_1) | instskip(SKIP_1) | instid1(VALU_DEP_2)
	v_mul_lo_u32 v12, v3, s40
	v_add_nc_u32_e32 v13, 1, v3
	v_sub_nc_u32_e32 v12, v6, v12
	s_delay_alu instid0(VALU_DEP_1) | instskip(SKIP_1) | instid1(VALU_DEP_2)
	v_subrev_nc_u32_e32 v14, s40, v12
	v_cmp_le_u32_e32 vcc_lo, s40, v12
	v_dual_cndmask_b32 v12, v12, v14 :: v_dual_cndmask_b32 v3, v3, v13
	s_delay_alu instid0(VALU_DEP_1) | instskip(NEXT) | instid1(VALU_DEP_2)
	v_cmp_le_u32_e32 vcc_lo, s40, v12
	v_add_nc_u32_e32 v13, 1, v3
	s_delay_alu instid0(VALU_DEP_1)
	v_cndmask_b32_e32 v14, v3, v13, vcc_lo
	s_branch .LBB35_21
.LBB35_26:
	s_nop 0
	s_sendmsg sendmsg(MSG_DEALLOC_VGPRS)
	s_endpgm
	.section	.rodata,"a",@progbits
	.p2align	6, 0x0
	.amdhsa_kernel _ZN2at6native16triu_tril_kernelIN3c107complexIfEElLb0ELi2ELb0EEEvNS_4cuda6detail10TensorInfoIT_T0_EENS7_IKS8_S9_EEllS9_
		.amdhsa_group_segment_fixed_size 0
		.amdhsa_private_segment_fixed_size 0
		.amdhsa_kernarg_size 1112
		.amdhsa_user_sgpr_count 15
		.amdhsa_user_sgpr_dispatch_ptr 0
		.amdhsa_user_sgpr_queue_ptr 0
		.amdhsa_user_sgpr_kernarg_segment_ptr 1
		.amdhsa_user_sgpr_dispatch_id 0
		.amdhsa_user_sgpr_private_segment_size 0
		.amdhsa_wavefront_size32 1
		.amdhsa_uses_dynamic_stack 0
		.amdhsa_enable_private_segment 0
		.amdhsa_system_sgpr_workgroup_id_x 1
		.amdhsa_system_sgpr_workgroup_id_y 0
		.amdhsa_system_sgpr_workgroup_id_z 0
		.amdhsa_system_sgpr_workgroup_info 0
		.amdhsa_system_vgpr_workitem_id 0
		.amdhsa_next_free_vgpr 26
		.amdhsa_next_free_sgpr 47
		.amdhsa_reserve_vcc 1
		.amdhsa_float_round_mode_32 0
		.amdhsa_float_round_mode_16_64 0
		.amdhsa_float_denorm_mode_32 3
		.amdhsa_float_denorm_mode_16_64 3
		.amdhsa_dx10_clamp 1
		.amdhsa_ieee_mode 1
		.amdhsa_fp16_overflow 0
		.amdhsa_workgroup_processor_mode 1
		.amdhsa_memory_ordered 1
		.amdhsa_forward_progress 0
		.amdhsa_shared_vgpr_count 0
		.amdhsa_exception_fp_ieee_invalid_op 0
		.amdhsa_exception_fp_denorm_src 0
		.amdhsa_exception_fp_ieee_div_zero 0
		.amdhsa_exception_fp_ieee_overflow 0
		.amdhsa_exception_fp_ieee_underflow 0
		.amdhsa_exception_fp_ieee_inexact 0
		.amdhsa_exception_int_div_zero 0
	.end_amdhsa_kernel
	.section	.text._ZN2at6native16triu_tril_kernelIN3c107complexIfEElLb0ELi2ELb0EEEvNS_4cuda6detail10TensorInfoIT_T0_EENS7_IKS8_S9_EEllS9_,"axG",@progbits,_ZN2at6native16triu_tril_kernelIN3c107complexIfEElLb0ELi2ELb0EEEvNS_4cuda6detail10TensorInfoIT_T0_EENS7_IKS8_S9_EEllS9_,comdat
.Lfunc_end35:
	.size	_ZN2at6native16triu_tril_kernelIN3c107complexIfEElLb0ELi2ELb0EEEvNS_4cuda6detail10TensorInfoIT_T0_EENS7_IKS8_S9_EEllS9_, .Lfunc_end35-_ZN2at6native16triu_tril_kernelIN3c107complexIfEElLb0ELi2ELb0EEEvNS_4cuda6detail10TensorInfoIT_T0_EENS7_IKS8_S9_EEllS9_
                                        ; -- End function
	.section	.AMDGPU.csdata,"",@progbits
; Kernel info:
; codeLenInByte = 4176
; NumSgprs: 49
; NumVgprs: 26
; ScratchSize: 0
; MemoryBound: 0
; FloatMode: 240
; IeeeMode: 1
; LDSByteSize: 0 bytes/workgroup (compile time only)
; SGPRBlocks: 6
; VGPRBlocks: 3
; NumSGPRsForWavesPerEU: 49
; NumVGPRsForWavesPerEU: 26
; Occupancy: 16
; WaveLimiterHint : 0
; COMPUTE_PGM_RSRC2:SCRATCH_EN: 0
; COMPUTE_PGM_RSRC2:USER_SGPR: 15
; COMPUTE_PGM_RSRC2:TRAP_HANDLER: 0
; COMPUTE_PGM_RSRC2:TGID_X_EN: 1
; COMPUTE_PGM_RSRC2:TGID_Y_EN: 0
; COMPUTE_PGM_RSRC2:TGID_Z_EN: 0
; COMPUTE_PGM_RSRC2:TIDIG_COMP_CNT: 0
	.section	.text._ZN2at6native16triu_tril_kernelIN3c107complexINS2_4HalfEEEiLb0ELi2ELb1EEEvNS_4cuda6detail10TensorInfoIT_T0_EENS8_IKS9_SA_EEllSA_,"axG",@progbits,_ZN2at6native16triu_tril_kernelIN3c107complexINS2_4HalfEEEiLb0ELi2ELb1EEEvNS_4cuda6detail10TensorInfoIT_T0_EENS8_IKS9_SA_EEllSA_,comdat
	.protected	_ZN2at6native16triu_tril_kernelIN3c107complexINS2_4HalfEEEiLb0ELi2ELb1EEEvNS_4cuda6detail10TensorInfoIT_T0_EENS8_IKS9_SA_EEllSA_ ; -- Begin function _ZN2at6native16triu_tril_kernelIN3c107complexINS2_4HalfEEEiLb0ELi2ELb1EEEvNS_4cuda6detail10TensorInfoIT_T0_EENS8_IKS9_SA_EEllSA_
	.globl	_ZN2at6native16triu_tril_kernelIN3c107complexINS2_4HalfEEEiLb0ELi2ELb1EEEvNS_4cuda6detail10TensorInfoIT_T0_EENS8_IKS9_SA_EEllSA_
	.p2align	8
	.type	_ZN2at6native16triu_tril_kernelIN3c107complexINS2_4HalfEEEiLb0ELi2ELb1EEEvNS_4cuda6detail10TensorInfoIT_T0_EENS8_IKS9_SA_EEllSA_,@function
_ZN2at6native16triu_tril_kernelIN3c107complexINS2_4HalfEEEiLb0ELi2ELb1EEEvNS_4cuda6detail10TensorInfoIT_T0_EENS8_IKS9_SA_EEllSA_: ; @_ZN2at6native16triu_tril_kernelIN3c107complexINS2_4HalfEEEiLb0ELi2ELb1EEEvNS_4cuda6detail10TensorInfoIT_T0_EENS8_IKS9_SA_EEllSA_
; %bb.0:
	s_clause 0x1
	s_load_b32 s2, s[0:1], 0x1d4
	s_load_b128 s[4:7], s[0:1], 0x1b0
	v_mov_b32_e32 v2, 0
	s_add_u32 s8, s0, 0x1c8
	s_addc_u32 s9, s1, 0
	s_delay_alu instid0(VALU_DEP_1) | instskip(SKIP_3) | instid1(VALU_DEP_1)
	v_mov_b32_e32 v1, v2
	s_waitcnt lgkmcnt(0)
	s_and_b32 s14, s2, 0xffff
	s_mov_b32 s2, exec_lo
	v_mad_u64_u32 v[3:4], null, s14, s15, v[0:1]
	s_delay_alu instid0(VALU_DEP_1) | instskip(NEXT) | instid1(VALU_DEP_1)
	v_lshlrev_b64 v[0:1], 1, v[3:4]
	v_cmpx_gt_i64_e64 s[6:7], v[0:1]
	s_cbranch_execz .LBB36_64
; %bb.1:
	s_clause 0x2
	s_load_b32 s24, s[0:1], 0x1c0
	s_load_b32 s16, s[0:1], 0x1a8
	s_load_b64 s[2:3], s[0:1], 0x0
	s_load_b32 s19, s[8:9], 0x0
	s_mov_b32 s38, 0
	s_waitcnt lgkmcnt(0)
	s_ashr_i32 s25, s24, 31
	s_ashr_i32 s17, s16, 31
	s_add_u32 s26, s0, 0xe0
	s_addc_u32 s27, s1, 0
	s_lshl_b64 s[10:11], s[16:17], 2
	v_cvt_f32_u32_e32 v3, s24
	s_add_u32 s15, s10, -8
	s_addc_u32 s18, s11, -1
	s_add_u32 s12, s26, s15
	s_addc_u32 s13, s27, s18
	v_rcp_iflag_f32_e32 v3, v3
	s_load_b32 s28, s[12:13], 0x0
	s_mul_i32 s19, s19, s14
	v_cmp_gt_i64_e64 s37, s[16:17], 2
	s_waitcnt_depctr 0xfff
	v_mul_f32_e32 v3, 0x4f7ffffe, v3
	s_delay_alu instid0(VALU_DEP_1)
	v_cvt_u32_f32_e32 v3, v3
	s_waitcnt lgkmcnt(0)
	s_ashr_i32 s29, s28, 31
	s_add_u32 s12, s10, -4
	s_addc_u32 s13, s11, -1
	s_add_u32 s30, s0, 0x6c
	s_addc_u32 s1, s1, 0
	s_add_u32 s8, s30, s12
	s_addc_u32 s9, s1, s13
	;; [unrolled: 2-line block ×3, first 2 shown]
	s_add_i32 s31, s16, -3
	s_add_u32 s12, s26, s12
	s_addc_u32 s13, s27, s13
	s_add_i32 s0, s16, 6
	s_lshl_b32 s34, s19, 1
	s_and_b32 s33, s0, 7
	s_mov_b32 s15, 0
	s_cmp_lg_u32 s33, 0
	s_cselect_b32 s35, -1, 0
	s_cmp_gt_u32 s31, 6
	s_cselect_b32 s36, -1, 0
	s_sub_i32 s0, 0, s24
	s_delay_alu instid0(SALU_CYCLE_1) | instskip(NEXT) | instid1(VALU_DEP_1)
	v_mul_lo_u32 v4, s0, v3
	v_mul_hi_u32 v4, v3, v4
	s_delay_alu instid0(VALU_DEP_1)
	v_add_nc_u32_e32 v25, v3, v4
	s_branch .LBB36_3
.LBB36_2:                               ;   in Loop: Header=BB36_3 Depth=1
	s_or_b32 exec_lo, exec_lo, s39
	v_add_co_u32 v0, vcc_lo, v0, s34
	v_add_co_ci_u32_e32 v1, vcc_lo, 0, v1, vcc_lo
	s_delay_alu instid0(VALU_DEP_1) | instskip(SKIP_1) | instid1(SALU_CYCLE_1)
	v_cmp_le_i64_e32 vcc_lo, s[6:7], v[0:1]
	s_or_b32 s38, vcc_lo, s38
	s_and_not1_b32 exec_lo, exec_lo, s38
	s_cbranch_execz .LBB36_64
.LBB36_3:                               ; =>This Loop Header: Depth=1
                                        ;     Child Loop BB36_15 Depth 2
                                        ;     Child Loop BB36_24 Depth 2
	v_or_b32_e32 v3, s25, v1
                                        ; implicit-def: $vgpr4_vgpr5
	s_mov_b32 s0, exec_lo
	s_delay_alu instid0(VALU_DEP_1)
	v_cmpx_ne_u64_e32 0, v[2:3]
	s_xor_b32 s14, exec_lo, s0
	s_cbranch_execz .LBB36_5
; %bb.4:                                ;   in Loop: Header=BB36_3 Depth=1
	s_add_u32 s18, s24, s25
	s_mov_b32 s16, s25
	s_mov_b32 s17, s25
	s_addc_u32 s19, s25, s25
	s_delay_alu instid0(SALU_CYCLE_1) | instskip(NEXT) | instid1(SALU_CYCLE_1)
	s_xor_b64 s[18:19], s[18:19], s[16:17]
	v_cvt_f32_u32_e32 v3, s18
	v_cvt_f32_u32_e32 v4, s19
	s_sub_u32 s0, 0, s18
	s_subb_u32 s20, 0, s19
	s_delay_alu instid0(VALU_DEP_1) | instskip(NEXT) | instid1(VALU_DEP_1)
	v_fmac_f32_e32 v3, 0x4f800000, v4
	v_rcp_f32_e32 v3, v3
	s_waitcnt_depctr 0xfff
	v_mul_f32_e32 v3, 0x5f7ffffc, v3
	s_delay_alu instid0(VALU_DEP_1) | instskip(NEXT) | instid1(VALU_DEP_1)
	v_mul_f32_e32 v4, 0x2f800000, v3
	v_trunc_f32_e32 v4, v4
	s_delay_alu instid0(VALU_DEP_1) | instskip(SKIP_1) | instid1(VALU_DEP_2)
	v_fmac_f32_e32 v3, 0xcf800000, v4
	v_cvt_u32_f32_e32 v4, v4
	v_cvt_u32_f32_e32 v3, v3
	s_delay_alu instid0(VALU_DEP_2) | instskip(NEXT) | instid1(VALU_DEP_2)
	v_mul_lo_u32 v5, s0, v4
	v_mul_hi_u32 v6, s0, v3
	v_mul_lo_u32 v7, s20, v3
	s_delay_alu instid0(VALU_DEP_2) | instskip(SKIP_1) | instid1(VALU_DEP_2)
	v_add_nc_u32_e32 v5, v6, v5
	v_mul_lo_u32 v6, s0, v3
	v_add_nc_u32_e32 v5, v5, v7
	s_delay_alu instid0(VALU_DEP_2) | instskip(NEXT) | instid1(VALU_DEP_2)
	v_mul_hi_u32 v7, v3, v6
	v_mul_lo_u32 v8, v3, v5
	v_mul_hi_u32 v9, v3, v5
	v_mul_hi_u32 v10, v4, v6
	v_mul_lo_u32 v6, v4, v6
	v_mul_hi_u32 v11, v4, v5
	v_mul_lo_u32 v5, v4, v5
	v_add_co_u32 v7, vcc_lo, v7, v8
	v_add_co_ci_u32_e32 v8, vcc_lo, 0, v9, vcc_lo
	s_delay_alu instid0(VALU_DEP_2) | instskip(NEXT) | instid1(VALU_DEP_2)
	v_add_co_u32 v6, vcc_lo, v7, v6
	v_add_co_ci_u32_e32 v6, vcc_lo, v8, v10, vcc_lo
	v_add_co_ci_u32_e32 v7, vcc_lo, 0, v11, vcc_lo
	v_ashrrev_i32_e32 v10, 31, v1
	s_delay_alu instid0(VALU_DEP_3) | instskip(NEXT) | instid1(VALU_DEP_3)
	v_add_co_u32 v5, vcc_lo, v6, v5
	v_add_co_ci_u32_e32 v6, vcc_lo, 0, v7, vcc_lo
	s_delay_alu instid0(VALU_DEP_2) | instskip(NEXT) | instid1(VALU_DEP_2)
	v_add_co_u32 v3, vcc_lo, v3, v5
	v_add_co_ci_u32_e32 v4, vcc_lo, v4, v6, vcc_lo
	s_delay_alu instid0(VALU_DEP_2) | instskip(SKIP_1) | instid1(VALU_DEP_3)
	v_mul_hi_u32 v5, s0, v3
	v_mul_lo_u32 v7, s20, v3
	v_mul_lo_u32 v6, s0, v4
	s_delay_alu instid0(VALU_DEP_1) | instskip(SKIP_1) | instid1(VALU_DEP_2)
	v_add_nc_u32_e32 v5, v5, v6
	v_mul_lo_u32 v6, s0, v3
	v_add_nc_u32_e32 v5, v5, v7
	s_delay_alu instid0(VALU_DEP_2) | instskip(NEXT) | instid1(VALU_DEP_2)
	v_mul_hi_u32 v7, v3, v6
	v_mul_lo_u32 v8, v3, v5
	v_mul_hi_u32 v9, v3, v5
	v_mul_hi_u32 v11, v4, v6
	v_mul_lo_u32 v6, v4, v6
	v_mul_hi_u32 v12, v4, v5
	v_mul_lo_u32 v5, v4, v5
	v_add_co_u32 v7, vcc_lo, v7, v8
	v_add_co_ci_u32_e32 v8, vcc_lo, 0, v9, vcc_lo
	s_delay_alu instid0(VALU_DEP_2) | instskip(NEXT) | instid1(VALU_DEP_2)
	v_add_co_u32 v6, vcc_lo, v7, v6
	v_add_co_ci_u32_e32 v6, vcc_lo, v8, v11, vcc_lo
	v_add_co_ci_u32_e32 v7, vcc_lo, 0, v12, vcc_lo
	v_add_co_u32 v8, vcc_lo, v0, v10
	v_add_co_ci_u32_e32 v9, vcc_lo, v1, v10, vcc_lo
	s_delay_alu instid0(VALU_DEP_4) | instskip(NEXT) | instid1(VALU_DEP_4)
	v_add_co_u32 v5, vcc_lo, v6, v5
	v_add_co_ci_u32_e32 v6, vcc_lo, 0, v7, vcc_lo
	s_delay_alu instid0(VALU_DEP_4) | instskip(NEXT) | instid1(VALU_DEP_3)
	v_xor_b32_e32 v11, v8, v10
	v_add_co_u32 v7, vcc_lo, v3, v5
	s_delay_alu instid0(VALU_DEP_3) | instskip(SKIP_1) | instid1(VALU_DEP_3)
	v_add_co_ci_u32_e32 v12, vcc_lo, v4, v6, vcc_lo
	v_xor_b32_e32 v9, v9, v10
	v_mul_hi_u32 v13, v11, v7
	s_delay_alu instid0(VALU_DEP_3) | instskip(NEXT) | instid1(VALU_DEP_3)
	v_mad_u64_u32 v[3:4], null, v11, v12, 0
	v_mad_u64_u32 v[5:6], null, v9, v7, 0
	;; [unrolled: 1-line block ×3, first 2 shown]
	s_delay_alu instid0(VALU_DEP_3) | instskip(NEXT) | instid1(VALU_DEP_4)
	v_add_co_u32 v3, vcc_lo, v13, v3
	v_add_co_ci_u32_e32 v4, vcc_lo, 0, v4, vcc_lo
	s_delay_alu instid0(VALU_DEP_2) | instskip(NEXT) | instid1(VALU_DEP_2)
	v_add_co_u32 v3, vcc_lo, v3, v5
	v_add_co_ci_u32_e32 v3, vcc_lo, v4, v6, vcc_lo
	v_add_co_ci_u32_e32 v4, vcc_lo, 0, v8, vcc_lo
	s_delay_alu instid0(VALU_DEP_2) | instskip(NEXT) | instid1(VALU_DEP_2)
	v_add_co_u32 v5, vcc_lo, v3, v7
	v_add_co_ci_u32_e32 v6, vcc_lo, 0, v4, vcc_lo
	s_delay_alu instid0(VALU_DEP_2) | instskip(SKIP_1) | instid1(VALU_DEP_3)
	v_mul_lo_u32 v7, s19, v5
	v_mad_u64_u32 v[3:4], null, s18, v5, 0
	v_mul_lo_u32 v8, s18, v6
	s_delay_alu instid0(VALU_DEP_2) | instskip(NEXT) | instid1(VALU_DEP_2)
	v_sub_co_u32 v3, vcc_lo, v11, v3
	v_add3_u32 v4, v4, v8, v7
	s_delay_alu instid0(VALU_DEP_1) | instskip(NEXT) | instid1(VALU_DEP_1)
	v_sub_nc_u32_e32 v7, v9, v4
	v_subrev_co_ci_u32_e64 v7, s0, s19, v7, vcc_lo
	v_add_co_u32 v8, s0, v5, 2
	s_delay_alu instid0(VALU_DEP_1) | instskip(SKIP_3) | instid1(VALU_DEP_3)
	v_add_co_ci_u32_e64 v11, s0, 0, v6, s0
	v_sub_co_u32 v12, s0, v3, s18
	v_sub_co_ci_u32_e32 v4, vcc_lo, v9, v4, vcc_lo
	v_subrev_co_ci_u32_e64 v7, s0, 0, v7, s0
	v_cmp_le_u32_e32 vcc_lo, s18, v12
	s_delay_alu instid0(VALU_DEP_3) | instskip(SKIP_1) | instid1(VALU_DEP_4)
	v_cmp_eq_u32_e64 s0, s19, v4
	v_cndmask_b32_e64 v9, 0, -1, vcc_lo
	v_cmp_le_u32_e32 vcc_lo, s19, v7
	v_cndmask_b32_e64 v12, 0, -1, vcc_lo
	v_cmp_le_u32_e32 vcc_lo, s18, v3
	;; [unrolled: 2-line block ×3, first 2 shown]
	v_cndmask_b32_e64 v13, 0, -1, vcc_lo
	v_cmp_eq_u32_e32 vcc_lo, s19, v7
	s_delay_alu instid0(VALU_DEP_2) | instskip(SKIP_3) | instid1(VALU_DEP_3)
	v_cndmask_b32_e64 v3, v13, v3, s0
	v_cndmask_b32_e32 v7, v12, v9, vcc_lo
	v_add_co_u32 v9, vcc_lo, v5, 1
	v_add_co_ci_u32_e32 v12, vcc_lo, 0, v6, vcc_lo
	v_cmp_ne_u32_e32 vcc_lo, 0, v7
	s_delay_alu instid0(VALU_DEP_2) | instskip(SKIP_2) | instid1(VALU_DEP_3)
	v_dual_cndmask_b32 v4, v12, v11 :: v_dual_cndmask_b32 v7, v9, v8
	v_cmp_ne_u32_e32 vcc_lo, 0, v3
	v_xor_b32_e32 v3, s16, v10
	v_dual_cndmask_b32 v5, v5, v7 :: v_dual_cndmask_b32 v4, v6, v4
	v_xor_b32_e32 v6, s17, v10
	s_delay_alu instid0(VALU_DEP_2) | instskip(NEXT) | instid1(VALU_DEP_2)
	v_xor_b32_e32 v5, v5, v3
	v_xor_b32_e32 v7, v4, v6
	s_delay_alu instid0(VALU_DEP_2) | instskip(NEXT) | instid1(VALU_DEP_2)
	v_sub_co_u32 v4, vcc_lo, v5, v3
	v_sub_co_ci_u32_e32 v5, vcc_lo, v7, v6, vcc_lo
.LBB36_5:                               ;   in Loop: Header=BB36_3 Depth=1
	s_and_not1_saveexec_b32 s0, s14
; %bb.6:                                ;   in Loop: Header=BB36_3 Depth=1
	v_mul_hi_u32 v3, v0, v25
	s_delay_alu instid0(VALU_DEP_1) | instskip(NEXT) | instid1(VALU_DEP_1)
	v_mul_lo_u32 v4, v3, s24
	v_sub_nc_u32_e32 v4, v0, v4
	s_delay_alu instid0(VALU_DEP_1) | instskip(SKIP_1) | instid1(VALU_DEP_2)
	v_subrev_nc_u32_e32 v6, s24, v4
	v_cmp_le_u32_e32 vcc_lo, s24, v4
	v_dual_cndmask_b32 v4, v4, v6 :: v_dual_add_nc_u32 v5, 1, v3
	s_delay_alu instid0(VALU_DEP_1) | instskip(NEXT) | instid1(VALU_DEP_2)
	v_cndmask_b32_e32 v3, v3, v5, vcc_lo
	v_cmp_le_u32_e32 vcc_lo, s24, v4
	s_delay_alu instid0(VALU_DEP_2) | instskip(NEXT) | instid1(VALU_DEP_1)
	v_add_nc_u32_e32 v5, 1, v3
	v_dual_cndmask_b32 v4, v3, v5 :: v_dual_mov_b32 v5, v2
; %bb.7:                                ;   in Loop: Header=BB36_3 Depth=1
	s_or_b32 exec_lo, exec_lo, s0
	s_delay_alu instid0(VALU_DEP_1) | instskip(SKIP_1) | instid1(VALU_DEP_1)
	v_or_b32_e32 v3, s29, v5
                                        ; implicit-def: $vgpr7_vgpr8
	s_mov_b32 s0, exec_lo
	v_cmpx_ne_u64_e32 0, v[2:3]
	s_xor_b32 s14, exec_lo, s0
	s_cbranch_execz .LBB36_9
; %bb.8:                                ;   in Loop: Header=BB36_3 Depth=1
	s_add_u32 s18, s28, s29
	s_mov_b32 s16, s29
	s_mov_b32 s17, s29
	s_addc_u32 s19, s29, s29
	s_delay_alu instid0(SALU_CYCLE_1) | instskip(NEXT) | instid1(SALU_CYCLE_1)
	s_xor_b64 s[18:19], s[18:19], s[16:17]
	v_cvt_f32_u32_e32 v3, s18
	v_cvt_f32_u32_e32 v6, s19
	s_sub_u32 s0, 0, s18
	s_subb_u32 s20, 0, s19
	s_delay_alu instid0(VALU_DEP_1) | instskip(NEXT) | instid1(VALU_DEP_1)
	v_fmac_f32_e32 v3, 0x4f800000, v6
	v_rcp_f32_e32 v3, v3
	s_waitcnt_depctr 0xfff
	v_mul_f32_e32 v3, 0x5f7ffffc, v3
	s_delay_alu instid0(VALU_DEP_1) | instskip(NEXT) | instid1(VALU_DEP_1)
	v_mul_f32_e32 v6, 0x2f800000, v3
	v_trunc_f32_e32 v6, v6
	s_delay_alu instid0(VALU_DEP_1) | instskip(SKIP_1) | instid1(VALU_DEP_2)
	v_fmac_f32_e32 v3, 0xcf800000, v6
	v_cvt_u32_f32_e32 v6, v6
	v_cvt_u32_f32_e32 v3, v3
	s_delay_alu instid0(VALU_DEP_2) | instskip(NEXT) | instid1(VALU_DEP_2)
	v_mul_lo_u32 v7, s0, v6
	v_mul_hi_u32 v8, s0, v3
	v_mul_lo_u32 v9, s20, v3
	s_delay_alu instid0(VALU_DEP_2) | instskip(SKIP_1) | instid1(VALU_DEP_2)
	v_add_nc_u32_e32 v7, v8, v7
	v_mul_lo_u32 v8, s0, v3
	v_add_nc_u32_e32 v7, v7, v9
	s_delay_alu instid0(VALU_DEP_2) | instskip(NEXT) | instid1(VALU_DEP_2)
	v_mul_hi_u32 v9, v3, v8
	v_mul_lo_u32 v10, v3, v7
	v_mul_hi_u32 v11, v3, v7
	v_mul_hi_u32 v12, v6, v8
	v_mul_lo_u32 v8, v6, v8
	v_mul_hi_u32 v13, v6, v7
	v_mul_lo_u32 v7, v6, v7
	v_add_co_u32 v9, vcc_lo, v9, v10
	v_add_co_ci_u32_e32 v10, vcc_lo, 0, v11, vcc_lo
	s_delay_alu instid0(VALU_DEP_2) | instskip(NEXT) | instid1(VALU_DEP_2)
	v_add_co_u32 v8, vcc_lo, v9, v8
	v_add_co_ci_u32_e32 v8, vcc_lo, v10, v12, vcc_lo
	v_add_co_ci_u32_e32 v9, vcc_lo, 0, v13, vcc_lo
	v_ashrrev_i32_e32 v12, 31, v5
	s_delay_alu instid0(VALU_DEP_3) | instskip(NEXT) | instid1(VALU_DEP_3)
	v_add_co_u32 v7, vcc_lo, v8, v7
	v_add_co_ci_u32_e32 v8, vcc_lo, 0, v9, vcc_lo
	s_delay_alu instid0(VALU_DEP_2) | instskip(NEXT) | instid1(VALU_DEP_2)
	v_add_co_u32 v3, vcc_lo, v3, v7
	v_add_co_ci_u32_e32 v6, vcc_lo, v6, v8, vcc_lo
	s_delay_alu instid0(VALU_DEP_2) | instskip(SKIP_1) | instid1(VALU_DEP_3)
	v_mul_hi_u32 v7, s0, v3
	v_mul_lo_u32 v9, s20, v3
	v_mul_lo_u32 v8, s0, v6
	s_delay_alu instid0(VALU_DEP_1) | instskip(SKIP_1) | instid1(VALU_DEP_2)
	v_add_nc_u32_e32 v7, v7, v8
	v_mul_lo_u32 v8, s0, v3
	v_add_nc_u32_e32 v7, v7, v9
	s_delay_alu instid0(VALU_DEP_2) | instskip(NEXT) | instid1(VALU_DEP_2)
	v_mul_hi_u32 v9, v3, v8
	v_mul_lo_u32 v10, v3, v7
	v_mul_hi_u32 v11, v3, v7
	v_mul_hi_u32 v13, v6, v8
	v_mul_lo_u32 v8, v6, v8
	v_mul_hi_u32 v14, v6, v7
	v_mul_lo_u32 v7, v6, v7
	v_add_co_u32 v9, vcc_lo, v9, v10
	v_add_co_ci_u32_e32 v10, vcc_lo, 0, v11, vcc_lo
	s_delay_alu instid0(VALU_DEP_2) | instskip(NEXT) | instid1(VALU_DEP_2)
	v_add_co_u32 v8, vcc_lo, v9, v8
	v_add_co_ci_u32_e32 v8, vcc_lo, v10, v13, vcc_lo
	v_add_co_ci_u32_e32 v9, vcc_lo, 0, v14, vcc_lo
	v_add_co_u32 v10, vcc_lo, v4, v12
	v_add_co_ci_u32_e32 v5, vcc_lo, v5, v12, vcc_lo
	s_delay_alu instid0(VALU_DEP_4) | instskip(NEXT) | instid1(VALU_DEP_4)
	v_add_co_u32 v7, vcc_lo, v8, v7
	v_add_co_ci_u32_e32 v8, vcc_lo, 0, v9, vcc_lo
	s_delay_alu instid0(VALU_DEP_4) | instskip(NEXT) | instid1(VALU_DEP_3)
	v_xor_b32_e32 v11, v10, v12
	v_add_co_u32 v3, vcc_lo, v3, v7
	s_delay_alu instid0(VALU_DEP_3) | instskip(SKIP_1) | instid1(VALU_DEP_3)
	v_add_co_ci_u32_e32 v13, vcc_lo, v6, v8, vcc_lo
	v_xor_b32_e32 v14, v5, v12
	v_mul_hi_u32 v15, v11, v3
	s_delay_alu instid0(VALU_DEP_3) | instskip(NEXT) | instid1(VALU_DEP_3)
	v_mad_u64_u32 v[5:6], null, v11, v13, 0
	v_mad_u64_u32 v[7:8], null, v14, v3, 0
	;; [unrolled: 1-line block ×3, first 2 shown]
	s_delay_alu instid0(VALU_DEP_3) | instskip(NEXT) | instid1(VALU_DEP_4)
	v_add_co_u32 v3, vcc_lo, v15, v5
	v_add_co_ci_u32_e32 v5, vcc_lo, 0, v6, vcc_lo
	s_delay_alu instid0(VALU_DEP_2) | instskip(NEXT) | instid1(VALU_DEP_2)
	v_add_co_u32 v3, vcc_lo, v3, v7
	v_add_co_ci_u32_e32 v3, vcc_lo, v5, v8, vcc_lo
	v_add_co_ci_u32_e32 v5, vcc_lo, 0, v10, vcc_lo
	s_delay_alu instid0(VALU_DEP_2) | instskip(NEXT) | instid1(VALU_DEP_2)
	v_add_co_u32 v3, vcc_lo, v3, v9
	v_add_co_ci_u32_e32 v7, vcc_lo, 0, v5, vcc_lo
	s_delay_alu instid0(VALU_DEP_2) | instskip(SKIP_1) | instid1(VALU_DEP_3)
	v_mul_lo_u32 v8, s19, v3
	v_mad_u64_u32 v[5:6], null, s18, v3, 0
	v_mul_lo_u32 v9, s18, v7
	s_delay_alu instid0(VALU_DEP_2) | instskip(NEXT) | instid1(VALU_DEP_2)
	v_sub_co_u32 v5, vcc_lo, v11, v5
	v_add3_u32 v6, v6, v9, v8
	s_delay_alu instid0(VALU_DEP_1) | instskip(NEXT) | instid1(VALU_DEP_1)
	v_sub_nc_u32_e32 v8, v14, v6
	v_subrev_co_ci_u32_e64 v8, s0, s19, v8, vcc_lo
	v_add_co_u32 v9, s0, v3, 2
	s_delay_alu instid0(VALU_DEP_1) | instskip(SKIP_3) | instid1(VALU_DEP_3)
	v_add_co_ci_u32_e64 v10, s0, 0, v7, s0
	v_sub_co_u32 v11, s0, v5, s18
	v_sub_co_ci_u32_e32 v6, vcc_lo, v14, v6, vcc_lo
	v_subrev_co_ci_u32_e64 v8, s0, 0, v8, s0
	v_cmp_le_u32_e32 vcc_lo, s18, v11
	s_delay_alu instid0(VALU_DEP_3) | instskip(SKIP_1) | instid1(VALU_DEP_4)
	v_cmp_eq_u32_e64 s0, s19, v6
	v_cndmask_b32_e64 v11, 0, -1, vcc_lo
	v_cmp_le_u32_e32 vcc_lo, s19, v8
	v_cndmask_b32_e64 v13, 0, -1, vcc_lo
	v_cmp_le_u32_e32 vcc_lo, s18, v5
	;; [unrolled: 2-line block ×3, first 2 shown]
	v_cndmask_b32_e64 v14, 0, -1, vcc_lo
	v_cmp_eq_u32_e32 vcc_lo, s19, v8
	s_delay_alu instid0(VALU_DEP_2) | instskip(SKIP_3) | instid1(VALU_DEP_3)
	v_cndmask_b32_e64 v5, v14, v5, s0
	v_cndmask_b32_e32 v8, v13, v11, vcc_lo
	v_add_co_u32 v11, vcc_lo, v3, 1
	v_add_co_ci_u32_e32 v13, vcc_lo, 0, v7, vcc_lo
	v_cmp_ne_u32_e32 vcc_lo, 0, v8
	s_delay_alu instid0(VALU_DEP_3) | instskip(NEXT) | instid1(VALU_DEP_3)
	v_cndmask_b32_e32 v8, v11, v9, vcc_lo
	v_cndmask_b32_e32 v6, v13, v10, vcc_lo
	v_cmp_ne_u32_e32 vcc_lo, 0, v5
	v_xor_b32_e32 v5, s16, v12
	s_delay_alu instid0(VALU_DEP_4) | instskip(NEXT) | instid1(VALU_DEP_4)
	v_cndmask_b32_e32 v3, v3, v8, vcc_lo
	v_cndmask_b32_e32 v6, v7, v6, vcc_lo
	v_xor_b32_e32 v8, s17, v12
	s_delay_alu instid0(VALU_DEP_3) | instskip(NEXT) | instid1(VALU_DEP_2)
	v_xor_b32_e32 v3, v3, v5
	v_xor_b32_e32 v6, v6, v8
	s_delay_alu instid0(VALU_DEP_2) | instskip(NEXT) | instid1(VALU_DEP_2)
	v_sub_co_u32 v7, vcc_lo, v3, v5
	v_sub_co_ci_u32_e32 v8, vcc_lo, v6, v8, vcc_lo
.LBB36_9:                               ;   in Loop: Header=BB36_3 Depth=1
	s_and_not1_saveexec_b32 s0, s14
	s_cbranch_execz .LBB36_11
; %bb.10:                               ;   in Loop: Header=BB36_3 Depth=1
	v_cvt_f32_u32_e32 v3, s28
	s_sub_i32 s14, 0, s28
	v_mov_b32_e32 v8, v2
	s_delay_alu instid0(VALU_DEP_2) | instskip(SKIP_2) | instid1(VALU_DEP_1)
	v_rcp_iflag_f32_e32 v3, v3
	s_waitcnt_depctr 0xfff
	v_mul_f32_e32 v3, 0x4f7ffffe, v3
	v_cvt_u32_f32_e32 v3, v3
	s_delay_alu instid0(VALU_DEP_1) | instskip(NEXT) | instid1(VALU_DEP_1)
	v_mul_lo_u32 v5, s14, v3
	v_mul_hi_u32 v5, v3, v5
	s_delay_alu instid0(VALU_DEP_1) | instskip(NEXT) | instid1(VALU_DEP_1)
	v_add_nc_u32_e32 v3, v3, v5
	v_mul_hi_u32 v3, v4, v3
	s_delay_alu instid0(VALU_DEP_1) | instskip(SKIP_1) | instid1(VALU_DEP_2)
	v_mul_lo_u32 v5, v3, s28
	v_add_nc_u32_e32 v6, 1, v3
	v_sub_nc_u32_e32 v5, v4, v5
	s_delay_alu instid0(VALU_DEP_1) | instskip(SKIP_1) | instid1(VALU_DEP_2)
	v_subrev_nc_u32_e32 v7, s28, v5
	v_cmp_le_u32_e32 vcc_lo, s28, v5
	v_cndmask_b32_e32 v5, v5, v7, vcc_lo
	v_cndmask_b32_e32 v3, v3, v6, vcc_lo
	s_delay_alu instid0(VALU_DEP_2) | instskip(NEXT) | instid1(VALU_DEP_2)
	v_cmp_le_u32_e32 vcc_lo, s28, v5
	v_add_nc_u32_e32 v6, 1, v3
	s_delay_alu instid0(VALU_DEP_1)
	v_cndmask_b32_e32 v7, v3, v6, vcc_lo
.LBB36_11:                              ;   in Loop: Header=BB36_3 Depth=1
	s_or_b32 exec_lo, exec_lo, s0
	v_mad_u64_u32 v[5:6], null, v4, s24, 0
	s_delay_alu instid0(VALU_DEP_2) | instskip(SKIP_1) | instid1(VALU_DEP_2)
	v_mad_u64_u32 v[9:10], null, v7, s28, 0
	s_mov_b32 s39, exec_lo
	v_sub_co_u32 v27, null, v0, v5
	s_delay_alu instid0(VALU_DEP_2) | instskip(NEXT) | instid1(VALU_DEP_1)
	v_sub_co_u32 v26, null, v4, v9
	v_sub_nc_u32_e32 v6, v27, v26
	s_delay_alu instid0(VALU_DEP_1) | instskip(NEXT) | instid1(VALU_DEP_1)
	v_add_nc_u32_e32 v3, 2, v6
	v_ashrrev_i32_e32 v4, 31, v3
	s_delay_alu instid0(VALU_DEP_1)
	v_cmpx_lt_i64_e64 s[4:5], v[3:4]
	s_cbranch_execz .LBB36_2
; %bb.12:                               ;   in Loop: Header=BB36_3 Depth=1
	s_clause 0x1
	s_load_b32 s40, s[8:9], 0x0
	s_load_b32 s0, s[10:11], 0x0
	s_and_not1_b32 vcc_lo, exec_lo, s37
	s_waitcnt lgkmcnt(0)
	v_mul_lo_u32 v3, s40, v27
	s_delay_alu instid0(VALU_DEP_1)
	v_mad_u64_u32 v[4:5], null, s0, v26, v[3:4]
	s_cbranch_vccnz .LBB36_58
; %bb.13:                               ;   in Loop: Header=BB36_3 Depth=1
	s_and_not1_b32 vcc_lo, exec_lo, s35
	s_cbranch_vccnz .LBB36_21
; %bb.14:                               ;   in Loop: Header=BB36_3 Depth=1
	v_dual_mov_b32 v10, v8 :: v_dual_mov_b32 v9, v7
	s_mov_b32 s22, s33
	s_mov_b32 s14, s31
.LBB36_15:                              ;   Parent Loop BB36_3 Depth=1
                                        ; =>  This Inner Loop Header: Depth=2
	s_delay_alu instid0(SALU_CYCLE_1) | instskip(NEXT) | instid1(SALU_CYCLE_1)
	s_lshl_b64 s[16:17], s[14:15], 2
                                        ; implicit-def: $vgpr7_vgpr8
	s_add_u32 s18, s26, s16
	s_addc_u32 s19, s27, s17
	s_load_b32 s23, s[18:19], 0x0
	s_mov_b32 s18, exec_lo
	s_waitcnt lgkmcnt(0)
	s_ashr_i32 s0, s23, 31
	s_delay_alu instid0(SALU_CYCLE_1) | instskip(NEXT) | instid1(VALU_DEP_1)
	v_or_b32_e32 v3, s0, v10
	v_cmpx_ne_u64_e32 0, v[2:3]
	s_xor_b32 s41, exec_lo, s18
	s_cbranch_execz .LBB36_17
; %bb.16:                               ;   in Loop: Header=BB36_15 Depth=2
	s_add_u32 s20, s23, s0
	s_mov_b32 s18, s0
	s_mov_b32 s19, s0
	s_addc_u32 s21, s0, s0
	s_delay_alu instid0(SALU_CYCLE_1) | instskip(NEXT) | instid1(SALU_CYCLE_1)
	s_xor_b64 s[20:21], s[20:21], s[18:19]
	v_cvt_f32_u32_e32 v3, s20
	v_cvt_f32_u32_e32 v5, s21
	s_sub_u32 s0, 0, s20
	s_subb_u32 s42, 0, s21
	s_delay_alu instid0(VALU_DEP_1) | instskip(NEXT) | instid1(VALU_DEP_1)
	v_fmac_f32_e32 v3, 0x4f800000, v5
	v_rcp_f32_e32 v3, v3
	s_waitcnt_depctr 0xfff
	v_mul_f32_e32 v3, 0x5f7ffffc, v3
	s_delay_alu instid0(VALU_DEP_1) | instskip(NEXT) | instid1(VALU_DEP_1)
	v_mul_f32_e32 v5, 0x2f800000, v3
	v_trunc_f32_e32 v5, v5
	s_delay_alu instid0(VALU_DEP_1) | instskip(SKIP_1) | instid1(VALU_DEP_2)
	v_fmac_f32_e32 v3, 0xcf800000, v5
	v_cvt_u32_f32_e32 v5, v5
	v_cvt_u32_f32_e32 v3, v3
	s_delay_alu instid0(VALU_DEP_2) | instskip(NEXT) | instid1(VALU_DEP_2)
	v_mul_lo_u32 v7, s0, v5
	v_mul_hi_u32 v8, s0, v3
	v_mul_lo_u32 v11, s42, v3
	s_delay_alu instid0(VALU_DEP_2) | instskip(SKIP_1) | instid1(VALU_DEP_2)
	v_add_nc_u32_e32 v7, v8, v7
	v_mul_lo_u32 v8, s0, v3
	v_add_nc_u32_e32 v7, v7, v11
	s_delay_alu instid0(VALU_DEP_2) | instskip(NEXT) | instid1(VALU_DEP_2)
	v_mul_hi_u32 v11, v3, v8
	v_mul_lo_u32 v12, v3, v7
	v_mul_hi_u32 v13, v3, v7
	v_mul_hi_u32 v14, v5, v8
	v_mul_lo_u32 v8, v5, v8
	v_mul_hi_u32 v15, v5, v7
	v_mul_lo_u32 v7, v5, v7
	v_add_co_u32 v11, vcc_lo, v11, v12
	v_add_co_ci_u32_e32 v12, vcc_lo, 0, v13, vcc_lo
	s_delay_alu instid0(VALU_DEP_2) | instskip(NEXT) | instid1(VALU_DEP_2)
	v_add_co_u32 v8, vcc_lo, v11, v8
	v_add_co_ci_u32_e32 v8, vcc_lo, v12, v14, vcc_lo
	v_add_co_ci_u32_e32 v11, vcc_lo, 0, v15, vcc_lo
	v_ashrrev_i32_e32 v14, 31, v10
	s_delay_alu instid0(VALU_DEP_3) | instskip(NEXT) | instid1(VALU_DEP_3)
	v_add_co_u32 v7, vcc_lo, v8, v7
	v_add_co_ci_u32_e32 v8, vcc_lo, 0, v11, vcc_lo
	s_delay_alu instid0(VALU_DEP_2) | instskip(NEXT) | instid1(VALU_DEP_2)
	v_add_co_u32 v3, vcc_lo, v3, v7
	v_add_co_ci_u32_e32 v5, vcc_lo, v5, v8, vcc_lo
	s_delay_alu instid0(VALU_DEP_2) | instskip(SKIP_1) | instid1(VALU_DEP_3)
	v_mul_hi_u32 v7, s0, v3
	v_mul_lo_u32 v11, s42, v3
	v_mul_lo_u32 v8, s0, v5
	s_delay_alu instid0(VALU_DEP_1) | instskip(SKIP_1) | instid1(VALU_DEP_2)
	v_add_nc_u32_e32 v7, v7, v8
	v_mul_lo_u32 v8, s0, v3
	v_add_nc_u32_e32 v7, v7, v11
	s_delay_alu instid0(VALU_DEP_2) | instskip(NEXT) | instid1(VALU_DEP_2)
	v_mul_hi_u32 v11, v3, v8
	v_mul_lo_u32 v12, v3, v7
	v_mul_hi_u32 v13, v3, v7
	v_mul_hi_u32 v15, v5, v8
	v_mul_lo_u32 v8, v5, v8
	v_mul_hi_u32 v16, v5, v7
	v_mul_lo_u32 v7, v5, v7
	v_add_co_u32 v11, vcc_lo, v11, v12
	v_add_co_ci_u32_e32 v12, vcc_lo, 0, v13, vcc_lo
	s_delay_alu instid0(VALU_DEP_2) | instskip(NEXT) | instid1(VALU_DEP_2)
	v_add_co_u32 v8, vcc_lo, v11, v8
	v_add_co_ci_u32_e32 v8, vcc_lo, v12, v15, vcc_lo
	v_add_co_ci_u32_e32 v11, vcc_lo, 0, v16, vcc_lo
	v_add_co_u32 v12, vcc_lo, v9, v14
	v_add_co_ci_u32_e32 v10, vcc_lo, v10, v14, vcc_lo
	s_delay_alu instid0(VALU_DEP_4) | instskip(NEXT) | instid1(VALU_DEP_4)
	v_add_co_u32 v7, vcc_lo, v8, v7
	v_add_co_ci_u32_e32 v8, vcc_lo, 0, v11, vcc_lo
	s_delay_alu instid0(VALU_DEP_4) | instskip(NEXT) | instid1(VALU_DEP_3)
	v_xor_b32_e32 v15, v12, v14
	v_add_co_u32 v3, vcc_lo, v3, v7
	s_delay_alu instid0(VALU_DEP_3) | instskip(SKIP_1) | instid1(VALU_DEP_3)
	v_add_co_ci_u32_e32 v5, vcc_lo, v5, v8, vcc_lo
	v_xor_b32_e32 v16, v10, v14
	v_mul_hi_u32 v17, v15, v3
	s_delay_alu instid0(VALU_DEP_3) | instskip(NEXT) | instid1(VALU_DEP_3)
	v_mad_u64_u32 v[7:8], null, v15, v5, 0
	v_mad_u64_u32 v[10:11], null, v16, v3, 0
	v_mad_u64_u32 v[12:13], null, v16, v5, 0
	s_delay_alu instid0(VALU_DEP_3) | instskip(NEXT) | instid1(VALU_DEP_4)
	v_add_co_u32 v3, vcc_lo, v17, v7
	v_add_co_ci_u32_e32 v5, vcc_lo, 0, v8, vcc_lo
	s_delay_alu instid0(VALU_DEP_2) | instskip(NEXT) | instid1(VALU_DEP_2)
	v_add_co_u32 v3, vcc_lo, v3, v10
	v_add_co_ci_u32_e32 v3, vcc_lo, v5, v11, vcc_lo
	v_add_co_ci_u32_e32 v5, vcc_lo, 0, v13, vcc_lo
	s_delay_alu instid0(VALU_DEP_2) | instskip(NEXT) | instid1(VALU_DEP_2)
	v_add_co_u32 v3, vcc_lo, v3, v12
	v_add_co_ci_u32_e32 v5, vcc_lo, 0, v5, vcc_lo
	s_delay_alu instid0(VALU_DEP_2) | instskip(SKIP_1) | instid1(VALU_DEP_3)
	v_mul_lo_u32 v10, s21, v3
	v_mad_u64_u32 v[7:8], null, s20, v3, 0
	v_mul_lo_u32 v11, s20, v5
	s_delay_alu instid0(VALU_DEP_2) | instskip(NEXT) | instid1(VALU_DEP_2)
	v_sub_co_u32 v7, vcc_lo, v15, v7
	v_add3_u32 v8, v8, v11, v10
	s_delay_alu instid0(VALU_DEP_1) | instskip(NEXT) | instid1(VALU_DEP_1)
	v_sub_nc_u32_e32 v10, v16, v8
	v_subrev_co_ci_u32_e64 v10, s0, s21, v10, vcc_lo
	v_add_co_u32 v11, s0, v3, 2
	s_delay_alu instid0(VALU_DEP_1) | instskip(SKIP_3) | instid1(VALU_DEP_3)
	v_add_co_ci_u32_e64 v12, s0, 0, v5, s0
	v_sub_co_u32 v13, s0, v7, s20
	v_sub_co_ci_u32_e32 v8, vcc_lo, v16, v8, vcc_lo
	v_subrev_co_ci_u32_e64 v10, s0, 0, v10, s0
	v_cmp_le_u32_e32 vcc_lo, s20, v13
	s_delay_alu instid0(VALU_DEP_3) | instskip(SKIP_1) | instid1(VALU_DEP_4)
	v_cmp_eq_u32_e64 s0, s21, v8
	v_cndmask_b32_e64 v13, 0, -1, vcc_lo
	v_cmp_le_u32_e32 vcc_lo, s21, v10
	v_cndmask_b32_e64 v15, 0, -1, vcc_lo
	v_cmp_le_u32_e32 vcc_lo, s20, v7
	;; [unrolled: 2-line block ×3, first 2 shown]
	v_cndmask_b32_e64 v16, 0, -1, vcc_lo
	v_cmp_eq_u32_e32 vcc_lo, s21, v10
	s_delay_alu instid0(VALU_DEP_2) | instskip(SKIP_3) | instid1(VALU_DEP_3)
	v_cndmask_b32_e64 v7, v16, v7, s0
	v_cndmask_b32_e32 v10, v15, v13, vcc_lo
	v_add_co_u32 v13, vcc_lo, v3, 1
	v_add_co_ci_u32_e32 v15, vcc_lo, 0, v5, vcc_lo
	v_cmp_ne_u32_e32 vcc_lo, 0, v10
	s_delay_alu instid0(VALU_DEP_3) | instskip(NEXT) | instid1(VALU_DEP_3)
	v_cndmask_b32_e32 v10, v13, v11, vcc_lo
	v_cndmask_b32_e32 v8, v15, v12, vcc_lo
	v_cmp_ne_u32_e32 vcc_lo, 0, v7
	v_xor_b32_e32 v7, s18, v14
	s_delay_alu instid0(VALU_DEP_4) | instskip(NEXT) | instid1(VALU_DEP_4)
	v_cndmask_b32_e32 v3, v3, v10, vcc_lo
	v_cndmask_b32_e32 v5, v5, v8, vcc_lo
	v_xor_b32_e32 v8, s19, v14
	s_delay_alu instid0(VALU_DEP_3) | instskip(NEXT) | instid1(VALU_DEP_2)
	v_xor_b32_e32 v3, v3, v7
	v_xor_b32_e32 v5, v5, v8
	s_delay_alu instid0(VALU_DEP_2) | instskip(NEXT) | instid1(VALU_DEP_2)
	v_sub_co_u32 v7, vcc_lo, v3, v7
	v_sub_co_ci_u32_e32 v8, vcc_lo, v5, v8, vcc_lo
.LBB36_17:                              ;   in Loop: Header=BB36_15 Depth=2
	s_and_not1_saveexec_b32 s0, s41
	s_cbranch_execz .LBB36_19
; %bb.18:                               ;   in Loop: Header=BB36_15 Depth=2
	v_cvt_f32_u32_e32 v3, s23
	s_sub_i32 s18, 0, s23
	s_delay_alu instid0(VALU_DEP_1) | instskip(SKIP_2) | instid1(VALU_DEP_1)
	v_rcp_iflag_f32_e32 v3, v3
	s_waitcnt_depctr 0xfff
	v_mul_f32_e32 v3, 0x4f7ffffe, v3
	v_cvt_u32_f32_e32 v3, v3
	s_delay_alu instid0(VALU_DEP_1) | instskip(NEXT) | instid1(VALU_DEP_1)
	v_mul_lo_u32 v5, s18, v3
	v_mul_hi_u32 v5, v3, v5
	s_delay_alu instid0(VALU_DEP_1) | instskip(NEXT) | instid1(VALU_DEP_1)
	v_add_nc_u32_e32 v3, v3, v5
	v_mul_hi_u32 v3, v9, v3
	s_delay_alu instid0(VALU_DEP_1) | instskip(SKIP_1) | instid1(VALU_DEP_2)
	v_mul_lo_u32 v5, v3, s23
	v_add_nc_u32_e32 v7, 1, v3
	v_sub_nc_u32_e32 v5, v9, v5
	s_delay_alu instid0(VALU_DEP_1) | instskip(SKIP_1) | instid1(VALU_DEP_2)
	v_subrev_nc_u32_e32 v8, s23, v5
	v_cmp_le_u32_e32 vcc_lo, s23, v5
	v_dual_cndmask_b32 v5, v5, v8 :: v_dual_mov_b32 v8, v2
	v_cndmask_b32_e32 v3, v3, v7, vcc_lo
	s_delay_alu instid0(VALU_DEP_2) | instskip(NEXT) | instid1(VALU_DEP_2)
	v_cmp_le_u32_e32 vcc_lo, s23, v5
	v_add_nc_u32_e32 v7, 1, v3
	s_delay_alu instid0(VALU_DEP_1)
	v_cndmask_b32_e32 v7, v3, v7, vcc_lo
.LBB36_19:                              ;   in Loop: Header=BB36_15 Depth=2
	s_or_b32 exec_lo, exec_lo, s0
	s_add_u32 s16, s30, s16
	s_addc_u32 s17, s1, s17
	s_delay_alu instid0(VALU_DEP_1) | instskip(SKIP_4) | instid1(VALU_DEP_1)
	v_mul_lo_u32 v3, v7, s23
	s_load_b32 s0, s[16:17], 0x0
	s_add_i32 s22, s22, -1
	s_add_i32 s14, s14, -1
	s_cmp_lg_u32 s22, 0
	v_sub_nc_u32_e32 v3, v9, v3
	s_waitcnt lgkmcnt(0)
	s_delay_alu instid0(VALU_DEP_1) | instskip(NEXT) | instid1(VALU_DEP_1)
	v_mad_u64_u32 v[9:10], null, s0, v3, v[4:5]
	v_mov_b32_e32 v4, v9
	s_cbranch_scc0 .LBB36_22
; %bb.20:                               ;   in Loop: Header=BB36_15 Depth=2
	v_dual_mov_b32 v10, v8 :: v_dual_mov_b32 v9, v7
	s_branch .LBB36_15
.LBB36_21:                              ;   in Loop: Header=BB36_3 Depth=1
	s_mov_b32 s14, s31
.LBB36_22:                              ;   in Loop: Header=BB36_3 Depth=1
	s_and_not1_b32 vcc_lo, exec_lo, s36
	s_cbranch_vccnz .LBB36_58
; %bb.23:                               ;   in Loop: Header=BB36_3 Depth=1
	s_add_i32 s16, s14, -7
.LBB36_24:                              ;   Parent Loop BB36_3 Depth=1
                                        ; =>  This Inner Loop Header: Depth=2
	s_delay_alu instid0(SALU_CYCLE_1) | instskip(NEXT) | instid1(SALU_CYCLE_1)
	s_add_i32 s14, s16, 7
                                        ; implicit-def: $vgpr9_vgpr10
	s_lshl_b64 s[18:19], s[14:15], 2
	s_mov_b32 s14, exec_lo
	s_add_u32 s20, s26, s18
	s_addc_u32 s21, s27, s19
	s_load_b32 s41, s[20:21], 0x0
	s_waitcnt lgkmcnt(0)
	s_ashr_i32 s0, s41, 31
	s_delay_alu instid0(SALU_CYCLE_1) | instskip(NEXT) | instid1(VALU_DEP_1)
	v_or_b32_e32 v3, s0, v8
	v_cmpx_ne_u64_e32 0, v[2:3]
	s_xor_b32 s14, exec_lo, s14
	s_cbranch_execz .LBB36_26
; %bb.25:                               ;   in Loop: Header=BB36_24 Depth=2
	s_add_u32 s22, s41, s0
	s_mov_b32 s20, s0
	s_mov_b32 s21, s0
	s_addc_u32 s23, s0, s0
	s_delay_alu instid0(SALU_CYCLE_1) | instskip(NEXT) | instid1(SALU_CYCLE_1)
	s_xor_b64 s[22:23], s[22:23], s[20:21]
	v_cvt_f32_u32_e32 v3, s22
	v_cvt_f32_u32_e32 v5, s23
	s_sub_u32 s0, 0, s22
	s_subb_u32 s17, 0, s23
	s_delay_alu instid0(VALU_DEP_1) | instskip(NEXT) | instid1(VALU_DEP_1)
	v_fmac_f32_e32 v3, 0x4f800000, v5
	v_rcp_f32_e32 v3, v3
	s_waitcnt_depctr 0xfff
	v_mul_f32_e32 v3, 0x5f7ffffc, v3
	s_delay_alu instid0(VALU_DEP_1) | instskip(NEXT) | instid1(VALU_DEP_1)
	v_mul_f32_e32 v5, 0x2f800000, v3
	v_trunc_f32_e32 v5, v5
	s_delay_alu instid0(VALU_DEP_1) | instskip(SKIP_1) | instid1(VALU_DEP_2)
	v_fmac_f32_e32 v3, 0xcf800000, v5
	v_cvt_u32_f32_e32 v5, v5
	v_cvt_u32_f32_e32 v3, v3
	s_delay_alu instid0(VALU_DEP_2) | instskip(NEXT) | instid1(VALU_DEP_2)
	v_mul_lo_u32 v9, s0, v5
	v_mul_hi_u32 v10, s0, v3
	v_mul_lo_u32 v11, s17, v3
	s_delay_alu instid0(VALU_DEP_2) | instskip(SKIP_1) | instid1(VALU_DEP_2)
	v_add_nc_u32_e32 v9, v10, v9
	v_mul_lo_u32 v10, s0, v3
	v_add_nc_u32_e32 v9, v9, v11
	s_delay_alu instid0(VALU_DEP_2) | instskip(NEXT) | instid1(VALU_DEP_2)
	v_mul_hi_u32 v11, v3, v10
	v_mul_lo_u32 v12, v3, v9
	v_mul_hi_u32 v13, v3, v9
	v_mul_hi_u32 v14, v5, v10
	v_mul_lo_u32 v10, v5, v10
	v_mul_hi_u32 v15, v5, v9
	v_mul_lo_u32 v9, v5, v9
	v_add_co_u32 v11, vcc_lo, v11, v12
	v_add_co_ci_u32_e32 v12, vcc_lo, 0, v13, vcc_lo
	s_delay_alu instid0(VALU_DEP_2) | instskip(NEXT) | instid1(VALU_DEP_2)
	v_add_co_u32 v10, vcc_lo, v11, v10
	v_add_co_ci_u32_e32 v10, vcc_lo, v12, v14, vcc_lo
	v_add_co_ci_u32_e32 v11, vcc_lo, 0, v15, vcc_lo
	v_ashrrev_i32_e32 v14, 31, v8
	s_delay_alu instid0(VALU_DEP_3) | instskip(NEXT) | instid1(VALU_DEP_3)
	v_add_co_u32 v9, vcc_lo, v10, v9
	v_add_co_ci_u32_e32 v10, vcc_lo, 0, v11, vcc_lo
	s_delay_alu instid0(VALU_DEP_2) | instskip(NEXT) | instid1(VALU_DEP_2)
	v_add_co_u32 v3, vcc_lo, v3, v9
	v_add_co_ci_u32_e32 v5, vcc_lo, v5, v10, vcc_lo
	s_delay_alu instid0(VALU_DEP_2) | instskip(SKIP_1) | instid1(VALU_DEP_3)
	v_mul_hi_u32 v9, s0, v3
	v_mul_lo_u32 v11, s17, v3
	v_mul_lo_u32 v10, s0, v5
	s_delay_alu instid0(VALU_DEP_1) | instskip(SKIP_1) | instid1(VALU_DEP_2)
	v_add_nc_u32_e32 v9, v9, v10
	v_mul_lo_u32 v10, s0, v3
	v_add_nc_u32_e32 v9, v9, v11
	s_delay_alu instid0(VALU_DEP_2) | instskip(NEXT) | instid1(VALU_DEP_2)
	v_mul_hi_u32 v11, v3, v10
	v_mul_lo_u32 v12, v3, v9
	v_mul_hi_u32 v13, v3, v9
	v_mul_hi_u32 v15, v5, v10
	v_mul_lo_u32 v10, v5, v10
	v_mul_hi_u32 v16, v5, v9
	v_mul_lo_u32 v9, v5, v9
	v_add_co_u32 v11, vcc_lo, v11, v12
	v_add_co_ci_u32_e32 v12, vcc_lo, 0, v13, vcc_lo
	s_delay_alu instid0(VALU_DEP_2) | instskip(NEXT) | instid1(VALU_DEP_2)
	v_add_co_u32 v10, vcc_lo, v11, v10
	v_add_co_ci_u32_e32 v10, vcc_lo, v12, v15, vcc_lo
	v_add_co_ci_u32_e32 v11, vcc_lo, 0, v16, vcc_lo
	v_add_co_u32 v12, vcc_lo, v7, v14
	v_add_co_ci_u32_e32 v8, vcc_lo, v8, v14, vcc_lo
	s_delay_alu instid0(VALU_DEP_4) | instskip(NEXT) | instid1(VALU_DEP_4)
	v_add_co_u32 v9, vcc_lo, v10, v9
	v_add_co_ci_u32_e32 v10, vcc_lo, 0, v11, vcc_lo
	s_delay_alu instid0(VALU_DEP_4) | instskip(NEXT) | instid1(VALU_DEP_3)
	v_xor_b32_e32 v15, v12, v14
	v_add_co_u32 v3, vcc_lo, v3, v9
	s_delay_alu instid0(VALU_DEP_3) | instskip(SKIP_1) | instid1(VALU_DEP_3)
	v_add_co_ci_u32_e32 v5, vcc_lo, v5, v10, vcc_lo
	v_xor_b32_e32 v16, v8, v14
	v_mul_hi_u32 v17, v15, v3
	s_delay_alu instid0(VALU_DEP_3) | instskip(NEXT) | instid1(VALU_DEP_3)
	v_mad_u64_u32 v[8:9], null, v15, v5, 0
	v_mad_u64_u32 v[10:11], null, v16, v3, 0
	;; [unrolled: 1-line block ×3, first 2 shown]
	s_delay_alu instid0(VALU_DEP_3) | instskip(NEXT) | instid1(VALU_DEP_4)
	v_add_co_u32 v3, vcc_lo, v17, v8
	v_add_co_ci_u32_e32 v5, vcc_lo, 0, v9, vcc_lo
	s_delay_alu instid0(VALU_DEP_2) | instskip(NEXT) | instid1(VALU_DEP_2)
	v_add_co_u32 v3, vcc_lo, v3, v10
	v_add_co_ci_u32_e32 v3, vcc_lo, v5, v11, vcc_lo
	v_add_co_ci_u32_e32 v5, vcc_lo, 0, v13, vcc_lo
	s_delay_alu instid0(VALU_DEP_2) | instskip(NEXT) | instid1(VALU_DEP_2)
	v_add_co_u32 v3, vcc_lo, v3, v12
	v_add_co_ci_u32_e32 v5, vcc_lo, 0, v5, vcc_lo
	s_delay_alu instid0(VALU_DEP_2) | instskip(SKIP_1) | instid1(VALU_DEP_3)
	v_mul_lo_u32 v10, s23, v3
	v_mad_u64_u32 v[8:9], null, s22, v3, 0
	v_mul_lo_u32 v11, s22, v5
	s_delay_alu instid0(VALU_DEP_2) | instskip(NEXT) | instid1(VALU_DEP_2)
	v_sub_co_u32 v8, vcc_lo, v15, v8
	v_add3_u32 v9, v9, v11, v10
	s_delay_alu instid0(VALU_DEP_1) | instskip(NEXT) | instid1(VALU_DEP_1)
	v_sub_nc_u32_e32 v10, v16, v9
	v_subrev_co_ci_u32_e64 v10, s0, s23, v10, vcc_lo
	v_add_co_u32 v11, s0, v3, 2
	s_delay_alu instid0(VALU_DEP_1) | instskip(SKIP_3) | instid1(VALU_DEP_3)
	v_add_co_ci_u32_e64 v12, s0, 0, v5, s0
	v_sub_co_u32 v13, s0, v8, s22
	v_sub_co_ci_u32_e32 v9, vcc_lo, v16, v9, vcc_lo
	v_subrev_co_ci_u32_e64 v10, s0, 0, v10, s0
	v_cmp_le_u32_e32 vcc_lo, s22, v13
	s_delay_alu instid0(VALU_DEP_3) | instskip(SKIP_1) | instid1(VALU_DEP_4)
	v_cmp_eq_u32_e64 s0, s23, v9
	v_cndmask_b32_e64 v13, 0, -1, vcc_lo
	v_cmp_le_u32_e32 vcc_lo, s23, v10
	v_cndmask_b32_e64 v15, 0, -1, vcc_lo
	v_cmp_le_u32_e32 vcc_lo, s22, v8
	;; [unrolled: 2-line block ×3, first 2 shown]
	v_cndmask_b32_e64 v16, 0, -1, vcc_lo
	v_cmp_eq_u32_e32 vcc_lo, s23, v10
	s_delay_alu instid0(VALU_DEP_2) | instskip(SKIP_3) | instid1(VALU_DEP_3)
	v_cndmask_b32_e64 v8, v16, v8, s0
	v_cndmask_b32_e32 v10, v15, v13, vcc_lo
	v_add_co_u32 v13, vcc_lo, v3, 1
	v_add_co_ci_u32_e32 v15, vcc_lo, 0, v5, vcc_lo
	v_cmp_ne_u32_e32 vcc_lo, 0, v10
	s_delay_alu instid0(VALU_DEP_2) | instskip(SKIP_2) | instid1(VALU_DEP_3)
	v_dual_cndmask_b32 v9, v15, v12 :: v_dual_cndmask_b32 v10, v13, v11
	v_cmp_ne_u32_e32 vcc_lo, 0, v8
	v_xor_b32_e32 v8, s20, v14
	v_cndmask_b32_e32 v3, v3, v10, vcc_lo
	s_delay_alu instid0(VALU_DEP_4) | instskip(SKIP_1) | instid1(VALU_DEP_3)
	v_cndmask_b32_e32 v5, v5, v9, vcc_lo
	v_xor_b32_e32 v10, s21, v14
	v_xor_b32_e32 v3, v3, v8
	s_delay_alu instid0(VALU_DEP_2) | instskip(NEXT) | instid1(VALU_DEP_2)
	v_xor_b32_e32 v5, v5, v10
	v_sub_co_u32 v9, vcc_lo, v3, v8
	s_delay_alu instid0(VALU_DEP_2)
	v_sub_co_ci_u32_e32 v10, vcc_lo, v5, v10, vcc_lo
.LBB36_26:                              ;   in Loop: Header=BB36_24 Depth=2
	s_and_not1_saveexec_b32 s0, s14
	s_cbranch_execz .LBB36_28
; %bb.27:                               ;   in Loop: Header=BB36_24 Depth=2
	v_cvt_f32_u32_e32 v3, s41
	s_sub_i32 s14, 0, s41
	v_mov_b32_e32 v10, v2
	s_delay_alu instid0(VALU_DEP_2) | instskip(SKIP_2) | instid1(VALU_DEP_1)
	v_rcp_iflag_f32_e32 v3, v3
	s_waitcnt_depctr 0xfff
	v_mul_f32_e32 v3, 0x4f7ffffe, v3
	v_cvt_u32_f32_e32 v3, v3
	s_delay_alu instid0(VALU_DEP_1) | instskip(NEXT) | instid1(VALU_DEP_1)
	v_mul_lo_u32 v5, s14, v3
	v_mul_hi_u32 v5, v3, v5
	s_delay_alu instid0(VALU_DEP_1) | instskip(NEXT) | instid1(VALU_DEP_1)
	v_add_nc_u32_e32 v3, v3, v5
	v_mul_hi_u32 v3, v7, v3
	s_delay_alu instid0(VALU_DEP_1) | instskip(NEXT) | instid1(VALU_DEP_1)
	v_mul_lo_u32 v5, v3, s41
	v_sub_nc_u32_e32 v5, v7, v5
	s_delay_alu instid0(VALU_DEP_1) | instskip(SKIP_1) | instid1(VALU_DEP_2)
	v_subrev_nc_u32_e32 v9, s41, v5
	v_cmp_le_u32_e32 vcc_lo, s41, v5
	v_dual_cndmask_b32 v5, v5, v9 :: v_dual_add_nc_u32 v8, 1, v3
	s_delay_alu instid0(VALU_DEP_1) | instskip(NEXT) | instid1(VALU_DEP_2)
	v_cndmask_b32_e32 v3, v3, v8, vcc_lo
	v_cmp_le_u32_e32 vcc_lo, s41, v5
	s_delay_alu instid0(VALU_DEP_2) | instskip(NEXT) | instid1(VALU_DEP_1)
	v_add_nc_u32_e32 v8, 1, v3
	v_cndmask_b32_e32 v9, v3, v8, vcc_lo
.LBB36_28:                              ;   in Loop: Header=BB36_24 Depth=2
	s_or_b32 exec_lo, exec_lo, s0
	s_add_u32 s20, s30, s18
	s_addc_u32 s21, s1, s19
	s_add_i32 s14, s16, 6
                                        ; implicit-def: $vgpr11_vgpr12
	s_delay_alu instid0(SALU_CYCLE_1)
	s_lshl_b64 s[18:19], s[14:15], 2
	s_mov_b32 s14, exec_lo
	s_add_u32 s22, s26, s18
	s_addc_u32 s23, s27, s19
	s_clause 0x1
	s_load_b32 s43, s[22:23], 0x0
	s_load_b32 s42, s[20:21], 0x0
	s_waitcnt lgkmcnt(0)
	s_ashr_i32 s0, s43, 31
	s_delay_alu instid0(SALU_CYCLE_1) | instskip(NEXT) | instid1(VALU_DEP_1)
	v_or_b32_e32 v3, s0, v10
	v_cmpx_ne_u64_e32 0, v[2:3]
	s_xor_b32 s14, exec_lo, s14
	s_cbranch_execz .LBB36_30
; %bb.29:                               ;   in Loop: Header=BB36_24 Depth=2
	s_add_u32 s22, s43, s0
	s_mov_b32 s20, s0
	s_mov_b32 s21, s0
	s_addc_u32 s23, s0, s0
	s_delay_alu instid0(SALU_CYCLE_1) | instskip(NEXT) | instid1(SALU_CYCLE_1)
	s_xor_b64 s[22:23], s[22:23], s[20:21]
	v_cvt_f32_u32_e32 v3, s22
	v_cvt_f32_u32_e32 v5, s23
	s_sub_u32 s0, 0, s22
	s_subb_u32 s17, 0, s23
	s_delay_alu instid0(VALU_DEP_1) | instskip(NEXT) | instid1(VALU_DEP_1)
	v_fmac_f32_e32 v3, 0x4f800000, v5
	v_rcp_f32_e32 v3, v3
	s_waitcnt_depctr 0xfff
	v_mul_f32_e32 v3, 0x5f7ffffc, v3
	s_delay_alu instid0(VALU_DEP_1) | instskip(NEXT) | instid1(VALU_DEP_1)
	v_mul_f32_e32 v5, 0x2f800000, v3
	v_trunc_f32_e32 v5, v5
	s_delay_alu instid0(VALU_DEP_1) | instskip(SKIP_1) | instid1(VALU_DEP_2)
	v_fmac_f32_e32 v3, 0xcf800000, v5
	v_cvt_u32_f32_e32 v5, v5
	v_cvt_u32_f32_e32 v3, v3
	s_delay_alu instid0(VALU_DEP_2) | instskip(NEXT) | instid1(VALU_DEP_2)
	v_mul_lo_u32 v8, s0, v5
	v_mul_hi_u32 v11, s0, v3
	v_mul_lo_u32 v12, s17, v3
	s_delay_alu instid0(VALU_DEP_2) | instskip(SKIP_1) | instid1(VALU_DEP_2)
	v_add_nc_u32_e32 v8, v11, v8
	v_mul_lo_u32 v11, s0, v3
	v_add_nc_u32_e32 v8, v8, v12
	s_delay_alu instid0(VALU_DEP_2) | instskip(NEXT) | instid1(VALU_DEP_2)
	v_mul_hi_u32 v12, v3, v11
	v_mul_lo_u32 v13, v3, v8
	v_mul_hi_u32 v14, v3, v8
	v_mul_hi_u32 v15, v5, v11
	v_mul_lo_u32 v11, v5, v11
	v_mul_hi_u32 v16, v5, v8
	v_mul_lo_u32 v8, v5, v8
	v_add_co_u32 v12, vcc_lo, v12, v13
	v_add_co_ci_u32_e32 v13, vcc_lo, 0, v14, vcc_lo
	s_delay_alu instid0(VALU_DEP_2) | instskip(NEXT) | instid1(VALU_DEP_2)
	v_add_co_u32 v11, vcc_lo, v12, v11
	v_add_co_ci_u32_e32 v11, vcc_lo, v13, v15, vcc_lo
	v_add_co_ci_u32_e32 v12, vcc_lo, 0, v16, vcc_lo
	v_ashrrev_i32_e32 v16, 31, v10
	s_delay_alu instid0(VALU_DEP_3) | instskip(NEXT) | instid1(VALU_DEP_3)
	v_add_co_u32 v8, vcc_lo, v11, v8
	v_add_co_ci_u32_e32 v11, vcc_lo, 0, v12, vcc_lo
	s_delay_alu instid0(VALU_DEP_2) | instskip(NEXT) | instid1(VALU_DEP_2)
	v_add_co_u32 v3, vcc_lo, v3, v8
	v_add_co_ci_u32_e32 v5, vcc_lo, v5, v11, vcc_lo
	s_delay_alu instid0(VALU_DEP_2) | instskip(SKIP_1) | instid1(VALU_DEP_3)
	v_mul_hi_u32 v8, s0, v3
	v_mul_lo_u32 v12, s17, v3
	v_mul_lo_u32 v11, s0, v5
	s_delay_alu instid0(VALU_DEP_1) | instskip(SKIP_1) | instid1(VALU_DEP_2)
	v_add_nc_u32_e32 v8, v8, v11
	v_mul_lo_u32 v11, s0, v3
	v_add_nc_u32_e32 v8, v8, v12
	s_delay_alu instid0(VALU_DEP_2) | instskip(NEXT) | instid1(VALU_DEP_2)
	v_mul_hi_u32 v12, v3, v11
	v_mul_lo_u32 v13, v3, v8
	v_mul_hi_u32 v14, v3, v8
	v_mul_hi_u32 v15, v5, v11
	v_mul_lo_u32 v11, v5, v11
	v_mul_hi_u32 v17, v5, v8
	v_mul_lo_u32 v8, v5, v8
	v_add_co_u32 v12, vcc_lo, v12, v13
	v_add_co_ci_u32_e32 v13, vcc_lo, 0, v14, vcc_lo
	s_delay_alu instid0(VALU_DEP_2) | instskip(NEXT) | instid1(VALU_DEP_2)
	v_add_co_u32 v11, vcc_lo, v12, v11
	v_add_co_ci_u32_e32 v11, vcc_lo, v13, v15, vcc_lo
	v_add_co_ci_u32_e32 v12, vcc_lo, 0, v17, vcc_lo
	v_add_co_u32 v13, vcc_lo, v9, v16
	v_add_co_ci_u32_e32 v10, vcc_lo, v10, v16, vcc_lo
	s_delay_alu instid0(VALU_DEP_4) | instskip(NEXT) | instid1(VALU_DEP_4)
	v_add_co_u32 v8, vcc_lo, v11, v8
	v_add_co_ci_u32_e32 v11, vcc_lo, 0, v12, vcc_lo
	s_delay_alu instid0(VALU_DEP_4) | instskip(NEXT) | instid1(VALU_DEP_3)
	v_xor_b32_e32 v17, v13, v16
	v_add_co_u32 v3, vcc_lo, v3, v8
	s_delay_alu instid0(VALU_DEP_3) | instskip(SKIP_1) | instid1(VALU_DEP_3)
	v_add_co_ci_u32_e32 v5, vcc_lo, v5, v11, vcc_lo
	v_xor_b32_e32 v8, v10, v16
	v_mul_hi_u32 v18, v17, v3
	s_delay_alu instid0(VALU_DEP_3) | instskip(NEXT) | instid1(VALU_DEP_3)
	v_mad_u64_u32 v[10:11], null, v17, v5, 0
	v_mad_u64_u32 v[12:13], null, v8, v3, 0
	;; [unrolled: 1-line block ×3, first 2 shown]
	s_delay_alu instid0(VALU_DEP_3) | instskip(NEXT) | instid1(VALU_DEP_4)
	v_add_co_u32 v3, vcc_lo, v18, v10
	v_add_co_ci_u32_e32 v5, vcc_lo, 0, v11, vcc_lo
	s_delay_alu instid0(VALU_DEP_2) | instskip(NEXT) | instid1(VALU_DEP_2)
	v_add_co_u32 v3, vcc_lo, v3, v12
	v_add_co_ci_u32_e32 v3, vcc_lo, v5, v13, vcc_lo
	v_add_co_ci_u32_e32 v5, vcc_lo, 0, v15, vcc_lo
	s_delay_alu instid0(VALU_DEP_2) | instskip(NEXT) | instid1(VALU_DEP_2)
	v_add_co_u32 v3, vcc_lo, v3, v14
	v_add_co_ci_u32_e32 v5, vcc_lo, 0, v5, vcc_lo
	s_delay_alu instid0(VALU_DEP_2) | instskip(SKIP_1) | instid1(VALU_DEP_3)
	v_mul_lo_u32 v12, s23, v3
	v_mad_u64_u32 v[10:11], null, s22, v3, 0
	v_mul_lo_u32 v13, s22, v5
	s_delay_alu instid0(VALU_DEP_2) | instskip(NEXT) | instid1(VALU_DEP_2)
	v_sub_co_u32 v10, vcc_lo, v17, v10
	v_add3_u32 v11, v11, v13, v12
	s_delay_alu instid0(VALU_DEP_1) | instskip(NEXT) | instid1(VALU_DEP_1)
	v_sub_nc_u32_e32 v12, v8, v11
	v_subrev_co_ci_u32_e64 v12, s0, s23, v12, vcc_lo
	v_add_co_u32 v13, s0, v3, 2
	s_delay_alu instid0(VALU_DEP_1) | instskip(SKIP_3) | instid1(VALU_DEP_3)
	v_add_co_ci_u32_e64 v14, s0, 0, v5, s0
	v_sub_co_u32 v15, s0, v10, s22
	v_sub_co_ci_u32_e32 v8, vcc_lo, v8, v11, vcc_lo
	v_subrev_co_ci_u32_e64 v12, s0, 0, v12, s0
	v_cmp_le_u32_e32 vcc_lo, s22, v15
	s_delay_alu instid0(VALU_DEP_3) | instskip(SKIP_1) | instid1(VALU_DEP_4)
	v_cmp_eq_u32_e64 s0, s23, v8
	v_cndmask_b32_e64 v11, 0, -1, vcc_lo
	v_cmp_le_u32_e32 vcc_lo, s23, v12
	v_cndmask_b32_e64 v15, 0, -1, vcc_lo
	v_cmp_le_u32_e32 vcc_lo, s22, v10
	;; [unrolled: 2-line block ×3, first 2 shown]
	v_cndmask_b32_e64 v17, 0, -1, vcc_lo
	v_cmp_eq_u32_e32 vcc_lo, s23, v12
	s_delay_alu instid0(VALU_DEP_2) | instskip(SKIP_3) | instid1(VALU_DEP_3)
	v_cndmask_b32_e64 v8, v17, v10, s0
	v_cndmask_b32_e32 v11, v15, v11, vcc_lo
	v_add_co_u32 v12, vcc_lo, v3, 1
	v_add_co_ci_u32_e32 v15, vcc_lo, 0, v5, vcc_lo
	v_cmp_ne_u32_e32 vcc_lo, 0, v11
	s_delay_alu instid0(VALU_DEP_2) | instskip(SKIP_2) | instid1(VALU_DEP_3)
	v_dual_cndmask_b32 v10, v15, v14 :: v_dual_cndmask_b32 v11, v12, v13
	v_cmp_ne_u32_e32 vcc_lo, 0, v8
	v_xor_b32_e32 v8, s20, v16
	v_cndmask_b32_e32 v3, v3, v11, vcc_lo
	s_delay_alu instid0(VALU_DEP_4) | instskip(SKIP_1) | instid1(VALU_DEP_3)
	v_cndmask_b32_e32 v5, v5, v10, vcc_lo
	v_xor_b32_e32 v10, s21, v16
	v_xor_b32_e32 v3, v3, v8
	s_delay_alu instid0(VALU_DEP_2) | instskip(NEXT) | instid1(VALU_DEP_2)
	v_xor_b32_e32 v5, v5, v10
	v_sub_co_u32 v11, vcc_lo, v3, v8
	s_delay_alu instid0(VALU_DEP_2)
	v_sub_co_ci_u32_e32 v12, vcc_lo, v5, v10, vcc_lo
.LBB36_30:                              ;   in Loop: Header=BB36_24 Depth=2
	s_and_not1_saveexec_b32 s0, s14
	s_cbranch_execz .LBB36_32
; %bb.31:                               ;   in Loop: Header=BB36_24 Depth=2
	v_cvt_f32_u32_e32 v3, s43
	s_sub_i32 s14, 0, s43
	v_mov_b32_e32 v12, v2
	s_delay_alu instid0(VALU_DEP_2) | instskip(SKIP_2) | instid1(VALU_DEP_1)
	v_rcp_iflag_f32_e32 v3, v3
	s_waitcnt_depctr 0xfff
	v_mul_f32_e32 v3, 0x4f7ffffe, v3
	v_cvt_u32_f32_e32 v3, v3
	s_delay_alu instid0(VALU_DEP_1) | instskip(NEXT) | instid1(VALU_DEP_1)
	v_mul_lo_u32 v5, s14, v3
	v_mul_hi_u32 v5, v3, v5
	s_delay_alu instid0(VALU_DEP_1) | instskip(NEXT) | instid1(VALU_DEP_1)
	v_add_nc_u32_e32 v3, v3, v5
	v_mul_hi_u32 v3, v9, v3
	s_delay_alu instid0(VALU_DEP_1) | instskip(NEXT) | instid1(VALU_DEP_1)
	v_mul_lo_u32 v5, v3, s43
	v_sub_nc_u32_e32 v5, v9, v5
	s_delay_alu instid0(VALU_DEP_1) | instskip(SKIP_1) | instid1(VALU_DEP_2)
	v_subrev_nc_u32_e32 v10, s43, v5
	v_cmp_le_u32_e32 vcc_lo, s43, v5
	v_dual_cndmask_b32 v5, v5, v10 :: v_dual_add_nc_u32 v8, 1, v3
	s_delay_alu instid0(VALU_DEP_1) | instskip(NEXT) | instid1(VALU_DEP_2)
	v_cndmask_b32_e32 v3, v3, v8, vcc_lo
	v_cmp_le_u32_e32 vcc_lo, s43, v5
	s_delay_alu instid0(VALU_DEP_2) | instskip(NEXT) | instid1(VALU_DEP_1)
	v_add_nc_u32_e32 v8, 1, v3
	v_cndmask_b32_e32 v11, v3, v8, vcc_lo
.LBB36_32:                              ;   in Loop: Header=BB36_24 Depth=2
	s_or_b32 exec_lo, exec_lo, s0
	s_add_u32 s20, s30, s18
	s_addc_u32 s21, s1, s19
	s_add_i32 s14, s16, 5
                                        ; implicit-def: $vgpr13_vgpr14
	s_delay_alu instid0(SALU_CYCLE_1)
	s_lshl_b64 s[18:19], s[14:15], 2
	s_mov_b32 s14, exec_lo
	s_add_u32 s22, s26, s18
	s_addc_u32 s23, s27, s19
	s_clause 0x1
	s_load_b32 s45, s[22:23], 0x0
	s_load_b32 s44, s[20:21], 0x0
	s_waitcnt lgkmcnt(0)
	s_ashr_i32 s0, s45, 31
	s_delay_alu instid0(SALU_CYCLE_1) | instskip(NEXT) | instid1(VALU_DEP_1)
	v_or_b32_e32 v3, s0, v12
	v_cmpx_ne_u64_e32 0, v[2:3]
	s_xor_b32 s14, exec_lo, s14
	s_cbranch_execz .LBB36_34
; %bb.33:                               ;   in Loop: Header=BB36_24 Depth=2
	s_add_u32 s22, s45, s0
	s_mov_b32 s20, s0
	s_mov_b32 s21, s0
	s_addc_u32 s23, s0, s0
	v_ashrrev_i32_e32 v18, 31, v12
	s_xor_b64 s[22:23], s[22:23], s[20:21]
	s_delay_alu instid0(SALU_CYCLE_1) | instskip(SKIP_3) | instid1(VALU_DEP_1)
	v_cvt_f32_u32_e32 v3, s22
	v_cvt_f32_u32_e32 v5, s23
	s_sub_u32 s0, 0, s22
	s_subb_u32 s17, 0, s23
	v_fmac_f32_e32 v3, 0x4f800000, v5
	s_delay_alu instid0(VALU_DEP_1) | instskip(SKIP_2) | instid1(VALU_DEP_1)
	v_rcp_f32_e32 v3, v3
	s_waitcnt_depctr 0xfff
	v_mul_f32_e32 v3, 0x5f7ffffc, v3
	v_mul_f32_e32 v5, 0x2f800000, v3
	s_delay_alu instid0(VALU_DEP_1) | instskip(NEXT) | instid1(VALU_DEP_1)
	v_trunc_f32_e32 v5, v5
	v_fmac_f32_e32 v3, 0xcf800000, v5
	v_cvt_u32_f32_e32 v5, v5
	s_delay_alu instid0(VALU_DEP_2) | instskip(NEXT) | instid1(VALU_DEP_2)
	v_cvt_u32_f32_e32 v3, v3
	v_mul_lo_u32 v8, s0, v5
	s_delay_alu instid0(VALU_DEP_2) | instskip(SKIP_1) | instid1(VALU_DEP_2)
	v_mul_hi_u32 v10, s0, v3
	v_mul_lo_u32 v13, s17, v3
	v_add_nc_u32_e32 v8, v10, v8
	v_mul_lo_u32 v10, s0, v3
	s_delay_alu instid0(VALU_DEP_2) | instskip(NEXT) | instid1(VALU_DEP_2)
	v_add_nc_u32_e32 v8, v8, v13
	v_mul_hi_u32 v13, v3, v10
	s_delay_alu instid0(VALU_DEP_2)
	v_mul_lo_u32 v14, v3, v8
	v_mul_hi_u32 v15, v3, v8
	v_mul_hi_u32 v16, v5, v10
	v_mul_lo_u32 v10, v5, v10
	v_mul_hi_u32 v17, v5, v8
	v_mul_lo_u32 v8, v5, v8
	v_add_co_u32 v13, vcc_lo, v13, v14
	v_add_co_ci_u32_e32 v14, vcc_lo, 0, v15, vcc_lo
	s_delay_alu instid0(VALU_DEP_2) | instskip(NEXT) | instid1(VALU_DEP_2)
	v_add_co_u32 v10, vcc_lo, v13, v10
	v_add_co_ci_u32_e32 v10, vcc_lo, v14, v16, vcc_lo
	v_add_co_ci_u32_e32 v13, vcc_lo, 0, v17, vcc_lo
	s_delay_alu instid0(VALU_DEP_2) | instskip(NEXT) | instid1(VALU_DEP_2)
	v_add_co_u32 v8, vcc_lo, v10, v8
	v_add_co_ci_u32_e32 v10, vcc_lo, 0, v13, vcc_lo
	s_delay_alu instid0(VALU_DEP_2) | instskip(NEXT) | instid1(VALU_DEP_2)
	v_add_co_u32 v3, vcc_lo, v3, v8
	v_add_co_ci_u32_e32 v5, vcc_lo, v5, v10, vcc_lo
	s_delay_alu instid0(VALU_DEP_2) | instskip(SKIP_1) | instid1(VALU_DEP_3)
	v_mul_hi_u32 v8, s0, v3
	v_mul_lo_u32 v13, s17, v3
	v_mul_lo_u32 v10, s0, v5
	s_delay_alu instid0(VALU_DEP_1) | instskip(SKIP_1) | instid1(VALU_DEP_2)
	v_add_nc_u32_e32 v8, v8, v10
	v_mul_lo_u32 v10, s0, v3
	v_add_nc_u32_e32 v8, v8, v13
	s_delay_alu instid0(VALU_DEP_2) | instskip(NEXT) | instid1(VALU_DEP_2)
	v_mul_hi_u32 v13, v3, v10
	v_mul_lo_u32 v14, v3, v8
	v_mul_hi_u32 v15, v3, v8
	v_mul_hi_u32 v16, v5, v10
	v_mul_lo_u32 v10, v5, v10
	v_mul_hi_u32 v17, v5, v8
	v_mul_lo_u32 v8, v5, v8
	v_add_co_u32 v13, vcc_lo, v13, v14
	v_add_co_ci_u32_e32 v14, vcc_lo, 0, v15, vcc_lo
	s_delay_alu instid0(VALU_DEP_2) | instskip(NEXT) | instid1(VALU_DEP_2)
	v_add_co_u32 v10, vcc_lo, v13, v10
	v_add_co_ci_u32_e32 v10, vcc_lo, v14, v16, vcc_lo
	v_add_co_ci_u32_e32 v13, vcc_lo, 0, v17, vcc_lo
	v_add_co_u32 v14, vcc_lo, v11, v18
	v_add_co_ci_u32_e32 v12, vcc_lo, v12, v18, vcc_lo
	s_delay_alu instid0(VALU_DEP_4) | instskip(NEXT) | instid1(VALU_DEP_4)
	v_add_co_u32 v8, vcc_lo, v10, v8
	v_add_co_ci_u32_e32 v10, vcc_lo, 0, v13, vcc_lo
	s_delay_alu instid0(VALU_DEP_4) | instskip(NEXT) | instid1(VALU_DEP_3)
	v_xor_b32_e32 v19, v14, v18
	v_add_co_u32 v3, vcc_lo, v3, v8
	s_delay_alu instid0(VALU_DEP_3) | instskip(SKIP_1) | instid1(VALU_DEP_3)
	v_add_co_ci_u32_e32 v5, vcc_lo, v5, v10, vcc_lo
	v_xor_b32_e32 v8, v12, v18
	v_mul_hi_u32 v10, v19, v3
	s_delay_alu instid0(VALU_DEP_3) | instskip(NEXT) | instid1(VALU_DEP_3)
	v_mad_u64_u32 v[12:13], null, v19, v5, 0
	v_mad_u64_u32 v[14:15], null, v8, v3, 0
	;; [unrolled: 1-line block ×3, first 2 shown]
	s_delay_alu instid0(VALU_DEP_3) | instskip(NEXT) | instid1(VALU_DEP_4)
	v_add_co_u32 v3, vcc_lo, v10, v12
	v_add_co_ci_u32_e32 v5, vcc_lo, 0, v13, vcc_lo
	s_delay_alu instid0(VALU_DEP_2) | instskip(NEXT) | instid1(VALU_DEP_2)
	v_add_co_u32 v3, vcc_lo, v3, v14
	v_add_co_ci_u32_e32 v3, vcc_lo, v5, v15, vcc_lo
	v_add_co_ci_u32_e32 v5, vcc_lo, 0, v17, vcc_lo
	s_delay_alu instid0(VALU_DEP_2) | instskip(NEXT) | instid1(VALU_DEP_2)
	v_add_co_u32 v3, vcc_lo, v3, v16
	v_add_co_ci_u32_e32 v5, vcc_lo, 0, v5, vcc_lo
	s_delay_alu instid0(VALU_DEP_2) | instskip(SKIP_1) | instid1(VALU_DEP_3)
	v_mul_lo_u32 v10, s23, v3
	v_mad_u64_u32 v[12:13], null, s22, v3, 0
	v_mul_lo_u32 v14, s22, v5
	s_delay_alu instid0(VALU_DEP_2) | instskip(NEXT) | instid1(VALU_DEP_2)
	v_sub_co_u32 v12, vcc_lo, v19, v12
	v_add3_u32 v10, v13, v14, v10
	s_delay_alu instid0(VALU_DEP_1) | instskip(NEXT) | instid1(VALU_DEP_1)
	v_sub_nc_u32_e32 v13, v8, v10
	v_subrev_co_ci_u32_e64 v13, s0, s23, v13, vcc_lo
	v_add_co_u32 v14, s0, v3, 2
	s_delay_alu instid0(VALU_DEP_1) | instskip(SKIP_3) | instid1(VALU_DEP_3)
	v_add_co_ci_u32_e64 v15, s0, 0, v5, s0
	v_sub_co_u32 v16, s0, v12, s22
	v_sub_co_ci_u32_e32 v8, vcc_lo, v8, v10, vcc_lo
	v_subrev_co_ci_u32_e64 v13, s0, 0, v13, s0
	v_cmp_le_u32_e32 vcc_lo, s22, v16
	s_delay_alu instid0(VALU_DEP_3) | instskip(SKIP_1) | instid1(VALU_DEP_4)
	v_cmp_eq_u32_e64 s0, s23, v8
	v_cndmask_b32_e64 v10, 0, -1, vcc_lo
	v_cmp_le_u32_e32 vcc_lo, s23, v13
	v_cndmask_b32_e64 v16, 0, -1, vcc_lo
	v_cmp_le_u32_e32 vcc_lo, s22, v12
	;; [unrolled: 2-line block ×3, first 2 shown]
	v_cndmask_b32_e64 v17, 0, -1, vcc_lo
	v_cmp_eq_u32_e32 vcc_lo, s23, v13
	s_delay_alu instid0(VALU_DEP_2) | instskip(SKIP_3) | instid1(VALU_DEP_3)
	v_cndmask_b32_e64 v8, v17, v12, s0
	v_cndmask_b32_e32 v10, v16, v10, vcc_lo
	v_add_co_u32 v13, vcc_lo, v3, 1
	v_add_co_ci_u32_e32 v16, vcc_lo, 0, v5, vcc_lo
	v_cmp_ne_u32_e32 vcc_lo, 0, v10
	s_delay_alu instid0(VALU_DEP_3) | instskip(NEXT) | instid1(VALU_DEP_3)
	v_cndmask_b32_e32 v12, v13, v14, vcc_lo
	v_cndmask_b32_e32 v10, v16, v15, vcc_lo
	v_cmp_ne_u32_e32 vcc_lo, 0, v8
	v_xor_b32_e32 v8, s20, v18
	s_delay_alu instid0(VALU_DEP_4) | instskip(NEXT) | instid1(VALU_DEP_4)
	v_cndmask_b32_e32 v3, v3, v12, vcc_lo
	v_cndmask_b32_e32 v5, v5, v10, vcc_lo
	v_xor_b32_e32 v10, s21, v18
	s_delay_alu instid0(VALU_DEP_3) | instskip(NEXT) | instid1(VALU_DEP_2)
	v_xor_b32_e32 v3, v3, v8
	v_xor_b32_e32 v5, v5, v10
	s_delay_alu instid0(VALU_DEP_2) | instskip(NEXT) | instid1(VALU_DEP_2)
	v_sub_co_u32 v13, vcc_lo, v3, v8
	v_sub_co_ci_u32_e32 v14, vcc_lo, v5, v10, vcc_lo
.LBB36_34:                              ;   in Loop: Header=BB36_24 Depth=2
	s_and_not1_saveexec_b32 s0, s14
	s_cbranch_execz .LBB36_36
; %bb.35:                               ;   in Loop: Header=BB36_24 Depth=2
	v_cvt_f32_u32_e32 v3, s45
	s_sub_i32 s14, 0, s45
	v_mov_b32_e32 v14, v2
	s_delay_alu instid0(VALU_DEP_2) | instskip(SKIP_2) | instid1(VALU_DEP_1)
	v_rcp_iflag_f32_e32 v3, v3
	s_waitcnt_depctr 0xfff
	v_mul_f32_e32 v3, 0x4f7ffffe, v3
	v_cvt_u32_f32_e32 v3, v3
	s_delay_alu instid0(VALU_DEP_1) | instskip(NEXT) | instid1(VALU_DEP_1)
	v_mul_lo_u32 v5, s14, v3
	v_mul_hi_u32 v5, v3, v5
	s_delay_alu instid0(VALU_DEP_1) | instskip(NEXT) | instid1(VALU_DEP_1)
	v_add_nc_u32_e32 v3, v3, v5
	v_mul_hi_u32 v3, v11, v3
	s_delay_alu instid0(VALU_DEP_1) | instskip(NEXT) | instid1(VALU_DEP_1)
	v_mul_lo_u32 v5, v3, s45
	v_sub_nc_u32_e32 v5, v11, v5
	s_delay_alu instid0(VALU_DEP_1) | instskip(SKIP_1) | instid1(VALU_DEP_2)
	v_subrev_nc_u32_e32 v10, s45, v5
	v_cmp_le_u32_e32 vcc_lo, s45, v5
	v_dual_cndmask_b32 v5, v5, v10 :: v_dual_add_nc_u32 v8, 1, v3
	s_delay_alu instid0(VALU_DEP_1) | instskip(NEXT) | instid1(VALU_DEP_2)
	v_cndmask_b32_e32 v3, v3, v8, vcc_lo
	v_cmp_le_u32_e32 vcc_lo, s45, v5
	s_delay_alu instid0(VALU_DEP_2) | instskip(NEXT) | instid1(VALU_DEP_1)
	v_add_nc_u32_e32 v8, 1, v3
	v_cndmask_b32_e32 v13, v3, v8, vcc_lo
.LBB36_36:                              ;   in Loop: Header=BB36_24 Depth=2
	s_or_b32 exec_lo, exec_lo, s0
	s_add_u32 s20, s30, s18
	s_addc_u32 s21, s1, s19
	s_add_i32 s14, s16, 4
                                        ; implicit-def: $vgpr15_vgpr16
	s_delay_alu instid0(SALU_CYCLE_1)
	s_lshl_b64 s[18:19], s[14:15], 2
	s_mov_b32 s14, exec_lo
	s_add_u32 s22, s26, s18
	s_addc_u32 s23, s27, s19
	s_clause 0x1
	s_load_b32 s47, s[22:23], 0x0
	s_load_b32 s46, s[20:21], 0x0
	s_waitcnt lgkmcnt(0)
	s_ashr_i32 s0, s47, 31
	s_delay_alu instid0(SALU_CYCLE_1) | instskip(NEXT) | instid1(VALU_DEP_1)
	v_or_b32_e32 v3, s0, v14
	v_cmpx_ne_u64_e32 0, v[2:3]
	s_xor_b32 s14, exec_lo, s14
	s_cbranch_execz .LBB36_38
; %bb.37:                               ;   in Loop: Header=BB36_24 Depth=2
	s_add_u32 s22, s47, s0
	s_mov_b32 s20, s0
	s_mov_b32 s21, s0
	s_addc_u32 s23, s0, s0
	v_ashrrev_i32_e32 v20, 31, v14
	s_xor_b64 s[22:23], s[22:23], s[20:21]
	s_delay_alu instid0(SALU_CYCLE_1) | instskip(SKIP_3) | instid1(VALU_DEP_1)
	v_cvt_f32_u32_e32 v3, s22
	v_cvt_f32_u32_e32 v5, s23
	s_sub_u32 s0, 0, s22
	s_subb_u32 s17, 0, s23
	v_fmac_f32_e32 v3, 0x4f800000, v5
	s_delay_alu instid0(VALU_DEP_1) | instskip(SKIP_2) | instid1(VALU_DEP_1)
	v_rcp_f32_e32 v3, v3
	s_waitcnt_depctr 0xfff
	v_mul_f32_e32 v3, 0x5f7ffffc, v3
	v_mul_f32_e32 v5, 0x2f800000, v3
	s_delay_alu instid0(VALU_DEP_1) | instskip(NEXT) | instid1(VALU_DEP_1)
	v_trunc_f32_e32 v5, v5
	v_fmac_f32_e32 v3, 0xcf800000, v5
	v_cvt_u32_f32_e32 v5, v5
	s_delay_alu instid0(VALU_DEP_2) | instskip(NEXT) | instid1(VALU_DEP_2)
	v_cvt_u32_f32_e32 v3, v3
	v_mul_lo_u32 v8, s0, v5
	s_delay_alu instid0(VALU_DEP_2) | instskip(SKIP_1) | instid1(VALU_DEP_2)
	v_mul_hi_u32 v10, s0, v3
	v_mul_lo_u32 v12, s17, v3
	v_add_nc_u32_e32 v8, v10, v8
	v_mul_lo_u32 v10, s0, v3
	s_delay_alu instid0(VALU_DEP_2) | instskip(NEXT) | instid1(VALU_DEP_2)
	v_add_nc_u32_e32 v8, v8, v12
	v_mul_hi_u32 v12, v3, v10
	s_delay_alu instid0(VALU_DEP_2)
	v_mul_lo_u32 v15, v3, v8
	v_mul_hi_u32 v16, v3, v8
	v_mul_hi_u32 v17, v5, v10
	v_mul_lo_u32 v10, v5, v10
	v_mul_hi_u32 v18, v5, v8
	v_mul_lo_u32 v8, v5, v8
	v_add_co_u32 v12, vcc_lo, v12, v15
	v_add_co_ci_u32_e32 v15, vcc_lo, 0, v16, vcc_lo
	s_delay_alu instid0(VALU_DEP_2) | instskip(NEXT) | instid1(VALU_DEP_2)
	v_add_co_u32 v10, vcc_lo, v12, v10
	v_add_co_ci_u32_e32 v10, vcc_lo, v15, v17, vcc_lo
	v_add_co_ci_u32_e32 v12, vcc_lo, 0, v18, vcc_lo
	s_delay_alu instid0(VALU_DEP_2) | instskip(NEXT) | instid1(VALU_DEP_2)
	v_add_co_u32 v8, vcc_lo, v10, v8
	v_add_co_ci_u32_e32 v10, vcc_lo, 0, v12, vcc_lo
	s_delay_alu instid0(VALU_DEP_2) | instskip(NEXT) | instid1(VALU_DEP_2)
	v_add_co_u32 v3, vcc_lo, v3, v8
	v_add_co_ci_u32_e32 v5, vcc_lo, v5, v10, vcc_lo
	s_delay_alu instid0(VALU_DEP_2) | instskip(SKIP_1) | instid1(VALU_DEP_3)
	v_mul_hi_u32 v8, s0, v3
	v_mul_lo_u32 v12, s17, v3
	v_mul_lo_u32 v10, s0, v5
	s_delay_alu instid0(VALU_DEP_1) | instskip(SKIP_1) | instid1(VALU_DEP_2)
	v_add_nc_u32_e32 v8, v8, v10
	v_mul_lo_u32 v10, s0, v3
	v_add_nc_u32_e32 v8, v8, v12
	s_delay_alu instid0(VALU_DEP_2) | instskip(NEXT) | instid1(VALU_DEP_2)
	v_mul_hi_u32 v12, v3, v10
	v_mul_lo_u32 v15, v3, v8
	v_mul_hi_u32 v16, v3, v8
	v_mul_hi_u32 v17, v5, v10
	v_mul_lo_u32 v10, v5, v10
	v_mul_hi_u32 v18, v5, v8
	v_mul_lo_u32 v8, v5, v8
	v_add_co_u32 v12, vcc_lo, v12, v15
	v_add_co_ci_u32_e32 v15, vcc_lo, 0, v16, vcc_lo
	s_delay_alu instid0(VALU_DEP_2) | instskip(NEXT) | instid1(VALU_DEP_2)
	v_add_co_u32 v10, vcc_lo, v12, v10
	v_add_co_ci_u32_e32 v10, vcc_lo, v15, v17, vcc_lo
	v_add_co_ci_u32_e32 v12, vcc_lo, 0, v18, vcc_lo
	v_add_co_u32 v15, vcc_lo, v13, v20
	v_add_co_ci_u32_e32 v14, vcc_lo, v14, v20, vcc_lo
	s_delay_alu instid0(VALU_DEP_4) | instskip(NEXT) | instid1(VALU_DEP_4)
	v_add_co_u32 v8, vcc_lo, v10, v8
	v_add_co_ci_u32_e32 v10, vcc_lo, 0, v12, vcc_lo
	s_delay_alu instid0(VALU_DEP_4) | instskip(NEXT) | instid1(VALU_DEP_3)
	v_xor_b32_e32 v12, v15, v20
	v_add_co_u32 v3, vcc_lo, v3, v8
	s_delay_alu instid0(VALU_DEP_3) | instskip(SKIP_1) | instid1(VALU_DEP_3)
	v_add_co_ci_u32_e32 v5, vcc_lo, v5, v10, vcc_lo
	v_xor_b32_e32 v8, v14, v20
	v_mul_hi_u32 v10, v12, v3
	s_delay_alu instid0(VALU_DEP_3) | instskip(NEXT) | instid1(VALU_DEP_3)
	v_mad_u64_u32 v[14:15], null, v12, v5, 0
	v_mad_u64_u32 v[16:17], null, v8, v3, 0
	;; [unrolled: 1-line block ×3, first 2 shown]
	s_delay_alu instid0(VALU_DEP_3) | instskip(NEXT) | instid1(VALU_DEP_4)
	v_add_co_u32 v3, vcc_lo, v10, v14
	v_add_co_ci_u32_e32 v5, vcc_lo, 0, v15, vcc_lo
	s_delay_alu instid0(VALU_DEP_2) | instskip(NEXT) | instid1(VALU_DEP_2)
	v_add_co_u32 v3, vcc_lo, v3, v16
	v_add_co_ci_u32_e32 v3, vcc_lo, v5, v17, vcc_lo
	v_add_co_ci_u32_e32 v5, vcc_lo, 0, v19, vcc_lo
	s_delay_alu instid0(VALU_DEP_2) | instskip(NEXT) | instid1(VALU_DEP_2)
	v_add_co_u32 v3, vcc_lo, v3, v18
	v_add_co_ci_u32_e32 v5, vcc_lo, 0, v5, vcc_lo
	s_delay_alu instid0(VALU_DEP_2) | instskip(SKIP_1) | instid1(VALU_DEP_3)
	v_mul_lo_u32 v10, s23, v3
	v_mad_u64_u32 v[14:15], null, s22, v3, 0
	v_mul_lo_u32 v16, s22, v5
	s_delay_alu instid0(VALU_DEP_2) | instskip(NEXT) | instid1(VALU_DEP_2)
	v_sub_co_u32 v12, vcc_lo, v12, v14
	v_add3_u32 v10, v15, v16, v10
	s_delay_alu instid0(VALU_DEP_1) | instskip(NEXT) | instid1(VALU_DEP_1)
	v_sub_nc_u32_e32 v15, v8, v10
	v_subrev_co_ci_u32_e64 v14, s0, s23, v15, vcc_lo
	v_add_co_u32 v15, s0, v3, 2
	s_delay_alu instid0(VALU_DEP_1) | instskip(SKIP_3) | instid1(VALU_DEP_3)
	v_add_co_ci_u32_e64 v16, s0, 0, v5, s0
	v_sub_co_u32 v17, s0, v12, s22
	v_sub_co_ci_u32_e32 v8, vcc_lo, v8, v10, vcc_lo
	v_subrev_co_ci_u32_e64 v14, s0, 0, v14, s0
	v_cmp_le_u32_e32 vcc_lo, s22, v17
	s_delay_alu instid0(VALU_DEP_3) | instskip(SKIP_1) | instid1(VALU_DEP_4)
	v_cmp_eq_u32_e64 s0, s23, v8
	v_cndmask_b32_e64 v10, 0, -1, vcc_lo
	v_cmp_le_u32_e32 vcc_lo, s23, v14
	v_cndmask_b32_e64 v17, 0, -1, vcc_lo
	v_cmp_le_u32_e32 vcc_lo, s22, v12
	;; [unrolled: 2-line block ×3, first 2 shown]
	v_cndmask_b32_e64 v18, 0, -1, vcc_lo
	v_cmp_eq_u32_e32 vcc_lo, s23, v14
	s_delay_alu instid0(VALU_DEP_2) | instskip(SKIP_3) | instid1(VALU_DEP_3)
	v_cndmask_b32_e64 v8, v18, v12, s0
	v_cndmask_b32_e32 v10, v17, v10, vcc_lo
	v_add_co_u32 v14, vcc_lo, v3, 1
	v_add_co_ci_u32_e32 v17, vcc_lo, 0, v5, vcc_lo
	v_cmp_ne_u32_e32 vcc_lo, 0, v10
	s_delay_alu instid0(VALU_DEP_2) | instskip(NEXT) | instid1(VALU_DEP_4)
	v_cndmask_b32_e32 v10, v17, v16, vcc_lo
	v_cndmask_b32_e32 v12, v14, v15, vcc_lo
	v_cmp_ne_u32_e32 vcc_lo, 0, v8
	v_xor_b32_e32 v8, s20, v20
	s_delay_alu instid0(VALU_DEP_4) | instskip(NEXT) | instid1(VALU_DEP_4)
	v_cndmask_b32_e32 v5, v5, v10, vcc_lo
	v_cndmask_b32_e32 v3, v3, v12, vcc_lo
	v_xor_b32_e32 v10, s21, v20
	s_delay_alu instid0(VALU_DEP_2) | instskip(NEXT) | instid1(VALU_DEP_2)
	v_xor_b32_e32 v3, v3, v8
	v_xor_b32_e32 v5, v5, v10
	s_delay_alu instid0(VALU_DEP_2) | instskip(NEXT) | instid1(VALU_DEP_2)
	v_sub_co_u32 v15, vcc_lo, v3, v8
	v_sub_co_ci_u32_e32 v16, vcc_lo, v5, v10, vcc_lo
.LBB36_38:                              ;   in Loop: Header=BB36_24 Depth=2
	s_and_not1_saveexec_b32 s0, s14
	s_cbranch_execz .LBB36_40
; %bb.39:                               ;   in Loop: Header=BB36_24 Depth=2
	v_cvt_f32_u32_e32 v3, s47
	s_sub_i32 s14, 0, s47
	v_mov_b32_e32 v16, v2
	s_delay_alu instid0(VALU_DEP_2) | instskip(SKIP_2) | instid1(VALU_DEP_1)
	v_rcp_iflag_f32_e32 v3, v3
	s_waitcnt_depctr 0xfff
	v_mul_f32_e32 v3, 0x4f7ffffe, v3
	v_cvt_u32_f32_e32 v3, v3
	s_delay_alu instid0(VALU_DEP_1) | instskip(NEXT) | instid1(VALU_DEP_1)
	v_mul_lo_u32 v5, s14, v3
	v_mul_hi_u32 v5, v3, v5
	s_delay_alu instid0(VALU_DEP_1) | instskip(NEXT) | instid1(VALU_DEP_1)
	v_add_nc_u32_e32 v3, v3, v5
	v_mul_hi_u32 v3, v13, v3
	s_delay_alu instid0(VALU_DEP_1) | instskip(NEXT) | instid1(VALU_DEP_1)
	v_mul_lo_u32 v5, v3, s47
	v_sub_nc_u32_e32 v5, v13, v5
	s_delay_alu instid0(VALU_DEP_1) | instskip(SKIP_1) | instid1(VALU_DEP_2)
	v_subrev_nc_u32_e32 v10, s47, v5
	v_cmp_le_u32_e32 vcc_lo, s47, v5
	v_dual_cndmask_b32 v5, v5, v10 :: v_dual_add_nc_u32 v8, 1, v3
	s_delay_alu instid0(VALU_DEP_1) | instskip(NEXT) | instid1(VALU_DEP_2)
	v_cndmask_b32_e32 v3, v3, v8, vcc_lo
	v_cmp_le_u32_e32 vcc_lo, s47, v5
	s_delay_alu instid0(VALU_DEP_2) | instskip(NEXT) | instid1(VALU_DEP_1)
	v_add_nc_u32_e32 v8, 1, v3
	v_cndmask_b32_e32 v15, v3, v8, vcc_lo
.LBB36_40:                              ;   in Loop: Header=BB36_24 Depth=2
	s_or_b32 exec_lo, exec_lo, s0
	s_add_u32 s20, s30, s18
	s_addc_u32 s21, s1, s19
	s_add_i32 s14, s16, 3
                                        ; implicit-def: $vgpr17_vgpr18
	s_delay_alu instid0(SALU_CYCLE_1)
	s_lshl_b64 s[18:19], s[14:15], 2
	s_mov_b32 s14, exec_lo
	s_add_u32 s22, s26, s18
	s_addc_u32 s23, s27, s19
	s_clause 0x1
	s_load_b32 s49, s[22:23], 0x0
	s_load_b32 s48, s[20:21], 0x0
	s_waitcnt lgkmcnt(0)
	s_ashr_i32 s0, s49, 31
	s_delay_alu instid0(SALU_CYCLE_1) | instskip(NEXT) | instid1(VALU_DEP_1)
	v_or_b32_e32 v3, s0, v16
	v_cmpx_ne_u64_e32 0, v[2:3]
	s_xor_b32 s14, exec_lo, s14
	s_cbranch_execz .LBB36_42
; %bb.41:                               ;   in Loop: Header=BB36_24 Depth=2
	s_add_u32 s22, s49, s0
	s_mov_b32 s20, s0
	s_mov_b32 s21, s0
	s_addc_u32 s23, s0, s0
	v_ashrrev_i32_e32 v22, 31, v16
	s_xor_b64 s[22:23], s[22:23], s[20:21]
	s_delay_alu instid0(SALU_CYCLE_1) | instskip(SKIP_3) | instid1(VALU_DEP_1)
	v_cvt_f32_u32_e32 v3, s22
	v_cvt_f32_u32_e32 v5, s23
	s_sub_u32 s0, 0, s22
	s_subb_u32 s17, 0, s23
	v_fmac_f32_e32 v3, 0x4f800000, v5
	s_delay_alu instid0(VALU_DEP_1) | instskip(SKIP_2) | instid1(VALU_DEP_1)
	v_rcp_f32_e32 v3, v3
	s_waitcnt_depctr 0xfff
	v_mul_f32_e32 v3, 0x5f7ffffc, v3
	v_mul_f32_e32 v5, 0x2f800000, v3
	s_delay_alu instid0(VALU_DEP_1) | instskip(NEXT) | instid1(VALU_DEP_1)
	v_trunc_f32_e32 v5, v5
	v_fmac_f32_e32 v3, 0xcf800000, v5
	v_cvt_u32_f32_e32 v5, v5
	s_delay_alu instid0(VALU_DEP_2) | instskip(NEXT) | instid1(VALU_DEP_2)
	v_cvt_u32_f32_e32 v3, v3
	v_mul_lo_u32 v8, s0, v5
	s_delay_alu instid0(VALU_DEP_2) | instskip(SKIP_1) | instid1(VALU_DEP_2)
	v_mul_hi_u32 v10, s0, v3
	v_mul_lo_u32 v12, s17, v3
	v_add_nc_u32_e32 v8, v10, v8
	v_mul_lo_u32 v10, s0, v3
	s_delay_alu instid0(VALU_DEP_2) | instskip(NEXT) | instid1(VALU_DEP_2)
	v_add_nc_u32_e32 v8, v8, v12
	v_mul_hi_u32 v12, v3, v10
	s_delay_alu instid0(VALU_DEP_2)
	v_mul_lo_u32 v14, v3, v8
	v_mul_hi_u32 v17, v3, v8
	v_mul_hi_u32 v18, v5, v10
	v_mul_lo_u32 v10, v5, v10
	v_mul_hi_u32 v19, v5, v8
	v_mul_lo_u32 v8, v5, v8
	v_add_co_u32 v12, vcc_lo, v12, v14
	v_add_co_ci_u32_e32 v14, vcc_lo, 0, v17, vcc_lo
	s_delay_alu instid0(VALU_DEP_2) | instskip(NEXT) | instid1(VALU_DEP_2)
	v_add_co_u32 v10, vcc_lo, v12, v10
	v_add_co_ci_u32_e32 v10, vcc_lo, v14, v18, vcc_lo
	v_add_co_ci_u32_e32 v12, vcc_lo, 0, v19, vcc_lo
	s_delay_alu instid0(VALU_DEP_2) | instskip(NEXT) | instid1(VALU_DEP_2)
	v_add_co_u32 v8, vcc_lo, v10, v8
	v_add_co_ci_u32_e32 v10, vcc_lo, 0, v12, vcc_lo
	s_delay_alu instid0(VALU_DEP_2) | instskip(NEXT) | instid1(VALU_DEP_2)
	v_add_co_u32 v3, vcc_lo, v3, v8
	v_add_co_ci_u32_e32 v5, vcc_lo, v5, v10, vcc_lo
	s_delay_alu instid0(VALU_DEP_2) | instskip(SKIP_1) | instid1(VALU_DEP_3)
	v_mul_hi_u32 v8, s0, v3
	v_mul_lo_u32 v12, s17, v3
	v_mul_lo_u32 v10, s0, v5
	s_delay_alu instid0(VALU_DEP_1) | instskip(SKIP_1) | instid1(VALU_DEP_2)
	v_add_nc_u32_e32 v8, v8, v10
	v_mul_lo_u32 v10, s0, v3
	v_add_nc_u32_e32 v8, v8, v12
	s_delay_alu instid0(VALU_DEP_2) | instskip(NEXT) | instid1(VALU_DEP_2)
	v_mul_hi_u32 v12, v3, v10
	v_mul_lo_u32 v14, v3, v8
	v_mul_hi_u32 v17, v3, v8
	v_mul_hi_u32 v18, v5, v10
	v_mul_lo_u32 v10, v5, v10
	v_mul_hi_u32 v19, v5, v8
	v_mul_lo_u32 v8, v5, v8
	v_add_co_u32 v12, vcc_lo, v12, v14
	v_add_co_ci_u32_e32 v14, vcc_lo, 0, v17, vcc_lo
	s_delay_alu instid0(VALU_DEP_2) | instskip(NEXT) | instid1(VALU_DEP_2)
	v_add_co_u32 v10, vcc_lo, v12, v10
	v_add_co_ci_u32_e32 v10, vcc_lo, v14, v18, vcc_lo
	v_add_co_ci_u32_e32 v12, vcc_lo, 0, v19, vcc_lo
	v_add_co_u32 v14, vcc_lo, v15, v22
	v_add_co_ci_u32_e32 v16, vcc_lo, v16, v22, vcc_lo
	s_delay_alu instid0(VALU_DEP_4) | instskip(NEXT) | instid1(VALU_DEP_4)
	v_add_co_u32 v8, vcc_lo, v10, v8
	v_add_co_ci_u32_e32 v10, vcc_lo, 0, v12, vcc_lo
	s_delay_alu instid0(VALU_DEP_4) | instskip(NEXT) | instid1(VALU_DEP_3)
	v_xor_b32_e32 v12, v14, v22
	v_add_co_u32 v3, vcc_lo, v3, v8
	s_delay_alu instid0(VALU_DEP_3) | instskip(SKIP_1) | instid1(VALU_DEP_3)
	v_add_co_ci_u32_e32 v5, vcc_lo, v5, v10, vcc_lo
	v_xor_b32_e32 v8, v16, v22
	v_mul_hi_u32 v10, v12, v3
	s_delay_alu instid0(VALU_DEP_3) | instskip(NEXT) | instid1(VALU_DEP_3)
	v_mad_u64_u32 v[16:17], null, v12, v5, 0
	v_mad_u64_u32 v[18:19], null, v8, v3, 0
	;; [unrolled: 1-line block ×3, first 2 shown]
	s_delay_alu instid0(VALU_DEP_3) | instskip(NEXT) | instid1(VALU_DEP_4)
	v_add_co_u32 v3, vcc_lo, v10, v16
	v_add_co_ci_u32_e32 v5, vcc_lo, 0, v17, vcc_lo
	s_delay_alu instid0(VALU_DEP_2) | instskip(NEXT) | instid1(VALU_DEP_2)
	v_add_co_u32 v3, vcc_lo, v3, v18
	v_add_co_ci_u32_e32 v3, vcc_lo, v5, v19, vcc_lo
	v_add_co_ci_u32_e32 v5, vcc_lo, 0, v21, vcc_lo
	s_delay_alu instid0(VALU_DEP_2) | instskip(NEXT) | instid1(VALU_DEP_2)
	v_add_co_u32 v3, vcc_lo, v3, v20
	v_add_co_ci_u32_e32 v5, vcc_lo, 0, v5, vcc_lo
	s_delay_alu instid0(VALU_DEP_2) | instskip(SKIP_1) | instid1(VALU_DEP_3)
	v_mul_lo_u32 v10, s23, v3
	v_mad_u64_u32 v[16:17], null, s22, v3, 0
	v_mul_lo_u32 v14, s22, v5
	s_delay_alu instid0(VALU_DEP_2) | instskip(NEXT) | instid1(VALU_DEP_2)
	v_sub_co_u32 v12, vcc_lo, v12, v16
	v_add3_u32 v10, v17, v14, v10
	s_delay_alu instid0(VALU_DEP_1) | instskip(NEXT) | instid1(VALU_DEP_1)
	v_sub_nc_u32_e32 v14, v8, v10
	v_subrev_co_ci_u32_e64 v14, s0, s23, v14, vcc_lo
	v_add_co_u32 v16, s0, v3, 2
	s_delay_alu instid0(VALU_DEP_1) | instskip(SKIP_3) | instid1(VALU_DEP_3)
	v_add_co_ci_u32_e64 v17, s0, 0, v5, s0
	v_sub_co_u32 v18, s0, v12, s22
	v_sub_co_ci_u32_e32 v8, vcc_lo, v8, v10, vcc_lo
	v_subrev_co_ci_u32_e64 v14, s0, 0, v14, s0
	v_cmp_le_u32_e32 vcc_lo, s22, v18
	s_delay_alu instid0(VALU_DEP_3) | instskip(SKIP_1) | instid1(VALU_DEP_4)
	v_cmp_eq_u32_e64 s0, s23, v8
	v_cndmask_b32_e64 v10, 0, -1, vcc_lo
	v_cmp_le_u32_e32 vcc_lo, s23, v14
	v_cndmask_b32_e64 v18, 0, -1, vcc_lo
	v_cmp_le_u32_e32 vcc_lo, s22, v12
	;; [unrolled: 2-line block ×3, first 2 shown]
	v_cndmask_b32_e64 v19, 0, -1, vcc_lo
	v_cmp_eq_u32_e32 vcc_lo, s23, v14
	s_delay_alu instid0(VALU_DEP_2) | instskip(SKIP_3) | instid1(VALU_DEP_3)
	v_cndmask_b32_e64 v8, v19, v12, s0
	v_cndmask_b32_e32 v10, v18, v10, vcc_lo
	v_add_co_u32 v14, vcc_lo, v3, 1
	v_add_co_ci_u32_e32 v18, vcc_lo, 0, v5, vcc_lo
	v_cmp_ne_u32_e32 vcc_lo, 0, v10
	s_delay_alu instid0(VALU_DEP_2) | instskip(NEXT) | instid1(VALU_DEP_4)
	v_cndmask_b32_e32 v10, v18, v17, vcc_lo
	v_cndmask_b32_e32 v12, v14, v16, vcc_lo
	v_cmp_ne_u32_e32 vcc_lo, 0, v8
	v_xor_b32_e32 v8, s20, v22
	s_delay_alu instid0(VALU_DEP_4) | instskip(NEXT) | instid1(VALU_DEP_4)
	v_cndmask_b32_e32 v5, v5, v10, vcc_lo
	v_cndmask_b32_e32 v3, v3, v12, vcc_lo
	v_xor_b32_e32 v10, s21, v22
	s_delay_alu instid0(VALU_DEP_2) | instskip(NEXT) | instid1(VALU_DEP_2)
	v_xor_b32_e32 v3, v3, v8
	v_xor_b32_e32 v5, v5, v10
	s_delay_alu instid0(VALU_DEP_2) | instskip(NEXT) | instid1(VALU_DEP_2)
	v_sub_co_u32 v17, vcc_lo, v3, v8
	v_sub_co_ci_u32_e32 v18, vcc_lo, v5, v10, vcc_lo
.LBB36_42:                              ;   in Loop: Header=BB36_24 Depth=2
	s_and_not1_saveexec_b32 s0, s14
	s_cbranch_execz .LBB36_44
; %bb.43:                               ;   in Loop: Header=BB36_24 Depth=2
	v_cvt_f32_u32_e32 v3, s49
	s_sub_i32 s14, 0, s49
	v_mov_b32_e32 v18, v2
	s_delay_alu instid0(VALU_DEP_2) | instskip(SKIP_2) | instid1(VALU_DEP_1)
	v_rcp_iflag_f32_e32 v3, v3
	s_waitcnt_depctr 0xfff
	v_mul_f32_e32 v3, 0x4f7ffffe, v3
	v_cvt_u32_f32_e32 v3, v3
	s_delay_alu instid0(VALU_DEP_1) | instskip(NEXT) | instid1(VALU_DEP_1)
	v_mul_lo_u32 v5, s14, v3
	v_mul_hi_u32 v5, v3, v5
	s_delay_alu instid0(VALU_DEP_1) | instskip(NEXT) | instid1(VALU_DEP_1)
	v_add_nc_u32_e32 v3, v3, v5
	v_mul_hi_u32 v3, v15, v3
	s_delay_alu instid0(VALU_DEP_1) | instskip(NEXT) | instid1(VALU_DEP_1)
	v_mul_lo_u32 v5, v3, s49
	v_sub_nc_u32_e32 v5, v15, v5
	s_delay_alu instid0(VALU_DEP_1) | instskip(SKIP_1) | instid1(VALU_DEP_2)
	v_subrev_nc_u32_e32 v10, s49, v5
	v_cmp_le_u32_e32 vcc_lo, s49, v5
	v_dual_cndmask_b32 v5, v5, v10 :: v_dual_add_nc_u32 v8, 1, v3
	s_delay_alu instid0(VALU_DEP_1) | instskip(NEXT) | instid1(VALU_DEP_2)
	v_cndmask_b32_e32 v3, v3, v8, vcc_lo
	v_cmp_le_u32_e32 vcc_lo, s49, v5
	s_delay_alu instid0(VALU_DEP_2) | instskip(NEXT) | instid1(VALU_DEP_1)
	v_add_nc_u32_e32 v8, 1, v3
	v_cndmask_b32_e32 v17, v3, v8, vcc_lo
.LBB36_44:                              ;   in Loop: Header=BB36_24 Depth=2
	s_or_b32 exec_lo, exec_lo, s0
	s_add_u32 s20, s30, s18
	s_addc_u32 s21, s1, s19
	s_add_i32 s14, s16, 2
                                        ; implicit-def: $vgpr19_vgpr20
	s_delay_alu instid0(SALU_CYCLE_1)
	s_lshl_b64 s[18:19], s[14:15], 2
	s_mov_b32 s14, exec_lo
	s_add_u32 s22, s26, s18
	s_addc_u32 s23, s27, s19
	s_clause 0x1
	s_load_b32 s51, s[22:23], 0x0
	s_load_b32 s50, s[20:21], 0x0
	s_waitcnt lgkmcnt(0)
	s_ashr_i32 s0, s51, 31
	s_delay_alu instid0(SALU_CYCLE_1) | instskip(NEXT) | instid1(VALU_DEP_1)
	v_or_b32_e32 v3, s0, v18
	v_cmpx_ne_u64_e32 0, v[2:3]
	s_xor_b32 s14, exec_lo, s14
	s_cbranch_execz .LBB36_46
; %bb.45:                               ;   in Loop: Header=BB36_24 Depth=2
	s_add_u32 s22, s51, s0
	s_mov_b32 s20, s0
	s_mov_b32 s21, s0
	s_addc_u32 s23, s0, s0
	v_ashrrev_i32_e32 v24, 31, v18
	s_xor_b64 s[22:23], s[22:23], s[20:21]
	s_delay_alu instid0(SALU_CYCLE_1) | instskip(SKIP_3) | instid1(VALU_DEP_1)
	v_cvt_f32_u32_e32 v3, s22
	v_cvt_f32_u32_e32 v5, s23
	s_sub_u32 s0, 0, s22
	s_subb_u32 s17, 0, s23
	v_fmac_f32_e32 v3, 0x4f800000, v5
	s_delay_alu instid0(VALU_DEP_1) | instskip(SKIP_2) | instid1(VALU_DEP_1)
	v_rcp_f32_e32 v3, v3
	s_waitcnt_depctr 0xfff
	v_mul_f32_e32 v3, 0x5f7ffffc, v3
	v_mul_f32_e32 v5, 0x2f800000, v3
	s_delay_alu instid0(VALU_DEP_1) | instskip(NEXT) | instid1(VALU_DEP_1)
	v_trunc_f32_e32 v5, v5
	v_fmac_f32_e32 v3, 0xcf800000, v5
	v_cvt_u32_f32_e32 v5, v5
	s_delay_alu instid0(VALU_DEP_2) | instskip(NEXT) | instid1(VALU_DEP_2)
	v_cvt_u32_f32_e32 v3, v3
	v_mul_lo_u32 v8, s0, v5
	s_delay_alu instid0(VALU_DEP_2) | instskip(SKIP_1) | instid1(VALU_DEP_2)
	v_mul_hi_u32 v10, s0, v3
	v_mul_lo_u32 v12, s17, v3
	v_add_nc_u32_e32 v8, v10, v8
	v_mul_lo_u32 v10, s0, v3
	s_delay_alu instid0(VALU_DEP_2) | instskip(NEXT) | instid1(VALU_DEP_2)
	v_add_nc_u32_e32 v8, v8, v12
	v_mul_hi_u32 v12, v3, v10
	s_delay_alu instid0(VALU_DEP_2)
	v_mul_lo_u32 v14, v3, v8
	v_mul_hi_u32 v16, v3, v8
	v_mul_hi_u32 v19, v5, v10
	v_mul_lo_u32 v10, v5, v10
	v_mul_hi_u32 v20, v5, v8
	v_mul_lo_u32 v8, v5, v8
	v_add_co_u32 v12, vcc_lo, v12, v14
	v_add_co_ci_u32_e32 v14, vcc_lo, 0, v16, vcc_lo
	s_delay_alu instid0(VALU_DEP_2) | instskip(NEXT) | instid1(VALU_DEP_2)
	v_add_co_u32 v10, vcc_lo, v12, v10
	v_add_co_ci_u32_e32 v10, vcc_lo, v14, v19, vcc_lo
	v_add_co_ci_u32_e32 v12, vcc_lo, 0, v20, vcc_lo
	s_delay_alu instid0(VALU_DEP_2) | instskip(NEXT) | instid1(VALU_DEP_2)
	v_add_co_u32 v8, vcc_lo, v10, v8
	v_add_co_ci_u32_e32 v10, vcc_lo, 0, v12, vcc_lo
	s_delay_alu instid0(VALU_DEP_2) | instskip(NEXT) | instid1(VALU_DEP_2)
	v_add_co_u32 v3, vcc_lo, v3, v8
	v_add_co_ci_u32_e32 v5, vcc_lo, v5, v10, vcc_lo
	s_delay_alu instid0(VALU_DEP_2) | instskip(SKIP_1) | instid1(VALU_DEP_3)
	v_mul_hi_u32 v8, s0, v3
	v_mul_lo_u32 v12, s17, v3
	v_mul_lo_u32 v10, s0, v5
	s_delay_alu instid0(VALU_DEP_1) | instskip(SKIP_1) | instid1(VALU_DEP_2)
	v_add_nc_u32_e32 v8, v8, v10
	v_mul_lo_u32 v10, s0, v3
	v_add_nc_u32_e32 v8, v8, v12
	s_delay_alu instid0(VALU_DEP_2) | instskip(NEXT) | instid1(VALU_DEP_2)
	v_mul_hi_u32 v12, v3, v10
	v_mul_lo_u32 v14, v3, v8
	v_mul_hi_u32 v16, v3, v8
	v_mul_hi_u32 v19, v5, v10
	v_mul_lo_u32 v10, v5, v10
	v_mul_hi_u32 v20, v5, v8
	v_mul_lo_u32 v8, v5, v8
	v_add_co_u32 v12, vcc_lo, v12, v14
	v_add_co_ci_u32_e32 v14, vcc_lo, 0, v16, vcc_lo
	s_delay_alu instid0(VALU_DEP_2) | instskip(NEXT) | instid1(VALU_DEP_2)
	v_add_co_u32 v10, vcc_lo, v12, v10
	v_add_co_ci_u32_e32 v10, vcc_lo, v14, v19, vcc_lo
	v_add_co_ci_u32_e32 v12, vcc_lo, 0, v20, vcc_lo
	v_add_co_u32 v14, vcc_lo, v17, v24
	v_add_co_ci_u32_e32 v16, vcc_lo, v18, v24, vcc_lo
	s_delay_alu instid0(VALU_DEP_4) | instskip(NEXT) | instid1(VALU_DEP_4)
	v_add_co_u32 v8, vcc_lo, v10, v8
	v_add_co_ci_u32_e32 v10, vcc_lo, 0, v12, vcc_lo
	s_delay_alu instid0(VALU_DEP_4) | instskip(NEXT) | instid1(VALU_DEP_3)
	v_xor_b32_e32 v12, v14, v24
	v_add_co_u32 v3, vcc_lo, v3, v8
	s_delay_alu instid0(VALU_DEP_3) | instskip(SKIP_1) | instid1(VALU_DEP_3)
	v_add_co_ci_u32_e32 v5, vcc_lo, v5, v10, vcc_lo
	v_xor_b32_e32 v8, v16, v24
	v_mul_hi_u32 v10, v12, v3
	s_delay_alu instid0(VALU_DEP_3) | instskip(NEXT) | instid1(VALU_DEP_3)
	v_mad_u64_u32 v[18:19], null, v12, v5, 0
	v_mad_u64_u32 v[20:21], null, v8, v3, 0
	;; [unrolled: 1-line block ×3, first 2 shown]
	s_delay_alu instid0(VALU_DEP_3) | instskip(NEXT) | instid1(VALU_DEP_4)
	v_add_co_u32 v3, vcc_lo, v10, v18
	v_add_co_ci_u32_e32 v5, vcc_lo, 0, v19, vcc_lo
	s_delay_alu instid0(VALU_DEP_2) | instskip(NEXT) | instid1(VALU_DEP_2)
	v_add_co_u32 v3, vcc_lo, v3, v20
	v_add_co_ci_u32_e32 v3, vcc_lo, v5, v21, vcc_lo
	v_add_co_ci_u32_e32 v5, vcc_lo, 0, v23, vcc_lo
	s_delay_alu instid0(VALU_DEP_2) | instskip(NEXT) | instid1(VALU_DEP_2)
	v_add_co_u32 v3, vcc_lo, v3, v22
	v_add_co_ci_u32_e32 v5, vcc_lo, 0, v5, vcc_lo
	s_delay_alu instid0(VALU_DEP_2) | instskip(SKIP_1) | instid1(VALU_DEP_3)
	v_mul_lo_u32 v10, s23, v3
	v_mad_u64_u32 v[18:19], null, s22, v3, 0
	v_mul_lo_u32 v14, s22, v5
	s_delay_alu instid0(VALU_DEP_2) | instskip(NEXT) | instid1(VALU_DEP_2)
	v_sub_co_u32 v12, vcc_lo, v12, v18
	v_add3_u32 v10, v19, v14, v10
	s_delay_alu instid0(VALU_DEP_1) | instskip(NEXT) | instid1(VALU_DEP_1)
	v_sub_nc_u32_e32 v14, v8, v10
	v_subrev_co_ci_u32_e64 v14, s0, s23, v14, vcc_lo
	v_add_co_u32 v16, s0, v3, 2
	s_delay_alu instid0(VALU_DEP_1) | instskip(SKIP_3) | instid1(VALU_DEP_3)
	v_add_co_ci_u32_e64 v18, s0, 0, v5, s0
	v_sub_co_u32 v19, s0, v12, s22
	v_sub_co_ci_u32_e32 v8, vcc_lo, v8, v10, vcc_lo
	v_subrev_co_ci_u32_e64 v14, s0, 0, v14, s0
	v_cmp_le_u32_e32 vcc_lo, s22, v19
	s_delay_alu instid0(VALU_DEP_3) | instskip(SKIP_1) | instid1(VALU_DEP_4)
	v_cmp_eq_u32_e64 s0, s23, v8
	v_cndmask_b32_e64 v10, 0, -1, vcc_lo
	v_cmp_le_u32_e32 vcc_lo, s23, v14
	v_cndmask_b32_e64 v19, 0, -1, vcc_lo
	v_cmp_le_u32_e32 vcc_lo, s22, v12
	;; [unrolled: 2-line block ×3, first 2 shown]
	v_cndmask_b32_e64 v20, 0, -1, vcc_lo
	v_cmp_eq_u32_e32 vcc_lo, s23, v14
	s_delay_alu instid0(VALU_DEP_2) | instskip(SKIP_3) | instid1(VALU_DEP_3)
	v_cndmask_b32_e64 v8, v20, v12, s0
	v_cndmask_b32_e32 v10, v19, v10, vcc_lo
	v_add_co_u32 v14, vcc_lo, v3, 1
	v_add_co_ci_u32_e32 v19, vcc_lo, 0, v5, vcc_lo
	v_cmp_ne_u32_e32 vcc_lo, 0, v10
	s_delay_alu instid0(VALU_DEP_2) | instskip(NEXT) | instid1(VALU_DEP_4)
	v_cndmask_b32_e32 v10, v19, v18, vcc_lo
	v_cndmask_b32_e32 v12, v14, v16, vcc_lo
	v_cmp_ne_u32_e32 vcc_lo, 0, v8
	v_xor_b32_e32 v8, s20, v24
	s_delay_alu instid0(VALU_DEP_4) | instskip(NEXT) | instid1(VALU_DEP_4)
	v_cndmask_b32_e32 v5, v5, v10, vcc_lo
	v_cndmask_b32_e32 v3, v3, v12, vcc_lo
	v_xor_b32_e32 v10, s21, v24
	s_delay_alu instid0(VALU_DEP_2) | instskip(NEXT) | instid1(VALU_DEP_2)
	v_xor_b32_e32 v3, v3, v8
	v_xor_b32_e32 v5, v5, v10
	s_delay_alu instid0(VALU_DEP_2) | instskip(NEXT) | instid1(VALU_DEP_2)
	v_sub_co_u32 v19, vcc_lo, v3, v8
	v_sub_co_ci_u32_e32 v20, vcc_lo, v5, v10, vcc_lo
.LBB36_46:                              ;   in Loop: Header=BB36_24 Depth=2
	s_and_not1_saveexec_b32 s0, s14
	s_cbranch_execz .LBB36_48
; %bb.47:                               ;   in Loop: Header=BB36_24 Depth=2
	v_cvt_f32_u32_e32 v3, s51
	s_sub_i32 s14, 0, s51
	v_mov_b32_e32 v20, v2
	s_delay_alu instid0(VALU_DEP_2) | instskip(SKIP_2) | instid1(VALU_DEP_1)
	v_rcp_iflag_f32_e32 v3, v3
	s_waitcnt_depctr 0xfff
	v_mul_f32_e32 v3, 0x4f7ffffe, v3
	v_cvt_u32_f32_e32 v3, v3
	s_delay_alu instid0(VALU_DEP_1) | instskip(NEXT) | instid1(VALU_DEP_1)
	v_mul_lo_u32 v5, s14, v3
	v_mul_hi_u32 v5, v3, v5
	s_delay_alu instid0(VALU_DEP_1) | instskip(NEXT) | instid1(VALU_DEP_1)
	v_add_nc_u32_e32 v3, v3, v5
	v_mul_hi_u32 v3, v17, v3
	s_delay_alu instid0(VALU_DEP_1) | instskip(NEXT) | instid1(VALU_DEP_1)
	v_mul_lo_u32 v5, v3, s51
	v_sub_nc_u32_e32 v5, v17, v5
	s_delay_alu instid0(VALU_DEP_1) | instskip(SKIP_1) | instid1(VALU_DEP_2)
	v_subrev_nc_u32_e32 v10, s51, v5
	v_cmp_le_u32_e32 vcc_lo, s51, v5
	v_dual_cndmask_b32 v5, v5, v10 :: v_dual_add_nc_u32 v8, 1, v3
	s_delay_alu instid0(VALU_DEP_1) | instskip(NEXT) | instid1(VALU_DEP_2)
	v_cndmask_b32_e32 v3, v3, v8, vcc_lo
	v_cmp_le_u32_e32 vcc_lo, s51, v5
	s_delay_alu instid0(VALU_DEP_2) | instskip(NEXT) | instid1(VALU_DEP_1)
	v_add_nc_u32_e32 v8, 1, v3
	v_cndmask_b32_e32 v19, v3, v8, vcc_lo
.LBB36_48:                              ;   in Loop: Header=BB36_24 Depth=2
	s_or_b32 exec_lo, exec_lo, s0
	s_add_u32 s20, s30, s18
	s_addc_u32 s21, s1, s19
	s_add_i32 s14, s16, 1
	s_mov_b32 s17, exec_lo
	s_lshl_b64 s[18:19], s[14:15], 2
                                        ; implicit-def: $vgpr21_vgpr22
	s_delay_alu instid0(SALU_CYCLE_1)
	s_add_u32 s22, s26, s18
	s_addc_u32 s23, s27, s19
	s_clause 0x1
	s_load_b32 s52, s[22:23], 0x0
	s_load_b32 s14, s[20:21], 0x0
	s_waitcnt lgkmcnt(0)
	s_ashr_i32 s0, s52, 31
	s_delay_alu instid0(SALU_CYCLE_1) | instskip(NEXT) | instid1(VALU_DEP_1)
	v_or_b32_e32 v3, s0, v20
	v_cmpx_ne_u64_e32 0, v[2:3]
	s_xor_b32 s17, exec_lo, s17
	s_cbranch_execz .LBB36_50
; %bb.49:                               ;   in Loop: Header=BB36_24 Depth=2
	s_add_u32 s22, s52, s0
	s_mov_b32 s20, s0
	s_mov_b32 s21, s0
	s_addc_u32 s23, s0, s0
	s_delay_alu instid0(SALU_CYCLE_1) | instskip(NEXT) | instid1(SALU_CYCLE_1)
	s_xor_b64 s[22:23], s[22:23], s[20:21]
	v_cvt_f32_u32_e32 v3, s22
	v_cvt_f32_u32_e32 v5, s23
	s_sub_u32 s0, 0, s22
	s_subb_u32 s53, 0, s23
	s_delay_alu instid0(VALU_DEP_1) | instskip(NEXT) | instid1(VALU_DEP_1)
	v_fmac_f32_e32 v3, 0x4f800000, v5
	v_rcp_f32_e32 v3, v3
	s_waitcnt_depctr 0xfff
	v_mul_f32_e32 v3, 0x5f7ffffc, v3
	s_delay_alu instid0(VALU_DEP_1) | instskip(NEXT) | instid1(VALU_DEP_1)
	v_mul_f32_e32 v5, 0x2f800000, v3
	v_trunc_f32_e32 v5, v5
	s_delay_alu instid0(VALU_DEP_1) | instskip(SKIP_1) | instid1(VALU_DEP_2)
	v_fmac_f32_e32 v3, 0xcf800000, v5
	v_cvt_u32_f32_e32 v5, v5
	v_cvt_u32_f32_e32 v3, v3
	s_delay_alu instid0(VALU_DEP_2) | instskip(NEXT) | instid1(VALU_DEP_2)
	v_mul_lo_u32 v8, s0, v5
	v_mul_hi_u32 v10, s0, v3
	v_mul_lo_u32 v12, s53, v3
	s_delay_alu instid0(VALU_DEP_2) | instskip(SKIP_1) | instid1(VALU_DEP_2)
	v_add_nc_u32_e32 v8, v10, v8
	v_mul_lo_u32 v10, s0, v3
	v_add_nc_u32_e32 v8, v8, v12
	s_delay_alu instid0(VALU_DEP_2) | instskip(NEXT) | instid1(VALU_DEP_2)
	v_mul_hi_u32 v12, v3, v10
	v_mul_lo_u32 v14, v3, v8
	v_mul_hi_u32 v16, v3, v8
	v_mul_hi_u32 v18, v5, v10
	v_mul_lo_u32 v10, v5, v10
	v_mul_hi_u32 v21, v5, v8
	v_mul_lo_u32 v8, v5, v8
	v_add_co_u32 v12, vcc_lo, v12, v14
	v_add_co_ci_u32_e32 v14, vcc_lo, 0, v16, vcc_lo
	s_delay_alu instid0(VALU_DEP_2) | instskip(NEXT) | instid1(VALU_DEP_2)
	v_add_co_u32 v10, vcc_lo, v12, v10
	v_add_co_ci_u32_e32 v10, vcc_lo, v14, v18, vcc_lo
	v_add_co_ci_u32_e32 v12, vcc_lo, 0, v21, vcc_lo
	v_ashrrev_i32_e32 v18, 31, v20
	s_delay_alu instid0(VALU_DEP_3) | instskip(NEXT) | instid1(VALU_DEP_3)
	v_add_co_u32 v8, vcc_lo, v10, v8
	v_add_co_ci_u32_e32 v10, vcc_lo, 0, v12, vcc_lo
	s_delay_alu instid0(VALU_DEP_2) | instskip(NEXT) | instid1(VALU_DEP_2)
	v_add_co_u32 v3, vcc_lo, v3, v8
	v_add_co_ci_u32_e32 v5, vcc_lo, v5, v10, vcc_lo
	s_delay_alu instid0(VALU_DEP_2) | instskip(SKIP_1) | instid1(VALU_DEP_3)
	v_mul_hi_u32 v8, s0, v3
	v_mul_lo_u32 v12, s53, v3
	v_mul_lo_u32 v10, s0, v5
	s_delay_alu instid0(VALU_DEP_1) | instskip(SKIP_1) | instid1(VALU_DEP_2)
	v_add_nc_u32_e32 v8, v8, v10
	v_mul_lo_u32 v10, s0, v3
	v_add_nc_u32_e32 v8, v8, v12
	s_delay_alu instid0(VALU_DEP_2) | instskip(NEXT) | instid1(VALU_DEP_2)
	v_mul_hi_u32 v12, v3, v10
	v_mul_lo_u32 v14, v3, v8
	v_mul_hi_u32 v16, v3, v8
	v_mul_hi_u32 v21, v5, v10
	v_mul_lo_u32 v10, v5, v10
	v_mul_hi_u32 v22, v5, v8
	v_mul_lo_u32 v8, v5, v8
	v_add_co_u32 v12, vcc_lo, v12, v14
	v_add_co_ci_u32_e32 v14, vcc_lo, 0, v16, vcc_lo
	s_delay_alu instid0(VALU_DEP_2) | instskip(NEXT) | instid1(VALU_DEP_2)
	v_add_co_u32 v10, vcc_lo, v12, v10
	v_add_co_ci_u32_e32 v10, vcc_lo, v14, v21, vcc_lo
	v_add_co_ci_u32_e32 v12, vcc_lo, 0, v22, vcc_lo
	v_add_co_u32 v14, vcc_lo, v19, v18
	v_add_co_ci_u32_e32 v16, vcc_lo, v20, v18, vcc_lo
	s_delay_alu instid0(VALU_DEP_4) | instskip(NEXT) | instid1(VALU_DEP_4)
	v_add_co_u32 v8, vcc_lo, v10, v8
	v_add_co_ci_u32_e32 v10, vcc_lo, 0, v12, vcc_lo
	s_delay_alu instid0(VALU_DEP_4) | instskip(NEXT) | instid1(VALU_DEP_3)
	v_xor_b32_e32 v12, v14, v18
	v_add_co_u32 v3, vcc_lo, v3, v8
	s_delay_alu instid0(VALU_DEP_3) | instskip(SKIP_1) | instid1(VALU_DEP_3)
	v_add_co_ci_u32_e32 v5, vcc_lo, v5, v10, vcc_lo
	v_xor_b32_e32 v8, v16, v18
	v_mul_hi_u32 v10, v12, v3
	s_delay_alu instid0(VALU_DEP_3) | instskip(NEXT) | instid1(VALU_DEP_3)
	v_mad_u64_u32 v[20:21], null, v12, v5, 0
	v_mad_u64_u32 v[22:23], null, v8, v3, 0
	;; [unrolled: 1-line block ×3, first 2 shown]
	s_delay_alu instid0(VALU_DEP_3) | instskip(NEXT) | instid1(VALU_DEP_4)
	v_add_co_u32 v3, vcc_lo, v10, v20
	v_add_co_ci_u32_e32 v5, vcc_lo, 0, v21, vcc_lo
	s_delay_alu instid0(VALU_DEP_2) | instskip(NEXT) | instid1(VALU_DEP_2)
	v_add_co_u32 v3, vcc_lo, v3, v22
	v_add_co_ci_u32_e32 v3, vcc_lo, v5, v23, vcc_lo
	v_add_co_ci_u32_e32 v5, vcc_lo, 0, v29, vcc_lo
	s_delay_alu instid0(VALU_DEP_2) | instskip(NEXT) | instid1(VALU_DEP_2)
	v_add_co_u32 v3, vcc_lo, v3, v28
	v_add_co_ci_u32_e32 v5, vcc_lo, 0, v5, vcc_lo
	s_delay_alu instid0(VALU_DEP_2) | instskip(SKIP_1) | instid1(VALU_DEP_3)
	v_mul_lo_u32 v10, s23, v3
	v_mad_u64_u32 v[20:21], null, s22, v3, 0
	v_mul_lo_u32 v14, s22, v5
	s_delay_alu instid0(VALU_DEP_2) | instskip(NEXT) | instid1(VALU_DEP_2)
	v_sub_co_u32 v12, vcc_lo, v12, v20
	v_add3_u32 v10, v21, v14, v10
	s_delay_alu instid0(VALU_DEP_1) | instskip(NEXT) | instid1(VALU_DEP_1)
	v_sub_nc_u32_e32 v14, v8, v10
	v_subrev_co_ci_u32_e64 v14, s0, s23, v14, vcc_lo
	v_add_co_u32 v16, s0, v3, 2
	s_delay_alu instid0(VALU_DEP_1) | instskip(SKIP_3) | instid1(VALU_DEP_3)
	v_add_co_ci_u32_e64 v20, s0, 0, v5, s0
	v_sub_co_u32 v21, s0, v12, s22
	v_sub_co_ci_u32_e32 v8, vcc_lo, v8, v10, vcc_lo
	v_subrev_co_ci_u32_e64 v14, s0, 0, v14, s0
	v_cmp_le_u32_e32 vcc_lo, s22, v21
	s_delay_alu instid0(VALU_DEP_3) | instskip(SKIP_1) | instid1(VALU_DEP_4)
	v_cmp_eq_u32_e64 s0, s23, v8
	v_cndmask_b32_e64 v10, 0, -1, vcc_lo
	v_cmp_le_u32_e32 vcc_lo, s23, v14
	v_cndmask_b32_e64 v21, 0, -1, vcc_lo
	v_cmp_le_u32_e32 vcc_lo, s22, v12
	;; [unrolled: 2-line block ×3, first 2 shown]
	v_cndmask_b32_e64 v22, 0, -1, vcc_lo
	v_cmp_eq_u32_e32 vcc_lo, s23, v14
	s_delay_alu instid0(VALU_DEP_2) | instskip(SKIP_3) | instid1(VALU_DEP_3)
	v_cndmask_b32_e64 v8, v22, v12, s0
	v_cndmask_b32_e32 v10, v21, v10, vcc_lo
	v_add_co_u32 v14, vcc_lo, v3, 1
	v_add_co_ci_u32_e32 v21, vcc_lo, 0, v5, vcc_lo
	v_cmp_ne_u32_e32 vcc_lo, 0, v10
	s_delay_alu instid0(VALU_DEP_2) | instskip(NEXT) | instid1(VALU_DEP_4)
	v_cndmask_b32_e32 v10, v21, v20, vcc_lo
	v_cndmask_b32_e32 v12, v14, v16, vcc_lo
	v_cmp_ne_u32_e32 vcc_lo, 0, v8
	v_xor_b32_e32 v8, s20, v18
	s_delay_alu instid0(VALU_DEP_4) | instskip(NEXT) | instid1(VALU_DEP_4)
	v_cndmask_b32_e32 v5, v5, v10, vcc_lo
	v_cndmask_b32_e32 v3, v3, v12, vcc_lo
	v_xor_b32_e32 v10, s21, v18
	s_delay_alu instid0(VALU_DEP_2) | instskip(NEXT) | instid1(VALU_DEP_2)
	v_xor_b32_e32 v3, v3, v8
	v_xor_b32_e32 v5, v5, v10
	s_delay_alu instid0(VALU_DEP_2) | instskip(NEXT) | instid1(VALU_DEP_2)
	v_sub_co_u32 v21, vcc_lo, v3, v8
	v_sub_co_ci_u32_e32 v22, vcc_lo, v5, v10, vcc_lo
.LBB36_50:                              ;   in Loop: Header=BB36_24 Depth=2
	s_and_not1_saveexec_b32 s0, s17
	s_cbranch_execz .LBB36_52
; %bb.51:                               ;   in Loop: Header=BB36_24 Depth=2
	v_cvt_f32_u32_e32 v3, s52
	s_sub_i32 s17, 0, s52
	v_mov_b32_e32 v22, v2
	s_delay_alu instid0(VALU_DEP_2) | instskip(SKIP_2) | instid1(VALU_DEP_1)
	v_rcp_iflag_f32_e32 v3, v3
	s_waitcnt_depctr 0xfff
	v_mul_f32_e32 v3, 0x4f7ffffe, v3
	v_cvt_u32_f32_e32 v3, v3
	s_delay_alu instid0(VALU_DEP_1) | instskip(NEXT) | instid1(VALU_DEP_1)
	v_mul_lo_u32 v5, s17, v3
	v_mul_hi_u32 v5, v3, v5
	s_delay_alu instid0(VALU_DEP_1) | instskip(NEXT) | instid1(VALU_DEP_1)
	v_add_nc_u32_e32 v3, v3, v5
	v_mul_hi_u32 v3, v19, v3
	s_delay_alu instid0(VALU_DEP_1) | instskip(NEXT) | instid1(VALU_DEP_1)
	v_mul_lo_u32 v5, v3, s52
	v_sub_nc_u32_e32 v5, v19, v5
	s_delay_alu instid0(VALU_DEP_1) | instskip(SKIP_1) | instid1(VALU_DEP_2)
	v_subrev_nc_u32_e32 v10, s52, v5
	v_cmp_le_u32_e32 vcc_lo, s52, v5
	v_dual_cndmask_b32 v5, v5, v10 :: v_dual_add_nc_u32 v8, 1, v3
	s_delay_alu instid0(VALU_DEP_1) | instskip(NEXT) | instid1(VALU_DEP_2)
	v_cndmask_b32_e32 v3, v3, v8, vcc_lo
	v_cmp_le_u32_e32 vcc_lo, s52, v5
	s_delay_alu instid0(VALU_DEP_2) | instskip(NEXT) | instid1(VALU_DEP_1)
	v_add_nc_u32_e32 v8, 1, v3
	v_cndmask_b32_e32 v21, v3, v8, vcc_lo
.LBB36_52:                              ;   in Loop: Header=BB36_24 Depth=2
	s_or_b32 exec_lo, exec_lo, s0
	s_mov_b32 s17, s15
	s_add_u32 s20, s30, s18
	s_addc_u32 s21, s1, s19
	s_lshl_b64 s[18:19], s[16:17], 2
                                        ; implicit-def: $vgpr23_vgpr24
	s_delay_alu instid0(SALU_CYCLE_1)
	s_add_u32 s22, s26, s18
	s_addc_u32 s23, s27, s19
	s_clause 0x1
	s_load_b32 s53, s[22:23], 0x0
	s_load_b32 s17, s[20:21], 0x0
	s_mov_b32 s20, exec_lo
	s_waitcnt lgkmcnt(0)
	s_ashr_i32 s0, s53, 31
	s_delay_alu instid0(SALU_CYCLE_1) | instskip(NEXT) | instid1(VALU_DEP_1)
	v_or_b32_e32 v3, s0, v22
	v_cmpx_ne_u64_e32 0, v[2:3]
	s_xor_b32 s54, exec_lo, s20
	s_cbranch_execz .LBB36_54
; %bb.53:                               ;   in Loop: Header=BB36_24 Depth=2
	s_add_u32 s22, s53, s0
	s_mov_b32 s20, s0
	s_mov_b32 s21, s0
	s_addc_u32 s23, s0, s0
	s_delay_alu instid0(SALU_CYCLE_1) | instskip(NEXT) | instid1(SALU_CYCLE_1)
	s_xor_b64 s[22:23], s[22:23], s[20:21]
	v_cvt_f32_u32_e32 v3, s22
	v_cvt_f32_u32_e32 v5, s23
	s_sub_u32 s0, 0, s22
	s_subb_u32 s55, 0, s23
	s_delay_alu instid0(VALU_DEP_1) | instskip(NEXT) | instid1(VALU_DEP_1)
	v_fmac_f32_e32 v3, 0x4f800000, v5
	v_rcp_f32_e32 v3, v3
	s_waitcnt_depctr 0xfff
	v_mul_f32_e32 v3, 0x5f7ffffc, v3
	s_delay_alu instid0(VALU_DEP_1) | instskip(NEXT) | instid1(VALU_DEP_1)
	v_mul_f32_e32 v5, 0x2f800000, v3
	v_trunc_f32_e32 v5, v5
	s_delay_alu instid0(VALU_DEP_1) | instskip(SKIP_1) | instid1(VALU_DEP_2)
	v_fmac_f32_e32 v3, 0xcf800000, v5
	v_cvt_u32_f32_e32 v5, v5
	v_cvt_u32_f32_e32 v3, v3
	s_delay_alu instid0(VALU_DEP_2) | instskip(NEXT) | instid1(VALU_DEP_2)
	v_mul_lo_u32 v8, s0, v5
	v_mul_hi_u32 v10, s0, v3
	v_mul_lo_u32 v12, s55, v3
	s_delay_alu instid0(VALU_DEP_2) | instskip(SKIP_1) | instid1(VALU_DEP_2)
	v_add_nc_u32_e32 v8, v10, v8
	v_mul_lo_u32 v10, s0, v3
	v_add_nc_u32_e32 v8, v8, v12
	s_delay_alu instid0(VALU_DEP_2) | instskip(NEXT) | instid1(VALU_DEP_2)
	v_mul_hi_u32 v12, v3, v10
	v_mul_lo_u32 v14, v3, v8
	v_mul_hi_u32 v16, v3, v8
	v_mul_hi_u32 v18, v5, v10
	v_mul_lo_u32 v10, v5, v10
	v_mul_hi_u32 v20, v5, v8
	v_mul_lo_u32 v8, v5, v8
	v_add_co_u32 v12, vcc_lo, v12, v14
	v_add_co_ci_u32_e32 v14, vcc_lo, 0, v16, vcc_lo
	s_delay_alu instid0(VALU_DEP_2) | instskip(NEXT) | instid1(VALU_DEP_2)
	v_add_co_u32 v10, vcc_lo, v12, v10
	v_add_co_ci_u32_e32 v10, vcc_lo, v14, v18, vcc_lo
	v_add_co_ci_u32_e32 v12, vcc_lo, 0, v20, vcc_lo
	v_ashrrev_i32_e32 v18, 31, v22
	s_delay_alu instid0(VALU_DEP_3) | instskip(NEXT) | instid1(VALU_DEP_3)
	v_add_co_u32 v8, vcc_lo, v10, v8
	v_add_co_ci_u32_e32 v10, vcc_lo, 0, v12, vcc_lo
	s_delay_alu instid0(VALU_DEP_2) | instskip(NEXT) | instid1(VALU_DEP_2)
	v_add_co_u32 v3, vcc_lo, v3, v8
	v_add_co_ci_u32_e32 v5, vcc_lo, v5, v10, vcc_lo
	s_delay_alu instid0(VALU_DEP_2) | instskip(SKIP_1) | instid1(VALU_DEP_3)
	v_mul_hi_u32 v8, s0, v3
	v_mul_lo_u32 v12, s55, v3
	v_mul_lo_u32 v10, s0, v5
	s_delay_alu instid0(VALU_DEP_1) | instskip(SKIP_1) | instid1(VALU_DEP_2)
	v_add_nc_u32_e32 v8, v8, v10
	v_mul_lo_u32 v10, s0, v3
	v_add_nc_u32_e32 v8, v8, v12
	s_delay_alu instid0(VALU_DEP_2) | instskip(NEXT) | instid1(VALU_DEP_2)
	v_mul_hi_u32 v12, v3, v10
	v_mul_lo_u32 v14, v3, v8
	v_mul_hi_u32 v16, v3, v8
	v_mul_hi_u32 v20, v5, v10
	v_mul_lo_u32 v10, v5, v10
	v_mul_hi_u32 v23, v5, v8
	v_mul_lo_u32 v8, v5, v8
	v_add_co_u32 v12, vcc_lo, v12, v14
	v_add_co_ci_u32_e32 v14, vcc_lo, 0, v16, vcc_lo
	s_delay_alu instid0(VALU_DEP_2) | instskip(NEXT) | instid1(VALU_DEP_2)
	v_add_co_u32 v10, vcc_lo, v12, v10
	v_add_co_ci_u32_e32 v10, vcc_lo, v14, v20, vcc_lo
	v_add_co_ci_u32_e32 v12, vcc_lo, 0, v23, vcc_lo
	v_add_co_u32 v14, vcc_lo, v21, v18
	v_add_co_ci_u32_e32 v16, vcc_lo, v22, v18, vcc_lo
	s_delay_alu instid0(VALU_DEP_4) | instskip(NEXT) | instid1(VALU_DEP_4)
	v_add_co_u32 v8, vcc_lo, v10, v8
	v_add_co_ci_u32_e32 v10, vcc_lo, 0, v12, vcc_lo
	s_delay_alu instid0(VALU_DEP_4) | instskip(NEXT) | instid1(VALU_DEP_3)
	v_xor_b32_e32 v12, v14, v18
	v_add_co_u32 v3, vcc_lo, v3, v8
	s_delay_alu instid0(VALU_DEP_3) | instskip(SKIP_1) | instid1(VALU_DEP_3)
	v_add_co_ci_u32_e32 v5, vcc_lo, v5, v10, vcc_lo
	v_xor_b32_e32 v8, v16, v18
	v_mul_hi_u32 v10, v12, v3
	s_delay_alu instid0(VALU_DEP_3) | instskip(NEXT) | instid1(VALU_DEP_3)
	v_mad_u64_u32 v[22:23], null, v12, v5, 0
	v_mad_u64_u32 v[28:29], null, v8, v3, 0
	;; [unrolled: 1-line block ×3, first 2 shown]
	s_delay_alu instid0(VALU_DEP_3) | instskip(NEXT) | instid1(VALU_DEP_4)
	v_add_co_u32 v3, vcc_lo, v10, v22
	v_add_co_ci_u32_e32 v5, vcc_lo, 0, v23, vcc_lo
	s_delay_alu instid0(VALU_DEP_2) | instskip(NEXT) | instid1(VALU_DEP_2)
	v_add_co_u32 v3, vcc_lo, v3, v28
	v_add_co_ci_u32_e32 v3, vcc_lo, v5, v29, vcc_lo
	v_add_co_ci_u32_e32 v5, vcc_lo, 0, v31, vcc_lo
	s_delay_alu instid0(VALU_DEP_2) | instskip(NEXT) | instid1(VALU_DEP_2)
	v_add_co_u32 v3, vcc_lo, v3, v30
	v_add_co_ci_u32_e32 v5, vcc_lo, 0, v5, vcc_lo
	s_delay_alu instid0(VALU_DEP_2) | instskip(SKIP_1) | instid1(VALU_DEP_3)
	v_mul_lo_u32 v10, s23, v3
	v_mad_u64_u32 v[22:23], null, s22, v3, 0
	v_mul_lo_u32 v14, s22, v5
	s_delay_alu instid0(VALU_DEP_2) | instskip(NEXT) | instid1(VALU_DEP_2)
	v_sub_co_u32 v12, vcc_lo, v12, v22
	v_add3_u32 v10, v23, v14, v10
	s_delay_alu instid0(VALU_DEP_1) | instskip(NEXT) | instid1(VALU_DEP_1)
	v_sub_nc_u32_e32 v14, v8, v10
	v_subrev_co_ci_u32_e64 v14, s0, s23, v14, vcc_lo
	v_add_co_u32 v16, s0, v3, 2
	s_delay_alu instid0(VALU_DEP_1) | instskip(SKIP_3) | instid1(VALU_DEP_3)
	v_add_co_ci_u32_e64 v20, s0, 0, v5, s0
	v_sub_co_u32 v22, s0, v12, s22
	v_sub_co_ci_u32_e32 v8, vcc_lo, v8, v10, vcc_lo
	v_subrev_co_ci_u32_e64 v14, s0, 0, v14, s0
	v_cmp_le_u32_e32 vcc_lo, s22, v22
	s_delay_alu instid0(VALU_DEP_3) | instskip(SKIP_1) | instid1(VALU_DEP_4)
	v_cmp_eq_u32_e64 s0, s23, v8
	v_cndmask_b32_e64 v10, 0, -1, vcc_lo
	v_cmp_le_u32_e32 vcc_lo, s23, v14
	v_cndmask_b32_e64 v22, 0, -1, vcc_lo
	v_cmp_le_u32_e32 vcc_lo, s22, v12
	;; [unrolled: 2-line block ×3, first 2 shown]
	v_cndmask_b32_e64 v23, 0, -1, vcc_lo
	v_cmp_eq_u32_e32 vcc_lo, s23, v14
	s_delay_alu instid0(VALU_DEP_2) | instskip(SKIP_3) | instid1(VALU_DEP_3)
	v_cndmask_b32_e64 v8, v23, v12, s0
	v_cndmask_b32_e32 v10, v22, v10, vcc_lo
	v_add_co_u32 v14, vcc_lo, v3, 1
	v_add_co_ci_u32_e32 v22, vcc_lo, 0, v5, vcc_lo
	v_cmp_ne_u32_e32 vcc_lo, 0, v10
	s_delay_alu instid0(VALU_DEP_2) | instskip(NEXT) | instid1(VALU_DEP_4)
	v_cndmask_b32_e32 v10, v22, v20, vcc_lo
	v_cndmask_b32_e32 v12, v14, v16, vcc_lo
	v_cmp_ne_u32_e32 vcc_lo, 0, v8
	v_xor_b32_e32 v8, s20, v18
	s_delay_alu instid0(VALU_DEP_4) | instskip(NEXT) | instid1(VALU_DEP_4)
	v_cndmask_b32_e32 v5, v5, v10, vcc_lo
	v_cndmask_b32_e32 v3, v3, v12, vcc_lo
	v_xor_b32_e32 v10, s21, v18
	s_delay_alu instid0(VALU_DEP_2) | instskip(NEXT) | instid1(VALU_DEP_2)
	v_xor_b32_e32 v3, v3, v8
	v_xor_b32_e32 v5, v5, v10
	s_delay_alu instid0(VALU_DEP_2) | instskip(NEXT) | instid1(VALU_DEP_2)
	v_sub_co_u32 v23, vcc_lo, v3, v8
	v_sub_co_ci_u32_e32 v24, vcc_lo, v5, v10, vcc_lo
.LBB36_54:                              ;   in Loop: Header=BB36_24 Depth=2
	s_and_not1_saveexec_b32 s0, s54
	s_cbranch_execz .LBB36_56
; %bb.55:                               ;   in Loop: Header=BB36_24 Depth=2
	v_cvt_f32_u32_e32 v3, s53
	s_sub_i32 s20, 0, s53
	v_mov_b32_e32 v24, v2
	s_delay_alu instid0(VALU_DEP_2) | instskip(SKIP_2) | instid1(VALU_DEP_1)
	v_rcp_iflag_f32_e32 v3, v3
	s_waitcnt_depctr 0xfff
	v_mul_f32_e32 v3, 0x4f7ffffe, v3
	v_cvt_u32_f32_e32 v3, v3
	s_delay_alu instid0(VALU_DEP_1) | instskip(NEXT) | instid1(VALU_DEP_1)
	v_mul_lo_u32 v5, s20, v3
	v_mul_hi_u32 v5, v3, v5
	s_delay_alu instid0(VALU_DEP_1) | instskip(NEXT) | instid1(VALU_DEP_1)
	v_add_nc_u32_e32 v3, v3, v5
	v_mul_hi_u32 v3, v21, v3
	s_delay_alu instid0(VALU_DEP_1) | instskip(NEXT) | instid1(VALU_DEP_1)
	v_mul_lo_u32 v5, v3, s53
	v_sub_nc_u32_e32 v5, v21, v5
	s_delay_alu instid0(VALU_DEP_1) | instskip(SKIP_1) | instid1(VALU_DEP_2)
	v_subrev_nc_u32_e32 v10, s53, v5
	v_cmp_le_u32_e32 vcc_lo, s53, v5
	v_dual_cndmask_b32 v5, v5, v10 :: v_dual_add_nc_u32 v8, 1, v3
	s_delay_alu instid0(VALU_DEP_1) | instskip(NEXT) | instid1(VALU_DEP_2)
	v_cndmask_b32_e32 v3, v3, v8, vcc_lo
	v_cmp_le_u32_e32 vcc_lo, s53, v5
	s_delay_alu instid0(VALU_DEP_2) | instskip(NEXT) | instid1(VALU_DEP_1)
	v_add_nc_u32_e32 v8, 1, v3
	v_cndmask_b32_e32 v23, v3, v8, vcc_lo
.LBB36_56:                              ;   in Loop: Header=BB36_24 Depth=2
	s_or_b32 exec_lo, exec_lo, s0
	v_mul_lo_u32 v3, v9, s41
	v_mul_lo_u32 v5, v11, s43
	;; [unrolled: 1-line block ×4, first 2 shown]
	s_add_u32 s18, s30, s18
	s_addc_u32 s19, s1, s19
	v_mul_lo_u32 v12, v17, s49
	s_load_b32 s0, s[18:19], 0x0
	v_sub_nc_u32_e32 v3, v7, v3
	v_sub_nc_u32_e32 v5, v9, v5
	v_mul_lo_u32 v7, v19, s51
	v_sub_nc_u32_e32 v8, v11, v8
	v_sub_nc_u32_e32 v10, v13, v10
	v_mul_lo_u32 v3, s42, v3
	v_mul_lo_u32 v5, s44, v5
	;; [unrolled: 1-line block ×4, first 2 shown]
	v_sub_nc_u32_e32 v12, v15, v12
	v_sub_nc_u32_e32 v7, v17, v7
	v_mul_lo_u32 v8, s46, v8
	v_mul_lo_u32 v10, s48, v10
	s_add_i32 s16, s16, -8
	v_add3_u32 v3, v3, v4, v5
	v_mul_lo_u32 v4, s50, v12
	v_sub_nc_u32_e32 v5, v19, v9
	v_sub_nc_u32_e32 v9, v21, v11
	v_mul_lo_u32 v7, s14, v7
	s_cmp_eq_u32 s16, -8
	v_add3_u32 v3, v8, v3, v10
	v_mul_lo_u32 v5, s17, v5
	s_waitcnt lgkmcnt(0)
	v_mul_lo_u32 v8, s0, v9
	s_delay_alu instid0(VALU_DEP_3) | instskip(NEXT) | instid1(VALU_DEP_1)
	v_add3_u32 v3, v4, v3, v7
	v_add3_u32 v4, v5, v3, v8
	s_cbranch_scc1 .LBB36_58
; %bb.57:                               ;   in Loop: Header=BB36_24 Depth=2
	v_dual_mov_b32 v7, v23 :: v_dual_mov_b32 v8, v24
	s_branch .LBB36_24
.LBB36_58:                              ;   in Loop: Header=BB36_3 Depth=1
	s_load_b32 s0, s[12:13], 0x0
	s_waitcnt lgkmcnt(0)
	v_cmp_gt_i32_e32 vcc_lo, s0, v27
	s_and_b32 exec_lo, exec_lo, vcc_lo
	s_cbranch_execz .LBB36_2
; %bb.59:                               ;   in Loop: Header=BB36_3 Depth=1
	v_ashrrev_i32_e32 v7, 31, v6
	s_mov_b32 s14, exec_lo
	s_delay_alu instid0(VALU_DEP_1)
	v_cmpx_lt_i64_e64 s[4:5], v[6:7]
	s_cbranch_execz .LBB36_61
; %bb.60:                               ;   in Loop: Header=BB36_3 Depth=1
	v_ashrrev_i32_e32 v5, 31, v4
	s_delay_alu instid0(VALU_DEP_1) | instskip(NEXT) | instid1(VALU_DEP_1)
	v_lshlrev_b64 v[5:6], 2, v[4:5]
	v_add_co_u32 v5, vcc_lo, s2, v5
	s_delay_alu instid0(VALU_DEP_2)
	v_add_co_ci_u32_e32 v6, vcc_lo, s3, v6, vcc_lo
	global_store_b32 v[5:6], v2, off
.LBB36_61:                              ;   in Loop: Header=BB36_3 Depth=1
	s_or_b32 exec_lo, exec_lo, s14
	v_add_nc_u32_e32 v3, 1, v27
	s_delay_alu instid0(VALU_DEP_1)
	v_cmp_gt_i32_e32 vcc_lo, s0, v3
	s_and_b32 exec_lo, exec_lo, vcc_lo
	s_cbranch_execz .LBB36_2
; %bb.62:                               ;   in Loop: Header=BB36_3 Depth=1
	v_sub_nc_u32_e32 v5, v3, v26
	s_delay_alu instid0(VALU_DEP_1) | instskip(NEXT) | instid1(VALU_DEP_1)
	v_ashrrev_i32_e32 v6, 31, v5
	v_cmp_lt_i64_e32 vcc_lo, s[4:5], v[5:6]
	s_and_b32 exec_lo, exec_lo, vcc_lo
	s_cbranch_execz .LBB36_2
; %bb.63:                               ;   in Loop: Header=BB36_3 Depth=1
	v_add_nc_u32_e32 v3, s40, v4
	s_delay_alu instid0(VALU_DEP_1) | instskip(NEXT) | instid1(VALU_DEP_1)
	v_ashrrev_i32_e32 v4, 31, v3
	v_lshlrev_b64 v[3:4], 2, v[3:4]
	s_delay_alu instid0(VALU_DEP_1) | instskip(NEXT) | instid1(VALU_DEP_2)
	v_add_co_u32 v3, vcc_lo, s2, v3
	v_add_co_ci_u32_e32 v4, vcc_lo, s3, v4, vcc_lo
	global_store_b32 v[3:4], v2, off
	s_branch .LBB36_2
.LBB36_64:
	s_nop 0
	s_sendmsg sendmsg(MSG_DEALLOC_VGPRS)
	s_endpgm
	.section	.rodata,"a",@progbits
	.p2align	6, 0x0
	.amdhsa_kernel _ZN2at6native16triu_tril_kernelIN3c107complexINS2_4HalfEEEiLb0ELi2ELb1EEEvNS_4cuda6detail10TensorInfoIT_T0_EENS8_IKS9_SA_EEllSA_
		.amdhsa_group_segment_fixed_size 0
		.amdhsa_private_segment_fixed_size 0
		.amdhsa_kernarg_size 712
		.amdhsa_user_sgpr_count 15
		.amdhsa_user_sgpr_dispatch_ptr 0
		.amdhsa_user_sgpr_queue_ptr 0
		.amdhsa_user_sgpr_kernarg_segment_ptr 1
		.amdhsa_user_sgpr_dispatch_id 0
		.amdhsa_user_sgpr_private_segment_size 0
		.amdhsa_wavefront_size32 1
		.amdhsa_uses_dynamic_stack 0
		.amdhsa_enable_private_segment 0
		.amdhsa_system_sgpr_workgroup_id_x 1
		.amdhsa_system_sgpr_workgroup_id_y 0
		.amdhsa_system_sgpr_workgroup_id_z 0
		.amdhsa_system_sgpr_workgroup_info 0
		.amdhsa_system_vgpr_workitem_id 0
		.amdhsa_next_free_vgpr 32
		.amdhsa_next_free_sgpr 56
		.amdhsa_reserve_vcc 1
		.amdhsa_float_round_mode_32 0
		.amdhsa_float_round_mode_16_64 0
		.amdhsa_float_denorm_mode_32 3
		.amdhsa_float_denorm_mode_16_64 3
		.amdhsa_dx10_clamp 1
		.amdhsa_ieee_mode 1
		.amdhsa_fp16_overflow 0
		.amdhsa_workgroup_processor_mode 1
		.amdhsa_memory_ordered 1
		.amdhsa_forward_progress 0
		.amdhsa_shared_vgpr_count 0
		.amdhsa_exception_fp_ieee_invalid_op 0
		.amdhsa_exception_fp_denorm_src 0
		.amdhsa_exception_fp_ieee_div_zero 0
		.amdhsa_exception_fp_ieee_overflow 0
		.amdhsa_exception_fp_ieee_underflow 0
		.amdhsa_exception_fp_ieee_inexact 0
		.amdhsa_exception_int_div_zero 0
	.end_amdhsa_kernel
	.section	.text._ZN2at6native16triu_tril_kernelIN3c107complexINS2_4HalfEEEiLb0ELi2ELb1EEEvNS_4cuda6detail10TensorInfoIT_T0_EENS8_IKS9_SA_EEllSA_,"axG",@progbits,_ZN2at6native16triu_tril_kernelIN3c107complexINS2_4HalfEEEiLb0ELi2ELb1EEEvNS_4cuda6detail10TensorInfoIT_T0_EENS8_IKS9_SA_EEllSA_,comdat
.Lfunc_end36:
	.size	_ZN2at6native16triu_tril_kernelIN3c107complexINS2_4HalfEEEiLb0ELi2ELb1EEEvNS_4cuda6detail10TensorInfoIT_T0_EENS8_IKS9_SA_EEllSA_, .Lfunc_end36-_ZN2at6native16triu_tril_kernelIN3c107complexINS2_4HalfEEEiLb0ELi2ELb1EEEvNS_4cuda6detail10TensorInfoIT_T0_EENS8_IKS9_SA_EEllSA_
                                        ; -- End function
	.section	.AMDGPU.csdata,"",@progbits
; Kernel info:
; codeLenInByte = 12416
; NumSgprs: 58
; NumVgprs: 32
; ScratchSize: 0
; MemoryBound: 0
; FloatMode: 240
; IeeeMode: 1
; LDSByteSize: 0 bytes/workgroup (compile time only)
; SGPRBlocks: 7
; VGPRBlocks: 3
; NumSGPRsForWavesPerEU: 58
; NumVGPRsForWavesPerEU: 32
; Occupancy: 16
; WaveLimiterHint : 0
; COMPUTE_PGM_RSRC2:SCRATCH_EN: 0
; COMPUTE_PGM_RSRC2:USER_SGPR: 15
; COMPUTE_PGM_RSRC2:TRAP_HANDLER: 0
; COMPUTE_PGM_RSRC2:TGID_X_EN: 1
; COMPUTE_PGM_RSRC2:TGID_Y_EN: 0
; COMPUTE_PGM_RSRC2:TGID_Z_EN: 0
; COMPUTE_PGM_RSRC2:TIDIG_COMP_CNT: 0
	.section	.text._ZN2at6native16triu_tril_kernelIN3c107complexINS2_4HalfEEEiLb0ELi2ELb0EEEvNS_4cuda6detail10TensorInfoIT_T0_EENS8_IKS9_SA_EEllSA_,"axG",@progbits,_ZN2at6native16triu_tril_kernelIN3c107complexINS2_4HalfEEEiLb0ELi2ELb0EEEvNS_4cuda6detail10TensorInfoIT_T0_EENS8_IKS9_SA_EEllSA_,comdat
	.protected	_ZN2at6native16triu_tril_kernelIN3c107complexINS2_4HalfEEEiLb0ELi2ELb0EEEvNS_4cuda6detail10TensorInfoIT_T0_EENS8_IKS9_SA_EEllSA_ ; -- Begin function _ZN2at6native16triu_tril_kernelIN3c107complexINS2_4HalfEEEiLb0ELi2ELb0EEEvNS_4cuda6detail10TensorInfoIT_T0_EENS8_IKS9_SA_EEllSA_
	.globl	_ZN2at6native16triu_tril_kernelIN3c107complexINS2_4HalfEEEiLb0ELi2ELb0EEEvNS_4cuda6detail10TensorInfoIT_T0_EENS8_IKS9_SA_EEllSA_
	.p2align	8
	.type	_ZN2at6native16triu_tril_kernelIN3c107complexINS2_4HalfEEEiLb0ELi2ELb0EEEvNS_4cuda6detail10TensorInfoIT_T0_EENS8_IKS9_SA_EEllSA_,@function
_ZN2at6native16triu_tril_kernelIN3c107complexINS2_4HalfEEEiLb0ELi2ELb0EEEvNS_4cuda6detail10TensorInfoIT_T0_EENS8_IKS9_SA_EEllSA_: ; @_ZN2at6native16triu_tril_kernelIN3c107complexINS2_4HalfEEEiLb0ELi2ELb0EEEvNS_4cuda6detail10TensorInfoIT_T0_EENS8_IKS9_SA_EEllSA_
; %bb.0:
	s_clause 0x1
	s_load_b32 s2, s[0:1], 0x1d4
	s_load_b128 s[4:7], s[0:1], 0x1b0
	v_mov_b32_e32 v2, 0
	s_add_u32 s8, s0, 0x1c8
	s_addc_u32 s9, s1, 0
	s_delay_alu instid0(VALU_DEP_1) | instskip(SKIP_3) | instid1(VALU_DEP_1)
	v_mov_b32_e32 v1, v2
	s_waitcnt lgkmcnt(0)
	s_and_b32 s10, s2, 0xffff
	s_mov_b32 s2, exec_lo
	v_mad_u64_u32 v[3:4], null, s10, s15, v[0:1]
	s_delay_alu instid0(VALU_DEP_1) | instskip(NEXT) | instid1(VALU_DEP_1)
	v_lshlrev_b64 v[0:1], 1, v[3:4]
	v_cmpx_gt_i64_e64 s[6:7], v[0:1]
	s_cbranch_execz .LBB37_49
; %bb.1:
	s_clause 0x1
	s_load_b32 s16, s[0:1], 0x1a8
	s_load_b32 s30, s[0:1], 0x1c0
	s_add_u32 s31, s0, 0xd8
	s_addc_u32 s33, s1, 0
	s_load_b32 s11, s[8:9], 0x0
	s_load_b64 s[2:3], s[0:1], 0xd8
	s_waitcnt lgkmcnt(0)
	s_ashr_i32 s17, s16, 31
	s_ashr_i32 s34, s30, 31
	s_lshl_b64 s[8:9], s[16:17], 2
	v_cvt_f32_u32_e32 v3, s30
	s_add_u32 s14, s8, -8
	s_addc_u32 s15, s9, -1
	s_add_u32 s12, s31, s14
	s_addc_u32 s13, s33, s15
	v_rcp_iflag_f32_e32 v3, v3
	s_load_b64 s[8:9], s[12:13], 0x8
	s_mul_i32 s18, s11, s10
	s_load_b64 s[10:11], s[12:13], 0x6c
	s_waitcnt_depctr 0xfff
	v_mul_f32_e32 v3, 0x4f7ffffe, v3
	s_delay_alu instid0(VALU_DEP_1)
	v_cvt_u32_f32_e32 v3, v3
	s_waitcnt lgkmcnt(0)
	s_ashr_i32 s35, s8, 31
	s_add_u32 s36, s0, 0x6c
	s_addc_u32 s37, s1, 0
	s_add_u32 s12, s36, s14
	s_addc_u32 s13, s37, s15
	s_and_b32 s39, s16, 3
	s_add_i32 s38, s16, -3
	s_lshl_b32 s40, s18, 1
	s_cmp_lg_u32 s39, 2
	s_load_b64 s[12:13], s[12:13], 0x0
	s_cselect_b32 s41, -1, 0
	s_cmp_gt_u32 s38, 2
	s_mov_b32 s18, s11
	s_cselect_b32 s42, -1, 0
	s_sub_i32 s14, 0, s30
	s_ashr_i32 s19, s11, 31
	v_mul_lo_u32 v4, s14, v3
	s_load_b64 s[14:15], s[0:1], 0x0
	v_cmp_gt_i64_e64 s1, s[16:17], 2
	s_mov_b32 s17, 0
	s_mov_b32 s11, 0
	s_delay_alu instid0(VALU_DEP_2) | instskip(SKIP_3) | instid1(VALU_DEP_1)
	v_mul_hi_u32 v4, v3, v4
	s_waitcnt lgkmcnt(0)
	s_ashr_i32 s21, s13, 31
	s_mov_b32 s20, s13
	v_add_nc_u32_e32 v18, v3, v4
	s_branch .LBB37_3
.LBB37_2:                               ;   in Loop: Header=BB37_3 Depth=1
	s_or_b32 exec_lo, exec_lo, s0
	v_add_co_u32 v0, vcc_lo, v0, s40
	v_add_co_ci_u32_e32 v1, vcc_lo, 0, v1, vcc_lo
	s_delay_alu instid0(VALU_DEP_1) | instskip(SKIP_1) | instid1(SALU_CYCLE_1)
	v_cmp_le_i64_e32 vcc_lo, s[6:7], v[0:1]
	s_or_b32 s11, vcc_lo, s11
	s_and_not1_b32 exec_lo, exec_lo, s11
	s_cbranch_execz .LBB37_49
.LBB37_3:                               ; =>This Loop Header: Depth=1
                                        ;     Child Loop BB37_14 Depth 2
                                        ;     Child Loop BB37_22 Depth 2
	v_or_b32_e32 v3, s34, v1
                                        ; implicit-def: $vgpr4_vgpr5
	s_mov_b32 s0, exec_lo
	s_delay_alu instid0(VALU_DEP_1)
	v_cmpx_ne_u64_e32 0, v[2:3]
	s_xor_b32 s13, exec_lo, s0
	s_cbranch_execz .LBB37_5
; %bb.4:                                ;   in Loop: Header=BB37_3 Depth=1
	s_add_u32 s24, s30, s34
	s_mov_b32 s22, s34
	s_mov_b32 s23, s34
	s_addc_u32 s25, s34, s34
	s_delay_alu instid0(SALU_CYCLE_1) | instskip(NEXT) | instid1(SALU_CYCLE_1)
	s_xor_b64 s[24:25], s[24:25], s[22:23]
	v_cvt_f32_u32_e32 v3, s24
	v_cvt_f32_u32_e32 v4, s25
	s_sub_u32 s0, 0, s24
	s_subb_u32 s16, 0, s25
	s_delay_alu instid0(VALU_DEP_1) | instskip(NEXT) | instid1(VALU_DEP_1)
	v_fmac_f32_e32 v3, 0x4f800000, v4
	v_rcp_f32_e32 v3, v3
	s_waitcnt_depctr 0xfff
	v_mul_f32_e32 v3, 0x5f7ffffc, v3
	s_delay_alu instid0(VALU_DEP_1) | instskip(NEXT) | instid1(VALU_DEP_1)
	v_mul_f32_e32 v4, 0x2f800000, v3
	v_trunc_f32_e32 v4, v4
	s_delay_alu instid0(VALU_DEP_1) | instskip(SKIP_1) | instid1(VALU_DEP_2)
	v_fmac_f32_e32 v3, 0xcf800000, v4
	v_cvt_u32_f32_e32 v4, v4
	v_cvt_u32_f32_e32 v3, v3
	s_delay_alu instid0(VALU_DEP_2) | instskip(NEXT) | instid1(VALU_DEP_2)
	v_mul_lo_u32 v5, s0, v4
	v_mul_hi_u32 v6, s0, v3
	v_mul_lo_u32 v7, s16, v3
	s_delay_alu instid0(VALU_DEP_2) | instskip(SKIP_1) | instid1(VALU_DEP_2)
	v_add_nc_u32_e32 v5, v6, v5
	v_mul_lo_u32 v6, s0, v3
	v_add_nc_u32_e32 v5, v5, v7
	s_delay_alu instid0(VALU_DEP_2) | instskip(NEXT) | instid1(VALU_DEP_2)
	v_mul_hi_u32 v7, v3, v6
	v_mul_lo_u32 v8, v3, v5
	v_mul_hi_u32 v9, v3, v5
	v_mul_hi_u32 v10, v4, v6
	v_mul_lo_u32 v6, v4, v6
	v_mul_hi_u32 v11, v4, v5
	v_mul_lo_u32 v5, v4, v5
	v_add_co_u32 v7, vcc_lo, v7, v8
	v_add_co_ci_u32_e32 v8, vcc_lo, 0, v9, vcc_lo
	s_delay_alu instid0(VALU_DEP_2) | instskip(NEXT) | instid1(VALU_DEP_2)
	v_add_co_u32 v6, vcc_lo, v7, v6
	v_add_co_ci_u32_e32 v6, vcc_lo, v8, v10, vcc_lo
	v_add_co_ci_u32_e32 v7, vcc_lo, 0, v11, vcc_lo
	v_ashrrev_i32_e32 v10, 31, v1
	s_delay_alu instid0(VALU_DEP_3) | instskip(NEXT) | instid1(VALU_DEP_3)
	v_add_co_u32 v5, vcc_lo, v6, v5
	v_add_co_ci_u32_e32 v6, vcc_lo, 0, v7, vcc_lo
	s_delay_alu instid0(VALU_DEP_2) | instskip(NEXT) | instid1(VALU_DEP_2)
	v_add_co_u32 v3, vcc_lo, v3, v5
	v_add_co_ci_u32_e32 v4, vcc_lo, v4, v6, vcc_lo
	s_delay_alu instid0(VALU_DEP_2) | instskip(SKIP_1) | instid1(VALU_DEP_3)
	v_mul_hi_u32 v5, s0, v3
	v_mul_lo_u32 v7, s16, v3
	v_mul_lo_u32 v6, s0, v4
	s_delay_alu instid0(VALU_DEP_1) | instskip(SKIP_1) | instid1(VALU_DEP_2)
	v_add_nc_u32_e32 v5, v5, v6
	v_mul_lo_u32 v6, s0, v3
	v_add_nc_u32_e32 v5, v5, v7
	s_delay_alu instid0(VALU_DEP_2) | instskip(NEXT) | instid1(VALU_DEP_2)
	v_mul_hi_u32 v7, v3, v6
	v_mul_lo_u32 v8, v3, v5
	v_mul_hi_u32 v9, v3, v5
	v_mul_hi_u32 v11, v4, v6
	v_mul_lo_u32 v6, v4, v6
	v_mul_hi_u32 v12, v4, v5
	v_mul_lo_u32 v5, v4, v5
	v_add_co_u32 v7, vcc_lo, v7, v8
	v_add_co_ci_u32_e32 v8, vcc_lo, 0, v9, vcc_lo
	s_delay_alu instid0(VALU_DEP_2) | instskip(NEXT) | instid1(VALU_DEP_2)
	v_add_co_u32 v6, vcc_lo, v7, v6
	v_add_co_ci_u32_e32 v6, vcc_lo, v8, v11, vcc_lo
	v_add_co_ci_u32_e32 v7, vcc_lo, 0, v12, vcc_lo
	v_add_co_u32 v8, vcc_lo, v0, v10
	v_add_co_ci_u32_e32 v9, vcc_lo, v1, v10, vcc_lo
	s_delay_alu instid0(VALU_DEP_4) | instskip(NEXT) | instid1(VALU_DEP_4)
	v_add_co_u32 v5, vcc_lo, v6, v5
	v_add_co_ci_u32_e32 v6, vcc_lo, 0, v7, vcc_lo
	s_delay_alu instid0(VALU_DEP_4) | instskip(NEXT) | instid1(VALU_DEP_3)
	v_xor_b32_e32 v11, v8, v10
	v_add_co_u32 v7, vcc_lo, v3, v5
	s_delay_alu instid0(VALU_DEP_3) | instskip(SKIP_1) | instid1(VALU_DEP_3)
	v_add_co_ci_u32_e32 v12, vcc_lo, v4, v6, vcc_lo
	v_xor_b32_e32 v9, v9, v10
	v_mul_hi_u32 v13, v11, v7
	s_delay_alu instid0(VALU_DEP_3) | instskip(NEXT) | instid1(VALU_DEP_3)
	v_mad_u64_u32 v[3:4], null, v11, v12, 0
	v_mad_u64_u32 v[5:6], null, v9, v7, 0
	;; [unrolled: 1-line block ×3, first 2 shown]
	s_delay_alu instid0(VALU_DEP_3) | instskip(NEXT) | instid1(VALU_DEP_4)
	v_add_co_u32 v3, vcc_lo, v13, v3
	v_add_co_ci_u32_e32 v4, vcc_lo, 0, v4, vcc_lo
	s_delay_alu instid0(VALU_DEP_2) | instskip(NEXT) | instid1(VALU_DEP_2)
	v_add_co_u32 v3, vcc_lo, v3, v5
	v_add_co_ci_u32_e32 v3, vcc_lo, v4, v6, vcc_lo
	v_add_co_ci_u32_e32 v4, vcc_lo, 0, v8, vcc_lo
	s_delay_alu instid0(VALU_DEP_2) | instskip(NEXT) | instid1(VALU_DEP_2)
	v_add_co_u32 v5, vcc_lo, v3, v7
	v_add_co_ci_u32_e32 v6, vcc_lo, 0, v4, vcc_lo
	s_delay_alu instid0(VALU_DEP_2) | instskip(SKIP_1) | instid1(VALU_DEP_3)
	v_mul_lo_u32 v7, s25, v5
	v_mad_u64_u32 v[3:4], null, s24, v5, 0
	v_mul_lo_u32 v8, s24, v6
	s_delay_alu instid0(VALU_DEP_2) | instskip(NEXT) | instid1(VALU_DEP_2)
	v_sub_co_u32 v3, vcc_lo, v11, v3
	v_add3_u32 v4, v4, v8, v7
	s_delay_alu instid0(VALU_DEP_1) | instskip(NEXT) | instid1(VALU_DEP_1)
	v_sub_nc_u32_e32 v7, v9, v4
	v_subrev_co_ci_u32_e64 v7, s0, s25, v7, vcc_lo
	v_add_co_u32 v8, s0, v5, 2
	s_delay_alu instid0(VALU_DEP_1) | instskip(SKIP_3) | instid1(VALU_DEP_3)
	v_add_co_ci_u32_e64 v11, s0, 0, v6, s0
	v_sub_co_u32 v12, s0, v3, s24
	v_sub_co_ci_u32_e32 v4, vcc_lo, v9, v4, vcc_lo
	v_subrev_co_ci_u32_e64 v7, s0, 0, v7, s0
	v_cmp_le_u32_e32 vcc_lo, s24, v12
	s_delay_alu instid0(VALU_DEP_3) | instskip(SKIP_1) | instid1(VALU_DEP_4)
	v_cmp_eq_u32_e64 s0, s25, v4
	v_cndmask_b32_e64 v9, 0, -1, vcc_lo
	v_cmp_le_u32_e32 vcc_lo, s25, v7
	v_cndmask_b32_e64 v12, 0, -1, vcc_lo
	v_cmp_le_u32_e32 vcc_lo, s24, v3
	;; [unrolled: 2-line block ×3, first 2 shown]
	v_cndmask_b32_e64 v13, 0, -1, vcc_lo
	v_cmp_eq_u32_e32 vcc_lo, s25, v7
	s_delay_alu instid0(VALU_DEP_2) | instskip(SKIP_3) | instid1(VALU_DEP_3)
	v_cndmask_b32_e64 v3, v13, v3, s0
	v_cndmask_b32_e32 v7, v12, v9, vcc_lo
	v_add_co_u32 v9, vcc_lo, v5, 1
	v_add_co_ci_u32_e32 v12, vcc_lo, 0, v6, vcc_lo
	v_cmp_ne_u32_e32 vcc_lo, 0, v7
	s_delay_alu instid0(VALU_DEP_2) | instskip(SKIP_2) | instid1(VALU_DEP_3)
	v_dual_cndmask_b32 v4, v12, v11 :: v_dual_cndmask_b32 v7, v9, v8
	v_cmp_ne_u32_e32 vcc_lo, 0, v3
	v_xor_b32_e32 v3, s22, v10
	v_dual_cndmask_b32 v5, v5, v7 :: v_dual_cndmask_b32 v4, v6, v4
	v_xor_b32_e32 v6, s23, v10
	s_delay_alu instid0(VALU_DEP_2) | instskip(NEXT) | instid1(VALU_DEP_2)
	v_xor_b32_e32 v5, v5, v3
	v_xor_b32_e32 v7, v4, v6
	s_delay_alu instid0(VALU_DEP_2) | instskip(NEXT) | instid1(VALU_DEP_2)
	v_sub_co_u32 v4, vcc_lo, v5, v3
	v_sub_co_ci_u32_e32 v5, vcc_lo, v7, v6, vcc_lo
.LBB37_5:                               ;   in Loop: Header=BB37_3 Depth=1
	s_and_not1_saveexec_b32 s0, s13
; %bb.6:                                ;   in Loop: Header=BB37_3 Depth=1
	v_mul_hi_u32 v3, v0, v18
	s_delay_alu instid0(VALU_DEP_1) | instskip(NEXT) | instid1(VALU_DEP_1)
	v_mul_lo_u32 v4, v3, s30
	v_sub_nc_u32_e32 v4, v0, v4
	s_delay_alu instid0(VALU_DEP_1) | instskip(SKIP_1) | instid1(VALU_DEP_2)
	v_subrev_nc_u32_e32 v6, s30, v4
	v_cmp_le_u32_e32 vcc_lo, s30, v4
	v_dual_cndmask_b32 v4, v4, v6 :: v_dual_add_nc_u32 v5, 1, v3
	s_delay_alu instid0(VALU_DEP_1) | instskip(NEXT) | instid1(VALU_DEP_2)
	v_cndmask_b32_e32 v3, v3, v5, vcc_lo
	v_cmp_le_u32_e32 vcc_lo, s30, v4
	s_delay_alu instid0(VALU_DEP_2) | instskip(NEXT) | instid1(VALU_DEP_1)
	v_add_nc_u32_e32 v5, 1, v3
	v_dual_cndmask_b32 v4, v3, v5 :: v_dual_mov_b32 v5, v2
; %bb.7:                                ;   in Loop: Header=BB37_3 Depth=1
	s_or_b32 exec_lo, exec_lo, s0
	s_delay_alu instid0(VALU_DEP_1) | instskip(SKIP_1) | instid1(VALU_DEP_1)
	v_or_b32_e32 v3, s35, v5
                                        ; implicit-def: $vgpr8_vgpr9
	s_mov_b32 s0, exec_lo
	v_cmpx_ne_u64_e32 0, v[2:3]
	s_xor_b32 s13, exec_lo, s0
	s_cbranch_execz .LBB37_9
; %bb.8:                                ;   in Loop: Header=BB37_3 Depth=1
	s_add_u32 s24, s8, s35
	s_mov_b32 s22, s35
	s_mov_b32 s23, s35
	s_addc_u32 s25, s35, s35
	s_delay_alu instid0(SALU_CYCLE_1) | instskip(NEXT) | instid1(SALU_CYCLE_1)
	s_xor_b64 s[24:25], s[24:25], s[22:23]
	v_cvt_f32_u32_e32 v3, s24
	v_cvt_f32_u32_e32 v6, s25
	s_sub_u32 s0, 0, s24
	s_subb_u32 s16, 0, s25
	s_delay_alu instid0(VALU_DEP_1) | instskip(NEXT) | instid1(VALU_DEP_1)
	v_fmac_f32_e32 v3, 0x4f800000, v6
	v_rcp_f32_e32 v3, v3
	s_waitcnt_depctr 0xfff
	v_mul_f32_e32 v3, 0x5f7ffffc, v3
	s_delay_alu instid0(VALU_DEP_1) | instskip(NEXT) | instid1(VALU_DEP_1)
	v_mul_f32_e32 v6, 0x2f800000, v3
	v_trunc_f32_e32 v6, v6
	s_delay_alu instid0(VALU_DEP_1) | instskip(SKIP_1) | instid1(VALU_DEP_2)
	v_fmac_f32_e32 v3, 0xcf800000, v6
	v_cvt_u32_f32_e32 v6, v6
	v_cvt_u32_f32_e32 v3, v3
	s_delay_alu instid0(VALU_DEP_2) | instskip(NEXT) | instid1(VALU_DEP_2)
	v_mul_lo_u32 v7, s0, v6
	v_mul_hi_u32 v8, s0, v3
	v_mul_lo_u32 v9, s16, v3
	s_delay_alu instid0(VALU_DEP_2) | instskip(SKIP_1) | instid1(VALU_DEP_2)
	v_add_nc_u32_e32 v7, v8, v7
	v_mul_lo_u32 v8, s0, v3
	v_add_nc_u32_e32 v7, v7, v9
	s_delay_alu instid0(VALU_DEP_2) | instskip(NEXT) | instid1(VALU_DEP_2)
	v_mul_hi_u32 v9, v3, v8
	v_mul_lo_u32 v10, v3, v7
	v_mul_hi_u32 v11, v3, v7
	v_mul_hi_u32 v12, v6, v8
	v_mul_lo_u32 v8, v6, v8
	v_mul_hi_u32 v13, v6, v7
	v_mul_lo_u32 v7, v6, v7
	v_add_co_u32 v9, vcc_lo, v9, v10
	v_add_co_ci_u32_e32 v10, vcc_lo, 0, v11, vcc_lo
	s_delay_alu instid0(VALU_DEP_2) | instskip(NEXT) | instid1(VALU_DEP_2)
	v_add_co_u32 v8, vcc_lo, v9, v8
	v_add_co_ci_u32_e32 v8, vcc_lo, v10, v12, vcc_lo
	v_add_co_ci_u32_e32 v9, vcc_lo, 0, v13, vcc_lo
	v_ashrrev_i32_e32 v12, 31, v5
	s_delay_alu instid0(VALU_DEP_3) | instskip(NEXT) | instid1(VALU_DEP_3)
	v_add_co_u32 v7, vcc_lo, v8, v7
	v_add_co_ci_u32_e32 v8, vcc_lo, 0, v9, vcc_lo
	s_delay_alu instid0(VALU_DEP_2) | instskip(NEXT) | instid1(VALU_DEP_2)
	v_add_co_u32 v3, vcc_lo, v3, v7
	v_add_co_ci_u32_e32 v6, vcc_lo, v6, v8, vcc_lo
	s_delay_alu instid0(VALU_DEP_2) | instskip(SKIP_1) | instid1(VALU_DEP_3)
	v_mul_hi_u32 v7, s0, v3
	v_mul_lo_u32 v9, s16, v3
	v_mul_lo_u32 v8, s0, v6
	s_delay_alu instid0(VALU_DEP_1) | instskip(SKIP_1) | instid1(VALU_DEP_2)
	v_add_nc_u32_e32 v7, v7, v8
	v_mul_lo_u32 v8, s0, v3
	v_add_nc_u32_e32 v7, v7, v9
	s_delay_alu instid0(VALU_DEP_2) | instskip(NEXT) | instid1(VALU_DEP_2)
	v_mul_hi_u32 v9, v3, v8
	v_mul_lo_u32 v10, v3, v7
	v_mul_hi_u32 v11, v3, v7
	v_mul_hi_u32 v13, v6, v8
	v_mul_lo_u32 v8, v6, v8
	v_mul_hi_u32 v14, v6, v7
	v_mul_lo_u32 v7, v6, v7
	v_add_co_u32 v9, vcc_lo, v9, v10
	v_add_co_ci_u32_e32 v10, vcc_lo, 0, v11, vcc_lo
	s_delay_alu instid0(VALU_DEP_2) | instskip(NEXT) | instid1(VALU_DEP_2)
	v_add_co_u32 v8, vcc_lo, v9, v8
	v_add_co_ci_u32_e32 v8, vcc_lo, v10, v13, vcc_lo
	v_add_co_ci_u32_e32 v9, vcc_lo, 0, v14, vcc_lo
	v_add_co_u32 v10, vcc_lo, v4, v12
	v_add_co_ci_u32_e32 v5, vcc_lo, v5, v12, vcc_lo
	s_delay_alu instid0(VALU_DEP_4) | instskip(NEXT) | instid1(VALU_DEP_4)
	v_add_co_u32 v7, vcc_lo, v8, v7
	v_add_co_ci_u32_e32 v8, vcc_lo, 0, v9, vcc_lo
	s_delay_alu instid0(VALU_DEP_4) | instskip(NEXT) | instid1(VALU_DEP_3)
	v_xor_b32_e32 v11, v10, v12
	v_add_co_u32 v3, vcc_lo, v3, v7
	s_delay_alu instid0(VALU_DEP_3) | instskip(SKIP_1) | instid1(VALU_DEP_3)
	v_add_co_ci_u32_e32 v13, vcc_lo, v6, v8, vcc_lo
	v_xor_b32_e32 v14, v5, v12
	v_mul_hi_u32 v15, v11, v3
	s_delay_alu instid0(VALU_DEP_3) | instskip(NEXT) | instid1(VALU_DEP_3)
	v_mad_u64_u32 v[5:6], null, v11, v13, 0
	v_mad_u64_u32 v[7:8], null, v14, v3, 0
	;; [unrolled: 1-line block ×3, first 2 shown]
	s_delay_alu instid0(VALU_DEP_3) | instskip(NEXT) | instid1(VALU_DEP_4)
	v_add_co_u32 v3, vcc_lo, v15, v5
	v_add_co_ci_u32_e32 v5, vcc_lo, 0, v6, vcc_lo
	s_delay_alu instid0(VALU_DEP_2) | instskip(NEXT) | instid1(VALU_DEP_2)
	v_add_co_u32 v3, vcc_lo, v3, v7
	v_add_co_ci_u32_e32 v3, vcc_lo, v5, v8, vcc_lo
	v_add_co_ci_u32_e32 v5, vcc_lo, 0, v10, vcc_lo
	s_delay_alu instid0(VALU_DEP_2) | instskip(NEXT) | instid1(VALU_DEP_2)
	v_add_co_u32 v3, vcc_lo, v3, v9
	v_add_co_ci_u32_e32 v7, vcc_lo, 0, v5, vcc_lo
	s_delay_alu instid0(VALU_DEP_2) | instskip(SKIP_1) | instid1(VALU_DEP_3)
	v_mul_lo_u32 v8, s25, v3
	v_mad_u64_u32 v[5:6], null, s24, v3, 0
	v_mul_lo_u32 v9, s24, v7
	s_delay_alu instid0(VALU_DEP_2) | instskip(NEXT) | instid1(VALU_DEP_2)
	v_sub_co_u32 v5, vcc_lo, v11, v5
	v_add3_u32 v6, v6, v9, v8
	s_delay_alu instid0(VALU_DEP_1) | instskip(NEXT) | instid1(VALU_DEP_1)
	v_sub_nc_u32_e32 v8, v14, v6
	v_subrev_co_ci_u32_e64 v8, s0, s25, v8, vcc_lo
	v_add_co_u32 v9, s0, v3, 2
	s_delay_alu instid0(VALU_DEP_1) | instskip(SKIP_3) | instid1(VALU_DEP_3)
	v_add_co_ci_u32_e64 v10, s0, 0, v7, s0
	v_sub_co_u32 v11, s0, v5, s24
	v_sub_co_ci_u32_e32 v6, vcc_lo, v14, v6, vcc_lo
	v_subrev_co_ci_u32_e64 v8, s0, 0, v8, s0
	v_cmp_le_u32_e32 vcc_lo, s24, v11
	s_delay_alu instid0(VALU_DEP_3) | instskip(SKIP_1) | instid1(VALU_DEP_4)
	v_cmp_eq_u32_e64 s0, s25, v6
	v_cndmask_b32_e64 v11, 0, -1, vcc_lo
	v_cmp_le_u32_e32 vcc_lo, s25, v8
	v_cndmask_b32_e64 v13, 0, -1, vcc_lo
	v_cmp_le_u32_e32 vcc_lo, s24, v5
	v_cndmask_b32_e64 v5, 0, -1, vcc_lo
	v_cmp_le_u32_e32 vcc_lo, s25, v6
	v_cndmask_b32_e64 v14, 0, -1, vcc_lo
	v_cmp_eq_u32_e32 vcc_lo, s25, v8
	s_delay_alu instid0(VALU_DEP_2) | instskip(SKIP_3) | instid1(VALU_DEP_3)
	v_cndmask_b32_e64 v5, v14, v5, s0
	v_cndmask_b32_e32 v8, v13, v11, vcc_lo
	v_add_co_u32 v11, vcc_lo, v3, 1
	v_add_co_ci_u32_e32 v13, vcc_lo, 0, v7, vcc_lo
	v_cmp_ne_u32_e32 vcc_lo, 0, v8
	s_delay_alu instid0(VALU_DEP_3) | instskip(NEXT) | instid1(VALU_DEP_3)
	v_cndmask_b32_e32 v8, v11, v9, vcc_lo
	v_cndmask_b32_e32 v6, v13, v10, vcc_lo
	v_cmp_ne_u32_e32 vcc_lo, 0, v5
	v_xor_b32_e32 v5, s22, v12
	s_delay_alu instid0(VALU_DEP_4) | instskip(NEXT) | instid1(VALU_DEP_4)
	v_cndmask_b32_e32 v3, v3, v8, vcc_lo
	v_cndmask_b32_e32 v6, v7, v6, vcc_lo
	v_xor_b32_e32 v7, s23, v12
	s_delay_alu instid0(VALU_DEP_3) | instskip(NEXT) | instid1(VALU_DEP_2)
	v_xor_b32_e32 v3, v3, v5
	v_xor_b32_e32 v6, v6, v7
	s_delay_alu instid0(VALU_DEP_2) | instskip(NEXT) | instid1(VALU_DEP_2)
	v_sub_co_u32 v8, vcc_lo, v3, v5
	v_sub_co_ci_u32_e32 v9, vcc_lo, v6, v7, vcc_lo
.LBB37_9:                               ;   in Loop: Header=BB37_3 Depth=1
	s_and_not1_saveexec_b32 s0, s13
	s_cbranch_execz .LBB37_11
; %bb.10:                               ;   in Loop: Header=BB37_3 Depth=1
	v_cvt_f32_u32_e32 v3, s8
	s_sub_i32 s13, 0, s8
	v_mov_b32_e32 v9, v2
	s_delay_alu instid0(VALU_DEP_2) | instskip(SKIP_2) | instid1(VALU_DEP_1)
	v_rcp_iflag_f32_e32 v3, v3
	s_waitcnt_depctr 0xfff
	v_mul_f32_e32 v3, 0x4f7ffffe, v3
	v_cvt_u32_f32_e32 v3, v3
	s_delay_alu instid0(VALU_DEP_1) | instskip(NEXT) | instid1(VALU_DEP_1)
	v_mul_lo_u32 v5, s13, v3
	v_mul_hi_u32 v5, v3, v5
	s_delay_alu instid0(VALU_DEP_1) | instskip(NEXT) | instid1(VALU_DEP_1)
	v_add_nc_u32_e32 v3, v3, v5
	v_mul_hi_u32 v3, v4, v3
	s_delay_alu instid0(VALU_DEP_1) | instskip(SKIP_1) | instid1(VALU_DEP_2)
	v_mul_lo_u32 v5, v3, s8
	v_add_nc_u32_e32 v6, 1, v3
	v_sub_nc_u32_e32 v5, v4, v5
	s_delay_alu instid0(VALU_DEP_1) | instskip(SKIP_1) | instid1(VALU_DEP_4)
	v_cmp_le_u32_e32 vcc_lo, s8, v5
	v_subrev_nc_u32_e32 v7, s8, v5
	v_cndmask_b32_e32 v3, v3, v6, vcc_lo
	s_delay_alu instid0(VALU_DEP_1) | instskip(NEXT) | instid1(VALU_DEP_3)
	v_add_nc_u32_e32 v6, 1, v3
	v_cndmask_b32_e32 v5, v5, v7, vcc_lo
	s_delay_alu instid0(VALU_DEP_1) | instskip(NEXT) | instid1(VALU_DEP_3)
	v_cmp_le_u32_e32 vcc_lo, s8, v5
	v_cndmask_b32_e32 v8, v3, v6, vcc_lo
.LBB37_11:                              ;   in Loop: Header=BB37_3 Depth=1
	s_or_b32 exec_lo, exec_lo, s0
	v_mad_u64_u32 v[5:6], null, v4, s30, 0
	s_delay_alu instid0(VALU_DEP_2) | instskip(SKIP_1) | instid1(VALU_DEP_2)
	v_mad_u64_u32 v[6:7], null, v8, s8, 0
	s_and_not1_b32 vcc_lo, exec_lo, s1
	v_sub_co_u32 v19, null, v0, v5
	s_delay_alu instid0(VALU_DEP_2) | instskip(NEXT) | instid1(VALU_DEP_2)
	v_sub_co_u32 v20, null, v4, v6
	v_mul_lo_u32 v3, s18, v19
	v_mul_lo_u32 v10, s20, v19
	s_delay_alu instid0(VALU_DEP_2) | instskip(NEXT) | instid1(VALU_DEP_2)
	v_mad_u64_u32 v[6:7], null, s10, v20, v[3:4]
	v_mad_u64_u32 v[4:5], null, s12, v20, v[10:11]
	s_cbranch_vccnz .LBB37_40
; %bb.12:                               ;   in Loop: Header=BB37_3 Depth=1
	s_and_not1_b32 vcc_lo, exec_lo, s41
	s_mov_b32 s13, 1
	s_cbranch_vccnz .LBB37_20
; %bb.13:                               ;   in Loop: Header=BB37_3 Depth=1
	v_dual_mov_b32 v11, v9 :: v_dual_mov_b32 v10, v8
	s_mov_b32 s16, s38
.LBB37_14:                              ;   Parent Loop BB37_3 Depth=1
                                        ; =>  This Inner Loop Header: Depth=2
	s_delay_alu instid0(SALU_CYCLE_1)
	s_lshl_b64 s[24:25], s[16:17], 2
                                        ; implicit-def: $vgpr8_vgpr9
	s_mov_b32 s26, exec_lo
	s_add_u32 s22, s31, s24
	s_addc_u32 s23, s33, s25
	s_load_b32 s43, s[22:23], 0x8
	s_waitcnt lgkmcnt(0)
	s_ashr_i32 s0, s43, 31
	s_delay_alu instid0(SALU_CYCLE_1) | instskip(NEXT) | instid1(VALU_DEP_1)
	v_or_b32_e32 v3, s0, v11
	v_cmpx_ne_u64_e32 0, v[2:3]
	s_xor_b32 s44, exec_lo, s26
	s_cbranch_execz .LBB37_16
; %bb.15:                               ;   in Loop: Header=BB37_14 Depth=2
	s_add_u32 s28, s43, s0
	s_mov_b32 s26, s0
	s_mov_b32 s27, s0
	s_addc_u32 s29, s0, s0
	s_delay_alu instid0(SALU_CYCLE_1) | instskip(NEXT) | instid1(SALU_CYCLE_1)
	s_xor_b64 s[28:29], s[28:29], s[26:27]
	v_cvt_f32_u32_e32 v3, s28
	v_cvt_f32_u32_e32 v5, s29
	s_sub_u32 s0, 0, s28
	s_subb_u32 s45, 0, s29
	s_delay_alu instid0(VALU_DEP_1) | instskip(NEXT) | instid1(VALU_DEP_1)
	v_fmac_f32_e32 v3, 0x4f800000, v5
	v_rcp_f32_e32 v3, v3
	s_waitcnt_depctr 0xfff
	v_mul_f32_e32 v3, 0x5f7ffffc, v3
	s_delay_alu instid0(VALU_DEP_1) | instskip(NEXT) | instid1(VALU_DEP_1)
	v_mul_f32_e32 v5, 0x2f800000, v3
	v_trunc_f32_e32 v5, v5
	s_delay_alu instid0(VALU_DEP_1) | instskip(SKIP_1) | instid1(VALU_DEP_2)
	v_fmac_f32_e32 v3, 0xcf800000, v5
	v_cvt_u32_f32_e32 v5, v5
	v_cvt_u32_f32_e32 v3, v3
	s_delay_alu instid0(VALU_DEP_2) | instskip(NEXT) | instid1(VALU_DEP_2)
	v_mul_lo_u32 v7, s0, v5
	v_mul_hi_u32 v8, s0, v3
	v_mul_lo_u32 v9, s45, v3
	s_delay_alu instid0(VALU_DEP_2) | instskip(SKIP_1) | instid1(VALU_DEP_2)
	v_add_nc_u32_e32 v7, v8, v7
	v_mul_lo_u32 v8, s0, v3
	v_add_nc_u32_e32 v7, v7, v9
	s_delay_alu instid0(VALU_DEP_2) | instskip(NEXT) | instid1(VALU_DEP_2)
	v_mul_hi_u32 v9, v3, v8
	v_mul_lo_u32 v12, v3, v7
	v_mul_hi_u32 v13, v3, v7
	v_mul_hi_u32 v14, v5, v8
	v_mul_lo_u32 v8, v5, v8
	v_mul_hi_u32 v15, v5, v7
	v_mul_lo_u32 v7, v5, v7
	v_add_co_u32 v9, vcc_lo, v9, v12
	v_add_co_ci_u32_e32 v12, vcc_lo, 0, v13, vcc_lo
	s_delay_alu instid0(VALU_DEP_2) | instskip(NEXT) | instid1(VALU_DEP_2)
	v_add_co_u32 v8, vcc_lo, v9, v8
	v_add_co_ci_u32_e32 v8, vcc_lo, v12, v14, vcc_lo
	v_add_co_ci_u32_e32 v9, vcc_lo, 0, v15, vcc_lo
	v_ashrrev_i32_e32 v15, 31, v11
	s_delay_alu instid0(VALU_DEP_3) | instskip(NEXT) | instid1(VALU_DEP_3)
	v_add_co_u32 v7, vcc_lo, v8, v7
	v_add_co_ci_u32_e32 v8, vcc_lo, 0, v9, vcc_lo
	s_delay_alu instid0(VALU_DEP_2) | instskip(NEXT) | instid1(VALU_DEP_2)
	v_add_co_u32 v3, vcc_lo, v3, v7
	v_add_co_ci_u32_e32 v5, vcc_lo, v5, v8, vcc_lo
	s_delay_alu instid0(VALU_DEP_2) | instskip(SKIP_1) | instid1(VALU_DEP_3)
	v_mul_hi_u32 v7, s0, v3
	v_mul_lo_u32 v9, s45, v3
	v_mul_lo_u32 v8, s0, v5
	s_delay_alu instid0(VALU_DEP_1) | instskip(SKIP_1) | instid1(VALU_DEP_2)
	v_add_nc_u32_e32 v7, v7, v8
	v_mul_lo_u32 v8, s0, v3
	v_add_nc_u32_e32 v7, v7, v9
	s_delay_alu instid0(VALU_DEP_2) | instskip(NEXT) | instid1(VALU_DEP_2)
	v_mul_hi_u32 v9, v3, v8
	v_mul_lo_u32 v12, v3, v7
	v_mul_hi_u32 v13, v3, v7
	v_mul_hi_u32 v14, v5, v8
	v_mul_lo_u32 v8, v5, v8
	v_mul_hi_u32 v16, v5, v7
	v_mul_lo_u32 v7, v5, v7
	v_add_co_u32 v9, vcc_lo, v9, v12
	v_add_co_ci_u32_e32 v12, vcc_lo, 0, v13, vcc_lo
	s_delay_alu instid0(VALU_DEP_2) | instskip(NEXT) | instid1(VALU_DEP_2)
	v_add_co_u32 v8, vcc_lo, v9, v8
	v_add_co_ci_u32_e32 v8, vcc_lo, v12, v14, vcc_lo
	v_add_co_ci_u32_e32 v9, vcc_lo, 0, v16, vcc_lo
	v_add_co_u32 v12, vcc_lo, v10, v15
	v_add_co_ci_u32_e32 v11, vcc_lo, v11, v15, vcc_lo
	s_delay_alu instid0(VALU_DEP_4) | instskip(NEXT) | instid1(VALU_DEP_4)
	v_add_co_u32 v7, vcc_lo, v8, v7
	v_add_co_ci_u32_e32 v8, vcc_lo, 0, v9, vcc_lo
	s_delay_alu instid0(VALU_DEP_4) | instskip(NEXT) | instid1(VALU_DEP_3)
	v_xor_b32_e32 v9, v12, v15
	v_add_co_u32 v3, vcc_lo, v3, v7
	s_delay_alu instid0(VALU_DEP_3) | instskip(SKIP_1) | instid1(VALU_DEP_3)
	v_add_co_ci_u32_e32 v5, vcc_lo, v5, v8, vcc_lo
	v_xor_b32_e32 v16, v11, v15
	v_mul_hi_u32 v17, v9, v3
	s_delay_alu instid0(VALU_DEP_3) | instskip(NEXT) | instid1(VALU_DEP_3)
	v_mad_u64_u32 v[7:8], null, v9, v5, 0
	v_mad_u64_u32 v[11:12], null, v16, v3, 0
	v_mad_u64_u32 v[13:14], null, v16, v5, 0
	s_delay_alu instid0(VALU_DEP_3) | instskip(NEXT) | instid1(VALU_DEP_4)
	v_add_co_u32 v3, vcc_lo, v17, v7
	v_add_co_ci_u32_e32 v5, vcc_lo, 0, v8, vcc_lo
	s_delay_alu instid0(VALU_DEP_2) | instskip(NEXT) | instid1(VALU_DEP_2)
	v_add_co_u32 v3, vcc_lo, v3, v11
	v_add_co_ci_u32_e32 v3, vcc_lo, v5, v12, vcc_lo
	v_add_co_ci_u32_e32 v5, vcc_lo, 0, v14, vcc_lo
	s_delay_alu instid0(VALU_DEP_2) | instskip(NEXT) | instid1(VALU_DEP_2)
	v_add_co_u32 v3, vcc_lo, v3, v13
	v_add_co_ci_u32_e32 v5, vcc_lo, 0, v5, vcc_lo
	s_delay_alu instid0(VALU_DEP_2) | instskip(SKIP_1) | instid1(VALU_DEP_3)
	v_mul_lo_u32 v11, s29, v3
	v_mad_u64_u32 v[7:8], null, s28, v3, 0
	v_mul_lo_u32 v12, s28, v5
	s_delay_alu instid0(VALU_DEP_2) | instskip(NEXT) | instid1(VALU_DEP_2)
	v_sub_co_u32 v7, vcc_lo, v9, v7
	v_add3_u32 v8, v8, v12, v11
	s_delay_alu instid0(VALU_DEP_1) | instskip(NEXT) | instid1(VALU_DEP_1)
	v_sub_nc_u32_e32 v11, v16, v8
	v_subrev_co_ci_u32_e64 v9, s0, s29, v11, vcc_lo
	v_add_co_u32 v11, s0, v3, 2
	s_delay_alu instid0(VALU_DEP_1) | instskip(SKIP_3) | instid1(VALU_DEP_3)
	v_add_co_ci_u32_e64 v12, s0, 0, v5, s0
	v_sub_co_u32 v13, s0, v7, s28
	v_sub_co_ci_u32_e32 v8, vcc_lo, v16, v8, vcc_lo
	v_subrev_co_ci_u32_e64 v9, s0, 0, v9, s0
	v_cmp_le_u32_e32 vcc_lo, s28, v13
	s_delay_alu instid0(VALU_DEP_3) | instskip(SKIP_1) | instid1(VALU_DEP_4)
	v_cmp_eq_u32_e64 s0, s29, v8
	v_cndmask_b32_e64 v13, 0, -1, vcc_lo
	v_cmp_le_u32_e32 vcc_lo, s29, v9
	v_cndmask_b32_e64 v14, 0, -1, vcc_lo
	v_cmp_le_u32_e32 vcc_lo, s28, v7
	;; [unrolled: 2-line block ×3, first 2 shown]
	v_cndmask_b32_e64 v16, 0, -1, vcc_lo
	v_cmp_eq_u32_e32 vcc_lo, s29, v9
	s_delay_alu instid0(VALU_DEP_2) | instskip(SKIP_3) | instid1(VALU_DEP_3)
	v_cndmask_b32_e64 v7, v16, v7, s0
	v_cndmask_b32_e32 v9, v14, v13, vcc_lo
	v_add_co_u32 v13, vcc_lo, v3, 1
	v_add_co_ci_u32_e32 v14, vcc_lo, 0, v5, vcc_lo
	v_cmp_ne_u32_e32 vcc_lo, 0, v9
	s_delay_alu instid0(VALU_DEP_2) | instskip(SKIP_2) | instid1(VALU_DEP_3)
	v_dual_cndmask_b32 v8, v14, v12 :: v_dual_cndmask_b32 v9, v13, v11
	v_cmp_ne_u32_e32 vcc_lo, 0, v7
	v_xor_b32_e32 v7, s26, v15
	v_cndmask_b32_e32 v3, v3, v9, vcc_lo
	s_delay_alu instid0(VALU_DEP_4) | instskip(SKIP_1) | instid1(VALU_DEP_3)
	v_cndmask_b32_e32 v5, v5, v8, vcc_lo
	v_xor_b32_e32 v9, s27, v15
	v_xor_b32_e32 v3, v3, v7
	s_delay_alu instid0(VALU_DEP_2) | instskip(NEXT) | instid1(VALU_DEP_2)
	v_xor_b32_e32 v5, v5, v9
	v_sub_co_u32 v8, vcc_lo, v3, v7
	s_delay_alu instid0(VALU_DEP_2)
	v_sub_co_ci_u32_e32 v9, vcc_lo, v5, v9, vcc_lo
.LBB37_16:                              ;   in Loop: Header=BB37_14 Depth=2
	s_and_not1_saveexec_b32 s0, s44
	s_cbranch_execz .LBB37_18
; %bb.17:                               ;   in Loop: Header=BB37_14 Depth=2
	v_cvt_f32_u32_e32 v3, s43
	s_sub_i32 s26, 0, s43
	v_mov_b32_e32 v9, v2
	s_delay_alu instid0(VALU_DEP_2) | instskip(SKIP_2) | instid1(VALU_DEP_1)
	v_rcp_iflag_f32_e32 v3, v3
	s_waitcnt_depctr 0xfff
	v_mul_f32_e32 v3, 0x4f7ffffe, v3
	v_cvt_u32_f32_e32 v3, v3
	s_delay_alu instid0(VALU_DEP_1) | instskip(NEXT) | instid1(VALU_DEP_1)
	v_mul_lo_u32 v5, s26, v3
	v_mul_hi_u32 v5, v3, v5
	s_delay_alu instid0(VALU_DEP_1) | instskip(NEXT) | instid1(VALU_DEP_1)
	v_add_nc_u32_e32 v3, v3, v5
	v_mul_hi_u32 v3, v10, v3
	s_delay_alu instid0(VALU_DEP_1) | instskip(SKIP_1) | instid1(VALU_DEP_2)
	v_mul_lo_u32 v5, v3, s43
	v_add_nc_u32_e32 v7, 1, v3
	v_sub_nc_u32_e32 v5, v10, v5
	s_delay_alu instid0(VALU_DEP_1) | instskip(SKIP_1) | instid1(VALU_DEP_4)
	v_cmp_le_u32_e32 vcc_lo, s43, v5
	v_subrev_nc_u32_e32 v8, s43, v5
	v_cndmask_b32_e32 v3, v3, v7, vcc_lo
	s_delay_alu instid0(VALU_DEP_1) | instskip(NEXT) | instid1(VALU_DEP_3)
	v_add_nc_u32_e32 v7, 1, v3
	v_cndmask_b32_e32 v5, v5, v8, vcc_lo
	s_delay_alu instid0(VALU_DEP_1) | instskip(NEXT) | instid1(VALU_DEP_3)
	v_cmp_le_u32_e32 vcc_lo, s43, v5
	v_cndmask_b32_e32 v8, v3, v7, vcc_lo
.LBB37_18:                              ;   in Loop: Header=BB37_14 Depth=2
	s_or_b32 exec_lo, exec_lo, s0
	s_add_u32 s24, s36, s24
	s_addc_u32 s25, s37, s25
	s_clause 0x1
	s_load_b32 s0, s[22:23], 0x6c
	s_load_b32 s22, s[24:25], 0x0
	v_mul_lo_u32 v3, v8, s43
	s_add_i32 s16, s16, -1
	s_delay_alu instid0(VALU_DEP_1) | instskip(SKIP_1) | instid1(VALU_DEP_1)
	v_sub_nc_u32_e32 v3, v10, v3
	s_waitcnt lgkmcnt(0)
	v_mad_u64_u32 v[10:11], null, s0, v3, v[6:7]
	v_mad_u64_u32 v[5:6], null, s22, v3, v[4:5]
	s_xor_b32 s0, s39, s13
	s_add_i32 s13, s13, 1
	s_cmp_lg_u32 s0, 2
	s_delay_alu instid0(VALU_DEP_2) | instskip(NEXT) | instid1(VALU_DEP_2)
	v_mov_b32_e32 v6, v10
	v_mov_b32_e32 v4, v5
	s_cbranch_scc0 .LBB37_21
; %bb.19:                               ;   in Loop: Header=BB37_14 Depth=2
	v_dual_mov_b32 v11, v9 :: v_dual_mov_b32 v10, v8
	s_branch .LBB37_14
.LBB37_20:                              ;   in Loop: Header=BB37_3 Depth=1
	s_mov_b32 s16, s38
.LBB37_21:                              ;   in Loop: Header=BB37_3 Depth=1
	s_and_b32 vcc_lo, exec_lo, s42
	s_cbranch_vccz .LBB37_40
.LBB37_22:                              ;   Parent Loop BB37_3 Depth=1
                                        ; =>  This Inner Loop Header: Depth=2
	s_lshl_b64 s[22:23], s[16:17], 2
                                        ; implicit-def: $vgpr10_vgpr11
	s_mov_b32 s26, exec_lo
	s_add_u32 s24, s31, s22
	s_addc_u32 s25, s33, s23
	s_load_b32 s13, s[24:25], 0x8
	s_waitcnt lgkmcnt(0)
	s_ashr_i32 s0, s13, 31
	s_delay_alu instid0(SALU_CYCLE_1) | instskip(NEXT) | instid1(VALU_DEP_1)
	v_or_b32_e32 v3, s0, v9
	v_cmpx_ne_u64_e32 0, v[2:3]
	s_xor_b32 s43, exec_lo, s26
	s_cbranch_execz .LBB37_24
; %bb.23:                               ;   in Loop: Header=BB37_22 Depth=2
	s_add_u32 s28, s13, s0
	s_mov_b32 s26, s0
	s_mov_b32 s27, s0
	s_addc_u32 s29, s0, s0
	s_delay_alu instid0(SALU_CYCLE_1) | instskip(NEXT) | instid1(SALU_CYCLE_1)
	s_xor_b64 s[28:29], s[28:29], s[26:27]
	v_cvt_f32_u32_e32 v3, s28
	v_cvt_f32_u32_e32 v5, s29
	s_sub_u32 s0, 0, s28
	s_subb_u32 s44, 0, s29
	s_delay_alu instid0(VALU_DEP_1) | instskip(NEXT) | instid1(VALU_DEP_1)
	v_fmac_f32_e32 v3, 0x4f800000, v5
	v_rcp_f32_e32 v3, v3
	s_waitcnt_depctr 0xfff
	v_mul_f32_e32 v3, 0x5f7ffffc, v3
	s_delay_alu instid0(VALU_DEP_1) | instskip(NEXT) | instid1(VALU_DEP_1)
	v_mul_f32_e32 v5, 0x2f800000, v3
	v_trunc_f32_e32 v5, v5
	s_delay_alu instid0(VALU_DEP_1) | instskip(SKIP_1) | instid1(VALU_DEP_2)
	v_fmac_f32_e32 v3, 0xcf800000, v5
	v_cvt_u32_f32_e32 v5, v5
	v_cvt_u32_f32_e32 v3, v3
	s_delay_alu instid0(VALU_DEP_2) | instskip(NEXT) | instid1(VALU_DEP_2)
	v_mul_lo_u32 v7, s0, v5
	v_mul_hi_u32 v10, s0, v3
	v_mul_lo_u32 v11, s44, v3
	s_delay_alu instid0(VALU_DEP_2) | instskip(SKIP_1) | instid1(VALU_DEP_2)
	v_add_nc_u32_e32 v7, v10, v7
	v_mul_lo_u32 v10, s0, v3
	v_add_nc_u32_e32 v7, v7, v11
	s_delay_alu instid0(VALU_DEP_2) | instskip(NEXT) | instid1(VALU_DEP_2)
	v_mul_hi_u32 v11, v3, v10
	v_mul_lo_u32 v12, v3, v7
	v_mul_hi_u32 v13, v3, v7
	v_mul_hi_u32 v14, v5, v10
	v_mul_lo_u32 v10, v5, v10
	v_mul_hi_u32 v15, v5, v7
	v_mul_lo_u32 v7, v5, v7
	v_add_co_u32 v11, vcc_lo, v11, v12
	v_add_co_ci_u32_e32 v12, vcc_lo, 0, v13, vcc_lo
	s_delay_alu instid0(VALU_DEP_2) | instskip(NEXT) | instid1(VALU_DEP_2)
	v_add_co_u32 v10, vcc_lo, v11, v10
	v_add_co_ci_u32_e32 v10, vcc_lo, v12, v14, vcc_lo
	v_add_co_ci_u32_e32 v11, vcc_lo, 0, v15, vcc_lo
	v_ashrrev_i32_e32 v15, 31, v9
	s_delay_alu instid0(VALU_DEP_3) | instskip(NEXT) | instid1(VALU_DEP_3)
	v_add_co_u32 v7, vcc_lo, v10, v7
	v_add_co_ci_u32_e32 v10, vcc_lo, 0, v11, vcc_lo
	s_delay_alu instid0(VALU_DEP_2) | instskip(NEXT) | instid1(VALU_DEP_2)
	v_add_co_u32 v3, vcc_lo, v3, v7
	v_add_co_ci_u32_e32 v5, vcc_lo, v5, v10, vcc_lo
	s_delay_alu instid0(VALU_DEP_2) | instskip(SKIP_1) | instid1(VALU_DEP_3)
	v_mul_hi_u32 v7, s0, v3
	v_mul_lo_u32 v11, s44, v3
	v_mul_lo_u32 v10, s0, v5
	s_delay_alu instid0(VALU_DEP_1) | instskip(SKIP_1) | instid1(VALU_DEP_2)
	v_add_nc_u32_e32 v7, v7, v10
	v_mul_lo_u32 v10, s0, v3
	v_add_nc_u32_e32 v7, v7, v11
	s_delay_alu instid0(VALU_DEP_2) | instskip(NEXT) | instid1(VALU_DEP_2)
	v_mul_hi_u32 v11, v3, v10
	v_mul_lo_u32 v12, v3, v7
	v_mul_hi_u32 v13, v3, v7
	v_mul_hi_u32 v14, v5, v10
	v_mul_lo_u32 v10, v5, v10
	v_mul_hi_u32 v16, v5, v7
	v_mul_lo_u32 v7, v5, v7
	v_add_co_u32 v11, vcc_lo, v11, v12
	v_add_co_ci_u32_e32 v12, vcc_lo, 0, v13, vcc_lo
	s_delay_alu instid0(VALU_DEP_2) | instskip(NEXT) | instid1(VALU_DEP_2)
	v_add_co_u32 v10, vcc_lo, v11, v10
	v_add_co_ci_u32_e32 v10, vcc_lo, v12, v14, vcc_lo
	v_add_co_ci_u32_e32 v11, vcc_lo, 0, v16, vcc_lo
	v_add_co_u32 v12, vcc_lo, v8, v15
	v_add_co_ci_u32_e32 v9, vcc_lo, v9, v15, vcc_lo
	s_delay_alu instid0(VALU_DEP_4) | instskip(NEXT) | instid1(VALU_DEP_4)
	v_add_co_u32 v7, vcc_lo, v10, v7
	v_add_co_ci_u32_e32 v10, vcc_lo, 0, v11, vcc_lo
	s_delay_alu instid0(VALU_DEP_4) | instskip(NEXT) | instid1(VALU_DEP_3)
	v_xor_b32_e32 v16, v12, v15
	v_add_co_u32 v3, vcc_lo, v3, v7
	s_delay_alu instid0(VALU_DEP_3) | instskip(SKIP_1) | instid1(VALU_DEP_3)
	v_add_co_ci_u32_e32 v5, vcc_lo, v5, v10, vcc_lo
	v_xor_b32_e32 v7, v9, v15
	v_mul_hi_u32 v17, v16, v3
	s_delay_alu instid0(VALU_DEP_3) | instskip(NEXT) | instid1(VALU_DEP_3)
	v_mad_u64_u32 v[9:10], null, v16, v5, 0
	v_mad_u64_u32 v[11:12], null, v7, v3, 0
	;; [unrolled: 1-line block ×3, first 2 shown]
	s_delay_alu instid0(VALU_DEP_3) | instskip(NEXT) | instid1(VALU_DEP_4)
	v_add_co_u32 v3, vcc_lo, v17, v9
	v_add_co_ci_u32_e32 v5, vcc_lo, 0, v10, vcc_lo
	s_delay_alu instid0(VALU_DEP_2) | instskip(NEXT) | instid1(VALU_DEP_2)
	v_add_co_u32 v3, vcc_lo, v3, v11
	v_add_co_ci_u32_e32 v3, vcc_lo, v5, v12, vcc_lo
	v_add_co_ci_u32_e32 v5, vcc_lo, 0, v14, vcc_lo
	s_delay_alu instid0(VALU_DEP_2) | instskip(NEXT) | instid1(VALU_DEP_2)
	v_add_co_u32 v3, vcc_lo, v3, v13
	v_add_co_ci_u32_e32 v5, vcc_lo, 0, v5, vcc_lo
	s_delay_alu instid0(VALU_DEP_2) | instskip(SKIP_1) | instid1(VALU_DEP_3)
	v_mul_lo_u32 v11, s29, v3
	v_mad_u64_u32 v[9:10], null, s28, v3, 0
	v_mul_lo_u32 v12, s28, v5
	s_delay_alu instid0(VALU_DEP_2) | instskip(NEXT) | instid1(VALU_DEP_2)
	v_sub_co_u32 v9, vcc_lo, v16, v9
	v_add3_u32 v10, v10, v12, v11
	s_delay_alu instid0(VALU_DEP_1) | instskip(NEXT) | instid1(VALU_DEP_1)
	v_sub_nc_u32_e32 v11, v7, v10
	v_subrev_co_ci_u32_e64 v11, s0, s29, v11, vcc_lo
	v_add_co_u32 v12, s0, v3, 2
	s_delay_alu instid0(VALU_DEP_1) | instskip(SKIP_3) | instid1(VALU_DEP_3)
	v_add_co_ci_u32_e64 v13, s0, 0, v5, s0
	v_sub_co_u32 v14, s0, v9, s28
	v_sub_co_ci_u32_e32 v7, vcc_lo, v7, v10, vcc_lo
	v_subrev_co_ci_u32_e64 v11, s0, 0, v11, s0
	v_cmp_le_u32_e32 vcc_lo, s28, v14
	s_delay_alu instid0(VALU_DEP_3) | instskip(SKIP_1) | instid1(VALU_DEP_4)
	v_cmp_eq_u32_e64 s0, s29, v7
	v_cndmask_b32_e64 v10, 0, -1, vcc_lo
	v_cmp_le_u32_e32 vcc_lo, s29, v11
	v_cndmask_b32_e64 v14, 0, -1, vcc_lo
	v_cmp_le_u32_e32 vcc_lo, s28, v9
	;; [unrolled: 2-line block ×3, first 2 shown]
	v_cndmask_b32_e64 v16, 0, -1, vcc_lo
	v_cmp_eq_u32_e32 vcc_lo, s29, v11
	s_delay_alu instid0(VALU_DEP_2) | instskip(SKIP_3) | instid1(VALU_DEP_3)
	v_cndmask_b32_e64 v7, v16, v9, s0
	v_cndmask_b32_e32 v10, v14, v10, vcc_lo
	v_add_co_u32 v11, vcc_lo, v3, 1
	v_add_co_ci_u32_e32 v14, vcc_lo, 0, v5, vcc_lo
	v_cmp_ne_u32_e32 vcc_lo, 0, v10
	s_delay_alu instid0(VALU_DEP_2) | instskip(SKIP_2) | instid1(VALU_DEP_3)
	v_dual_cndmask_b32 v10, v11, v12 :: v_dual_cndmask_b32 v9, v14, v13
	v_cmp_ne_u32_e32 vcc_lo, 0, v7
	v_xor_b32_e32 v7, s26, v15
	v_cndmask_b32_e32 v3, v3, v10, vcc_lo
	s_delay_alu instid0(VALU_DEP_4) | instskip(SKIP_1) | instid1(VALU_DEP_3)
	v_cndmask_b32_e32 v5, v5, v9, vcc_lo
	v_xor_b32_e32 v9, s27, v15
	v_xor_b32_e32 v3, v3, v7
	s_delay_alu instid0(VALU_DEP_2) | instskip(NEXT) | instid1(VALU_DEP_2)
	v_xor_b32_e32 v5, v5, v9
	v_sub_co_u32 v10, vcc_lo, v3, v7
	s_delay_alu instid0(VALU_DEP_2)
	v_sub_co_ci_u32_e32 v11, vcc_lo, v5, v9, vcc_lo
.LBB37_24:                              ;   in Loop: Header=BB37_22 Depth=2
	s_and_not1_saveexec_b32 s0, s43
	s_cbranch_execz .LBB37_26
; %bb.25:                               ;   in Loop: Header=BB37_22 Depth=2
	v_cvt_f32_u32_e32 v3, s13
	s_sub_i32 s26, 0, s13
	v_mov_b32_e32 v11, v2
	s_delay_alu instid0(VALU_DEP_2) | instskip(SKIP_2) | instid1(VALU_DEP_1)
	v_rcp_iflag_f32_e32 v3, v3
	s_waitcnt_depctr 0xfff
	v_mul_f32_e32 v3, 0x4f7ffffe, v3
	v_cvt_u32_f32_e32 v3, v3
	s_delay_alu instid0(VALU_DEP_1) | instskip(NEXT) | instid1(VALU_DEP_1)
	v_mul_lo_u32 v5, s26, v3
	v_mul_hi_u32 v5, v3, v5
	s_delay_alu instid0(VALU_DEP_1) | instskip(NEXT) | instid1(VALU_DEP_1)
	v_add_nc_u32_e32 v3, v3, v5
	v_mul_hi_u32 v3, v8, v3
	s_delay_alu instid0(VALU_DEP_1) | instskip(SKIP_1) | instid1(VALU_DEP_2)
	v_mul_lo_u32 v5, v3, s13
	v_add_nc_u32_e32 v7, 1, v3
	v_sub_nc_u32_e32 v5, v8, v5
	s_delay_alu instid0(VALU_DEP_1) | instskip(SKIP_1) | instid1(VALU_DEP_4)
	v_cmp_le_u32_e32 vcc_lo, s13, v5
	v_subrev_nc_u32_e32 v9, s13, v5
	v_cndmask_b32_e32 v3, v3, v7, vcc_lo
	s_delay_alu instid0(VALU_DEP_1) | instskip(NEXT) | instid1(VALU_DEP_3)
	v_add_nc_u32_e32 v7, 1, v3
	v_cndmask_b32_e32 v5, v5, v9, vcc_lo
	s_delay_alu instid0(VALU_DEP_1) | instskip(NEXT) | instid1(VALU_DEP_3)
	v_cmp_le_u32_e32 vcc_lo, s13, v5
	v_cndmask_b32_e32 v10, v3, v7, vcc_lo
.LBB37_26:                              ;   in Loop: Header=BB37_22 Depth=2
	s_or_b32 exec_lo, exec_lo, s0
	s_add_u32 s28, s36, s22
	s_addc_u32 s29, s37, s23
	s_add_i32 s22, s16, -1
	s_mov_b32 s23, s17
                                        ; implicit-def: $vgpr12_vgpr13
	s_delay_alu instid0(SALU_CYCLE_1) | instskip(NEXT) | instid1(SALU_CYCLE_1)
	s_lshl_b64 s[26:27], s[22:23], 2
	s_add_u32 s22, s31, s26
	s_addc_u32 s23, s33, s27
	s_clause 0x2
	s_load_b32 s45, s[22:23], 0x8
	s_load_b32 s43, s[24:25], 0x6c
	;; [unrolled: 1-line block ×3, first 2 shown]
	s_mov_b32 s24, exec_lo
	s_waitcnt lgkmcnt(0)
	s_ashr_i32 s0, s45, 31
	s_delay_alu instid0(SALU_CYCLE_1) | instskip(NEXT) | instid1(VALU_DEP_1)
	v_or_b32_e32 v3, s0, v11
	v_cmpx_ne_u64_e32 0, v[2:3]
	s_xor_b32 s46, exec_lo, s24
	s_cbranch_execz .LBB37_28
; %bb.27:                               ;   in Loop: Header=BB37_22 Depth=2
	s_add_u32 s28, s45, s0
	s_mov_b32 s24, s0
	s_mov_b32 s25, s0
	s_addc_u32 s29, s0, s0
	v_ashrrev_i32_e32 v17, 31, v11
	s_xor_b64 s[28:29], s[28:29], s[24:25]
	s_delay_alu instid0(SALU_CYCLE_1) | instskip(SKIP_3) | instid1(VALU_DEP_1)
	v_cvt_f32_u32_e32 v3, s28
	v_cvt_f32_u32_e32 v5, s29
	s_sub_u32 s0, 0, s28
	s_subb_u32 s47, 0, s29
	v_fmac_f32_e32 v3, 0x4f800000, v5
	s_delay_alu instid0(VALU_DEP_1) | instskip(SKIP_2) | instid1(VALU_DEP_1)
	v_rcp_f32_e32 v3, v3
	s_waitcnt_depctr 0xfff
	v_mul_f32_e32 v3, 0x5f7ffffc, v3
	v_mul_f32_e32 v5, 0x2f800000, v3
	s_delay_alu instid0(VALU_DEP_1) | instskip(NEXT) | instid1(VALU_DEP_1)
	v_trunc_f32_e32 v5, v5
	v_fmac_f32_e32 v3, 0xcf800000, v5
	v_cvt_u32_f32_e32 v5, v5
	s_delay_alu instid0(VALU_DEP_2) | instskip(NEXT) | instid1(VALU_DEP_2)
	v_cvt_u32_f32_e32 v3, v3
	v_mul_lo_u32 v7, s0, v5
	s_delay_alu instid0(VALU_DEP_2) | instskip(SKIP_1) | instid1(VALU_DEP_2)
	v_mul_hi_u32 v9, s0, v3
	v_mul_lo_u32 v12, s47, v3
	v_add_nc_u32_e32 v7, v9, v7
	v_mul_lo_u32 v9, s0, v3
	s_delay_alu instid0(VALU_DEP_2) | instskip(NEXT) | instid1(VALU_DEP_2)
	v_add_nc_u32_e32 v7, v7, v12
	v_mul_hi_u32 v12, v3, v9
	s_delay_alu instid0(VALU_DEP_2)
	v_mul_lo_u32 v13, v3, v7
	v_mul_hi_u32 v14, v3, v7
	v_mul_hi_u32 v15, v5, v9
	v_mul_lo_u32 v9, v5, v9
	v_mul_hi_u32 v16, v5, v7
	v_mul_lo_u32 v7, v5, v7
	v_add_co_u32 v12, vcc_lo, v12, v13
	v_add_co_ci_u32_e32 v13, vcc_lo, 0, v14, vcc_lo
	s_delay_alu instid0(VALU_DEP_2) | instskip(NEXT) | instid1(VALU_DEP_2)
	v_add_co_u32 v9, vcc_lo, v12, v9
	v_add_co_ci_u32_e32 v9, vcc_lo, v13, v15, vcc_lo
	v_add_co_ci_u32_e32 v12, vcc_lo, 0, v16, vcc_lo
	s_delay_alu instid0(VALU_DEP_2) | instskip(NEXT) | instid1(VALU_DEP_2)
	v_add_co_u32 v7, vcc_lo, v9, v7
	v_add_co_ci_u32_e32 v9, vcc_lo, 0, v12, vcc_lo
	s_delay_alu instid0(VALU_DEP_2) | instskip(NEXT) | instid1(VALU_DEP_2)
	v_add_co_u32 v3, vcc_lo, v3, v7
	v_add_co_ci_u32_e32 v5, vcc_lo, v5, v9, vcc_lo
	s_delay_alu instid0(VALU_DEP_2) | instskip(SKIP_1) | instid1(VALU_DEP_3)
	v_mul_hi_u32 v7, s0, v3
	v_mul_lo_u32 v12, s47, v3
	v_mul_lo_u32 v9, s0, v5
	s_delay_alu instid0(VALU_DEP_1) | instskip(SKIP_1) | instid1(VALU_DEP_2)
	v_add_nc_u32_e32 v7, v7, v9
	v_mul_lo_u32 v9, s0, v3
	v_add_nc_u32_e32 v7, v7, v12
	s_delay_alu instid0(VALU_DEP_2) | instskip(NEXT) | instid1(VALU_DEP_2)
	v_mul_hi_u32 v12, v3, v9
	v_mul_lo_u32 v13, v3, v7
	v_mul_hi_u32 v14, v3, v7
	v_mul_hi_u32 v15, v5, v9
	v_mul_lo_u32 v9, v5, v9
	v_mul_hi_u32 v16, v5, v7
	v_mul_lo_u32 v7, v5, v7
	v_add_co_u32 v12, vcc_lo, v12, v13
	v_add_co_ci_u32_e32 v13, vcc_lo, 0, v14, vcc_lo
	s_delay_alu instid0(VALU_DEP_2) | instskip(NEXT) | instid1(VALU_DEP_2)
	v_add_co_u32 v9, vcc_lo, v12, v9
	v_add_co_ci_u32_e32 v9, vcc_lo, v13, v15, vcc_lo
	v_add_co_ci_u32_e32 v12, vcc_lo, 0, v16, vcc_lo
	v_add_co_u32 v13, vcc_lo, v10, v17
	v_add_co_ci_u32_e32 v11, vcc_lo, v11, v17, vcc_lo
	s_delay_alu instid0(VALU_DEP_4) | instskip(NEXT) | instid1(VALU_DEP_4)
	v_add_co_u32 v7, vcc_lo, v9, v7
	v_add_co_ci_u32_e32 v9, vcc_lo, 0, v12, vcc_lo
	s_delay_alu instid0(VALU_DEP_4) | instskip(NEXT) | instid1(VALU_DEP_3)
	v_xor_b32_e32 v21, v13, v17
	v_add_co_u32 v3, vcc_lo, v3, v7
	s_delay_alu instid0(VALU_DEP_3) | instskip(SKIP_1) | instid1(VALU_DEP_3)
	v_add_co_ci_u32_e32 v5, vcc_lo, v5, v9, vcc_lo
	v_xor_b32_e32 v7, v11, v17
	v_mul_hi_u32 v9, v21, v3
	s_delay_alu instid0(VALU_DEP_3) | instskip(NEXT) | instid1(VALU_DEP_3)
	v_mad_u64_u32 v[11:12], null, v21, v5, 0
	v_mad_u64_u32 v[13:14], null, v7, v3, 0
	v_mad_u64_u32 v[15:16], null, v7, v5, 0
	s_delay_alu instid0(VALU_DEP_3) | instskip(NEXT) | instid1(VALU_DEP_4)
	v_add_co_u32 v3, vcc_lo, v9, v11
	v_add_co_ci_u32_e32 v5, vcc_lo, 0, v12, vcc_lo
	s_delay_alu instid0(VALU_DEP_2) | instskip(NEXT) | instid1(VALU_DEP_2)
	v_add_co_u32 v3, vcc_lo, v3, v13
	v_add_co_ci_u32_e32 v3, vcc_lo, v5, v14, vcc_lo
	v_add_co_ci_u32_e32 v5, vcc_lo, 0, v16, vcc_lo
	s_delay_alu instid0(VALU_DEP_2) | instskip(NEXT) | instid1(VALU_DEP_2)
	v_add_co_u32 v3, vcc_lo, v3, v15
	v_add_co_ci_u32_e32 v5, vcc_lo, 0, v5, vcc_lo
	s_delay_alu instid0(VALU_DEP_2) | instskip(SKIP_1) | instid1(VALU_DEP_3)
	v_mul_lo_u32 v9, s29, v3
	v_mad_u64_u32 v[11:12], null, s28, v3, 0
	v_mul_lo_u32 v13, s28, v5
	s_delay_alu instid0(VALU_DEP_2) | instskip(NEXT) | instid1(VALU_DEP_2)
	v_sub_co_u32 v11, vcc_lo, v21, v11
	v_add3_u32 v9, v12, v13, v9
	s_delay_alu instid0(VALU_DEP_1) | instskip(NEXT) | instid1(VALU_DEP_1)
	v_sub_nc_u32_e32 v12, v7, v9
	v_subrev_co_ci_u32_e64 v12, s0, s29, v12, vcc_lo
	v_add_co_u32 v13, s0, v3, 2
	s_delay_alu instid0(VALU_DEP_1) | instskip(SKIP_3) | instid1(VALU_DEP_3)
	v_add_co_ci_u32_e64 v14, s0, 0, v5, s0
	v_sub_co_u32 v15, s0, v11, s28
	v_sub_co_ci_u32_e32 v7, vcc_lo, v7, v9, vcc_lo
	v_subrev_co_ci_u32_e64 v12, s0, 0, v12, s0
	v_cmp_le_u32_e32 vcc_lo, s28, v15
	s_delay_alu instid0(VALU_DEP_3) | instskip(SKIP_1) | instid1(VALU_DEP_4)
	v_cmp_eq_u32_e64 s0, s29, v7
	v_cndmask_b32_e64 v9, 0, -1, vcc_lo
	v_cmp_le_u32_e32 vcc_lo, s29, v12
	v_cndmask_b32_e64 v15, 0, -1, vcc_lo
	v_cmp_le_u32_e32 vcc_lo, s28, v11
	;; [unrolled: 2-line block ×3, first 2 shown]
	v_cndmask_b32_e64 v16, 0, -1, vcc_lo
	v_cmp_eq_u32_e32 vcc_lo, s29, v12
	s_delay_alu instid0(VALU_DEP_2) | instskip(SKIP_3) | instid1(VALU_DEP_3)
	v_cndmask_b32_e64 v7, v16, v11, s0
	v_cndmask_b32_e32 v9, v15, v9, vcc_lo
	v_add_co_u32 v12, vcc_lo, v3, 1
	v_add_co_ci_u32_e32 v15, vcc_lo, 0, v5, vcc_lo
	v_cmp_ne_u32_e32 vcc_lo, 0, v9
	s_delay_alu instid0(VALU_DEP_2) | instskip(NEXT) | instid1(VALU_DEP_4)
	v_cndmask_b32_e32 v9, v15, v14, vcc_lo
	v_cndmask_b32_e32 v11, v12, v13, vcc_lo
	v_cmp_ne_u32_e32 vcc_lo, 0, v7
	v_xor_b32_e32 v7, s24, v17
	s_delay_alu instid0(VALU_DEP_3) | instskip(SKIP_2) | instid1(VALU_DEP_3)
	v_cndmask_b32_e32 v3, v3, v11, vcc_lo
	v_cndmask_b32_e32 v5, v5, v9, vcc_lo
	v_xor_b32_e32 v9, s25, v17
	v_xor_b32_e32 v3, v3, v7
	s_delay_alu instid0(VALU_DEP_2) | instskip(NEXT) | instid1(VALU_DEP_2)
	v_xor_b32_e32 v5, v5, v9
	v_sub_co_u32 v12, vcc_lo, v3, v7
	s_delay_alu instid0(VALU_DEP_2)
	v_sub_co_ci_u32_e32 v13, vcc_lo, v5, v9, vcc_lo
.LBB37_28:                              ;   in Loop: Header=BB37_22 Depth=2
	s_and_not1_saveexec_b32 s0, s46
	s_cbranch_execz .LBB37_30
; %bb.29:                               ;   in Loop: Header=BB37_22 Depth=2
	v_cvt_f32_u32_e32 v3, s45
	s_sub_i32 s24, 0, s45
	v_mov_b32_e32 v13, v2
	s_delay_alu instid0(VALU_DEP_2) | instskip(SKIP_2) | instid1(VALU_DEP_1)
	v_rcp_iflag_f32_e32 v3, v3
	s_waitcnt_depctr 0xfff
	v_mul_f32_e32 v3, 0x4f7ffffe, v3
	v_cvt_u32_f32_e32 v3, v3
	s_delay_alu instid0(VALU_DEP_1) | instskip(NEXT) | instid1(VALU_DEP_1)
	v_mul_lo_u32 v5, s24, v3
	v_mul_hi_u32 v5, v3, v5
	s_delay_alu instid0(VALU_DEP_1) | instskip(NEXT) | instid1(VALU_DEP_1)
	v_add_nc_u32_e32 v3, v3, v5
	v_mul_hi_u32 v3, v10, v3
	s_delay_alu instid0(VALU_DEP_1) | instskip(SKIP_1) | instid1(VALU_DEP_2)
	v_mul_lo_u32 v5, v3, s45
	v_add_nc_u32_e32 v7, 1, v3
	v_sub_nc_u32_e32 v5, v10, v5
	s_delay_alu instid0(VALU_DEP_1) | instskip(SKIP_1) | instid1(VALU_DEP_4)
	v_cmp_le_u32_e32 vcc_lo, s45, v5
	v_subrev_nc_u32_e32 v9, s45, v5
	v_cndmask_b32_e32 v3, v3, v7, vcc_lo
	s_delay_alu instid0(VALU_DEP_1) | instskip(NEXT) | instid1(VALU_DEP_3)
	v_add_nc_u32_e32 v7, 1, v3
	v_cndmask_b32_e32 v5, v5, v9, vcc_lo
	s_delay_alu instid0(VALU_DEP_1) | instskip(NEXT) | instid1(VALU_DEP_3)
	v_cmp_le_u32_e32 vcc_lo, s45, v5
	v_cndmask_b32_e32 v12, v3, v7, vcc_lo
.LBB37_30:                              ;   in Loop: Header=BB37_22 Depth=2
	s_or_b32 exec_lo, exec_lo, s0
	s_add_u32 s28, s36, s26
	s_addc_u32 s29, s37, s27
	s_add_i32 s24, s16, -2
	s_mov_b32 s25, s17
                                        ; implicit-def: $vgpr14_vgpr15
	s_delay_alu instid0(SALU_CYCLE_1) | instskip(NEXT) | instid1(SALU_CYCLE_1)
	s_lshl_b64 s[24:25], s[24:25], 2
	s_add_u32 s26, s31, s24
	s_addc_u32 s27, s33, s25
	s_clause 0x2
	s_load_b32 s48, s[26:27], 0x8
	s_load_b32 s46, s[22:23], 0x6c
	;; [unrolled: 1-line block ×3, first 2 shown]
	s_mov_b32 s22, exec_lo
	s_waitcnt lgkmcnt(0)
	s_ashr_i32 s0, s48, 31
	s_delay_alu instid0(SALU_CYCLE_1) | instskip(NEXT) | instid1(VALU_DEP_1)
	v_or_b32_e32 v3, s0, v13
	v_cmpx_ne_u64_e32 0, v[2:3]
	s_xor_b32 s49, exec_lo, s22
	s_cbranch_execz .LBB37_32
; %bb.31:                               ;   in Loop: Header=BB37_22 Depth=2
	s_add_u32 s28, s48, s0
	s_mov_b32 s22, s0
	s_mov_b32 s23, s0
	s_addc_u32 s29, s0, s0
	s_delay_alu instid0(SALU_CYCLE_1) | instskip(NEXT) | instid1(SALU_CYCLE_1)
	s_xor_b64 s[28:29], s[28:29], s[22:23]
	v_cvt_f32_u32_e32 v3, s28
	v_cvt_f32_u32_e32 v5, s29
	s_sub_u32 s0, 0, s28
	s_subb_u32 s50, 0, s29
	s_delay_alu instid0(VALU_DEP_1) | instskip(NEXT) | instid1(VALU_DEP_1)
	v_fmac_f32_e32 v3, 0x4f800000, v5
	v_rcp_f32_e32 v3, v3
	s_waitcnt_depctr 0xfff
	v_mul_f32_e32 v3, 0x5f7ffffc, v3
	s_delay_alu instid0(VALU_DEP_1) | instskip(NEXT) | instid1(VALU_DEP_1)
	v_mul_f32_e32 v5, 0x2f800000, v3
	v_trunc_f32_e32 v5, v5
	s_delay_alu instid0(VALU_DEP_1) | instskip(SKIP_1) | instid1(VALU_DEP_2)
	v_fmac_f32_e32 v3, 0xcf800000, v5
	v_cvt_u32_f32_e32 v5, v5
	v_cvt_u32_f32_e32 v3, v3
	s_delay_alu instid0(VALU_DEP_2) | instskip(NEXT) | instid1(VALU_DEP_2)
	v_mul_lo_u32 v7, s0, v5
	v_mul_hi_u32 v9, s0, v3
	v_mul_lo_u32 v11, s50, v3
	s_delay_alu instid0(VALU_DEP_2) | instskip(SKIP_1) | instid1(VALU_DEP_2)
	v_add_nc_u32_e32 v7, v9, v7
	v_mul_lo_u32 v9, s0, v3
	v_add_nc_u32_e32 v7, v7, v11
	s_delay_alu instid0(VALU_DEP_2) | instskip(NEXT) | instid1(VALU_DEP_2)
	v_mul_hi_u32 v11, v3, v9
	v_mul_lo_u32 v14, v3, v7
	v_mul_hi_u32 v15, v3, v7
	v_mul_hi_u32 v16, v5, v9
	v_mul_lo_u32 v9, v5, v9
	v_mul_hi_u32 v17, v5, v7
	v_mul_lo_u32 v7, v5, v7
	v_add_co_u32 v11, vcc_lo, v11, v14
	v_add_co_ci_u32_e32 v14, vcc_lo, 0, v15, vcc_lo
	s_delay_alu instid0(VALU_DEP_2) | instskip(NEXT) | instid1(VALU_DEP_2)
	v_add_co_u32 v9, vcc_lo, v11, v9
	v_add_co_ci_u32_e32 v9, vcc_lo, v14, v16, vcc_lo
	v_add_co_ci_u32_e32 v11, vcc_lo, 0, v17, vcc_lo
	v_ashrrev_i32_e32 v17, 31, v13
	s_delay_alu instid0(VALU_DEP_3) | instskip(NEXT) | instid1(VALU_DEP_3)
	v_add_co_u32 v7, vcc_lo, v9, v7
	v_add_co_ci_u32_e32 v9, vcc_lo, 0, v11, vcc_lo
	s_delay_alu instid0(VALU_DEP_2) | instskip(NEXT) | instid1(VALU_DEP_2)
	v_add_co_u32 v3, vcc_lo, v3, v7
	v_add_co_ci_u32_e32 v5, vcc_lo, v5, v9, vcc_lo
	s_delay_alu instid0(VALU_DEP_2) | instskip(SKIP_1) | instid1(VALU_DEP_3)
	v_mul_hi_u32 v7, s0, v3
	v_mul_lo_u32 v11, s50, v3
	v_mul_lo_u32 v9, s0, v5
	s_delay_alu instid0(VALU_DEP_1) | instskip(SKIP_1) | instid1(VALU_DEP_2)
	v_add_nc_u32_e32 v7, v7, v9
	v_mul_lo_u32 v9, s0, v3
	v_add_nc_u32_e32 v7, v7, v11
	s_delay_alu instid0(VALU_DEP_2) | instskip(NEXT) | instid1(VALU_DEP_2)
	v_mul_hi_u32 v11, v3, v9
	v_mul_lo_u32 v14, v3, v7
	v_mul_hi_u32 v15, v3, v7
	v_mul_hi_u32 v16, v5, v9
	v_mul_lo_u32 v9, v5, v9
	v_mul_hi_u32 v21, v5, v7
	v_mul_lo_u32 v7, v5, v7
	v_add_co_u32 v11, vcc_lo, v11, v14
	v_add_co_ci_u32_e32 v14, vcc_lo, 0, v15, vcc_lo
	s_delay_alu instid0(VALU_DEP_2) | instskip(NEXT) | instid1(VALU_DEP_2)
	v_add_co_u32 v9, vcc_lo, v11, v9
	v_add_co_ci_u32_e32 v9, vcc_lo, v14, v16, vcc_lo
	v_add_co_ci_u32_e32 v11, vcc_lo, 0, v21, vcc_lo
	v_add_co_u32 v14, vcc_lo, v12, v17
	v_add_co_ci_u32_e32 v13, vcc_lo, v13, v17, vcc_lo
	s_delay_alu instid0(VALU_DEP_4) | instskip(NEXT) | instid1(VALU_DEP_4)
	v_add_co_u32 v7, vcc_lo, v9, v7
	v_add_co_ci_u32_e32 v9, vcc_lo, 0, v11, vcc_lo
	s_delay_alu instid0(VALU_DEP_4) | instskip(NEXT) | instid1(VALU_DEP_3)
	v_xor_b32_e32 v11, v14, v17
	v_add_co_u32 v3, vcc_lo, v3, v7
	s_delay_alu instid0(VALU_DEP_3) | instskip(SKIP_1) | instid1(VALU_DEP_3)
	v_add_co_ci_u32_e32 v5, vcc_lo, v5, v9, vcc_lo
	v_xor_b32_e32 v7, v13, v17
	v_mul_hi_u32 v9, v11, v3
	s_delay_alu instid0(VALU_DEP_3) | instskip(NEXT) | instid1(VALU_DEP_3)
	v_mad_u64_u32 v[13:14], null, v11, v5, 0
	v_mad_u64_u32 v[15:16], null, v7, v3, 0
	;; [unrolled: 1-line block ×3, first 2 shown]
	s_delay_alu instid0(VALU_DEP_3) | instskip(NEXT) | instid1(VALU_DEP_4)
	v_add_co_u32 v3, vcc_lo, v9, v13
	v_add_co_ci_u32_e32 v5, vcc_lo, 0, v14, vcc_lo
	s_delay_alu instid0(VALU_DEP_2) | instskip(NEXT) | instid1(VALU_DEP_2)
	v_add_co_u32 v3, vcc_lo, v3, v15
	v_add_co_ci_u32_e32 v3, vcc_lo, v5, v16, vcc_lo
	v_add_co_ci_u32_e32 v5, vcc_lo, 0, v22, vcc_lo
	s_delay_alu instid0(VALU_DEP_2) | instskip(NEXT) | instid1(VALU_DEP_2)
	v_add_co_u32 v3, vcc_lo, v3, v21
	v_add_co_ci_u32_e32 v5, vcc_lo, 0, v5, vcc_lo
	s_delay_alu instid0(VALU_DEP_2) | instskip(SKIP_1) | instid1(VALU_DEP_3)
	v_mul_lo_u32 v9, s29, v3
	v_mad_u64_u32 v[13:14], null, s28, v3, 0
	v_mul_lo_u32 v15, s28, v5
	s_delay_alu instid0(VALU_DEP_2) | instskip(NEXT) | instid1(VALU_DEP_2)
	v_sub_co_u32 v11, vcc_lo, v11, v13
	v_add3_u32 v9, v14, v15, v9
	s_delay_alu instid0(VALU_DEP_1) | instskip(NEXT) | instid1(VALU_DEP_1)
	v_sub_nc_u32_e32 v14, v7, v9
	v_subrev_co_ci_u32_e64 v13, s0, s29, v14, vcc_lo
	v_add_co_u32 v14, s0, v3, 2
	s_delay_alu instid0(VALU_DEP_1) | instskip(SKIP_3) | instid1(VALU_DEP_3)
	v_add_co_ci_u32_e64 v15, s0, 0, v5, s0
	v_sub_co_u32 v16, s0, v11, s28
	v_sub_co_ci_u32_e32 v7, vcc_lo, v7, v9, vcc_lo
	v_subrev_co_ci_u32_e64 v13, s0, 0, v13, s0
	v_cmp_le_u32_e32 vcc_lo, s28, v16
	s_delay_alu instid0(VALU_DEP_3) | instskip(SKIP_1) | instid1(VALU_DEP_4)
	v_cmp_eq_u32_e64 s0, s29, v7
	v_cndmask_b32_e64 v9, 0, -1, vcc_lo
	v_cmp_le_u32_e32 vcc_lo, s29, v13
	v_cndmask_b32_e64 v16, 0, -1, vcc_lo
	v_cmp_le_u32_e32 vcc_lo, s28, v11
	;; [unrolled: 2-line block ×3, first 2 shown]
	v_cndmask_b32_e64 v21, 0, -1, vcc_lo
	v_cmp_eq_u32_e32 vcc_lo, s29, v13
	s_delay_alu instid0(VALU_DEP_2) | instskip(SKIP_3) | instid1(VALU_DEP_3)
	v_cndmask_b32_e64 v7, v21, v11, s0
	v_cndmask_b32_e32 v9, v16, v9, vcc_lo
	v_add_co_u32 v13, vcc_lo, v3, 1
	v_add_co_ci_u32_e32 v16, vcc_lo, 0, v5, vcc_lo
	v_cmp_ne_u32_e32 vcc_lo, 0, v9
	s_delay_alu instid0(VALU_DEP_2) | instskip(NEXT) | instid1(VALU_DEP_4)
	v_cndmask_b32_e32 v9, v16, v15, vcc_lo
	v_cndmask_b32_e32 v11, v13, v14, vcc_lo
	v_cmp_ne_u32_e32 vcc_lo, 0, v7
	v_xor_b32_e32 v7, s22, v17
	s_delay_alu instid0(VALU_DEP_3) | instskip(SKIP_2) | instid1(VALU_DEP_3)
	v_cndmask_b32_e32 v3, v3, v11, vcc_lo
	v_cndmask_b32_e32 v5, v5, v9, vcc_lo
	v_xor_b32_e32 v9, s23, v17
	v_xor_b32_e32 v3, v3, v7
	s_delay_alu instid0(VALU_DEP_2) | instskip(NEXT) | instid1(VALU_DEP_2)
	v_xor_b32_e32 v5, v5, v9
	v_sub_co_u32 v14, vcc_lo, v3, v7
	s_delay_alu instid0(VALU_DEP_2)
	v_sub_co_ci_u32_e32 v15, vcc_lo, v5, v9, vcc_lo
.LBB37_32:                              ;   in Loop: Header=BB37_22 Depth=2
	s_and_not1_saveexec_b32 s0, s49
	s_cbranch_execz .LBB37_34
; %bb.33:                               ;   in Loop: Header=BB37_22 Depth=2
	v_cvt_f32_u32_e32 v3, s48
	s_sub_i32 s22, 0, s48
	v_mov_b32_e32 v15, v2
	s_delay_alu instid0(VALU_DEP_2) | instskip(SKIP_2) | instid1(VALU_DEP_1)
	v_rcp_iflag_f32_e32 v3, v3
	s_waitcnt_depctr 0xfff
	v_mul_f32_e32 v3, 0x4f7ffffe, v3
	v_cvt_u32_f32_e32 v3, v3
	s_delay_alu instid0(VALU_DEP_1) | instskip(NEXT) | instid1(VALU_DEP_1)
	v_mul_lo_u32 v5, s22, v3
	v_mul_hi_u32 v5, v3, v5
	s_delay_alu instid0(VALU_DEP_1) | instskip(NEXT) | instid1(VALU_DEP_1)
	v_add_nc_u32_e32 v3, v3, v5
	v_mul_hi_u32 v3, v12, v3
	s_delay_alu instid0(VALU_DEP_1) | instskip(SKIP_1) | instid1(VALU_DEP_2)
	v_mul_lo_u32 v5, v3, s48
	v_add_nc_u32_e32 v7, 1, v3
	v_sub_nc_u32_e32 v5, v12, v5
	s_delay_alu instid0(VALU_DEP_1) | instskip(SKIP_1) | instid1(VALU_DEP_4)
	v_cmp_le_u32_e32 vcc_lo, s48, v5
	v_subrev_nc_u32_e32 v9, s48, v5
	v_cndmask_b32_e32 v3, v3, v7, vcc_lo
	s_delay_alu instid0(VALU_DEP_1) | instskip(NEXT) | instid1(VALU_DEP_3)
	v_add_nc_u32_e32 v7, 1, v3
	v_cndmask_b32_e32 v5, v5, v9, vcc_lo
	s_delay_alu instid0(VALU_DEP_1) | instskip(NEXT) | instid1(VALU_DEP_3)
	v_cmp_le_u32_e32 vcc_lo, s48, v5
	v_cndmask_b32_e32 v14, v3, v7, vcc_lo
.LBB37_34:                              ;   in Loop: Header=BB37_22 Depth=2
	s_or_b32 exec_lo, exec_lo, s0
	s_add_u32 s28, s36, s24
	s_addc_u32 s29, s37, s25
	s_add_i32 s22, s16, -3
	s_mov_b32 s23, s17
                                        ; implicit-def: $vgpr16_vgpr17
	s_delay_alu instid0(SALU_CYCLE_1) | instskip(NEXT) | instid1(SALU_CYCLE_1)
	s_lshl_b64 s[24:25], s[22:23], 2
	s_add_u32 s22, s31, s24
	s_addc_u32 s23, s33, s25
	s_clause 0x2
	s_load_b32 s51, s[22:23], 0x8
	s_load_b32 s49, s[26:27], 0x6c
	;; [unrolled: 1-line block ×3, first 2 shown]
	s_mov_b32 s26, exec_lo
	s_waitcnt lgkmcnt(0)
	s_ashr_i32 s0, s51, 31
	s_delay_alu instid0(SALU_CYCLE_1) | instskip(NEXT) | instid1(VALU_DEP_1)
	v_or_b32_e32 v3, s0, v15
	v_cmpx_ne_u64_e32 0, v[2:3]
	s_xor_b32 s52, exec_lo, s26
	s_cbranch_execz .LBB37_36
; %bb.35:                               ;   in Loop: Header=BB37_22 Depth=2
	s_add_u32 s28, s51, s0
	s_mov_b32 s26, s0
	s_mov_b32 s27, s0
	s_addc_u32 s29, s0, s0
	s_delay_alu instid0(SALU_CYCLE_1) | instskip(NEXT) | instid1(SALU_CYCLE_1)
	s_xor_b64 s[28:29], s[28:29], s[26:27]
	v_cvt_f32_u32_e32 v3, s28
	v_cvt_f32_u32_e32 v5, s29
	s_sub_u32 s0, 0, s28
	s_subb_u32 s53, 0, s29
	s_delay_alu instid0(VALU_DEP_1) | instskip(NEXT) | instid1(VALU_DEP_1)
	v_fmac_f32_e32 v3, 0x4f800000, v5
	v_rcp_f32_e32 v3, v3
	s_waitcnt_depctr 0xfff
	v_mul_f32_e32 v3, 0x5f7ffffc, v3
	s_delay_alu instid0(VALU_DEP_1) | instskip(NEXT) | instid1(VALU_DEP_1)
	v_mul_f32_e32 v5, 0x2f800000, v3
	v_trunc_f32_e32 v5, v5
	s_delay_alu instid0(VALU_DEP_1) | instskip(SKIP_1) | instid1(VALU_DEP_2)
	v_fmac_f32_e32 v3, 0xcf800000, v5
	v_cvt_u32_f32_e32 v5, v5
	v_cvt_u32_f32_e32 v3, v3
	s_delay_alu instid0(VALU_DEP_2) | instskip(NEXT) | instid1(VALU_DEP_2)
	v_mul_lo_u32 v7, s0, v5
	v_mul_hi_u32 v9, s0, v3
	v_mul_lo_u32 v11, s53, v3
	s_delay_alu instid0(VALU_DEP_2) | instskip(SKIP_1) | instid1(VALU_DEP_2)
	v_add_nc_u32_e32 v7, v9, v7
	v_mul_lo_u32 v9, s0, v3
	v_add_nc_u32_e32 v7, v7, v11
	s_delay_alu instid0(VALU_DEP_2) | instskip(NEXT) | instid1(VALU_DEP_2)
	v_mul_hi_u32 v11, v3, v9
	v_mul_lo_u32 v13, v3, v7
	v_mul_hi_u32 v16, v3, v7
	v_mul_hi_u32 v17, v5, v9
	v_mul_lo_u32 v9, v5, v9
	v_mul_hi_u32 v21, v5, v7
	v_mul_lo_u32 v7, v5, v7
	v_add_co_u32 v11, vcc_lo, v11, v13
	v_add_co_ci_u32_e32 v13, vcc_lo, 0, v16, vcc_lo
	s_delay_alu instid0(VALU_DEP_2) | instskip(NEXT) | instid1(VALU_DEP_2)
	v_add_co_u32 v9, vcc_lo, v11, v9
	v_add_co_ci_u32_e32 v9, vcc_lo, v13, v17, vcc_lo
	v_add_co_ci_u32_e32 v11, vcc_lo, 0, v21, vcc_lo
	v_ashrrev_i32_e32 v17, 31, v15
	s_delay_alu instid0(VALU_DEP_3) | instskip(NEXT) | instid1(VALU_DEP_3)
	v_add_co_u32 v7, vcc_lo, v9, v7
	v_add_co_ci_u32_e32 v9, vcc_lo, 0, v11, vcc_lo
	s_delay_alu instid0(VALU_DEP_2) | instskip(NEXT) | instid1(VALU_DEP_2)
	v_add_co_u32 v3, vcc_lo, v3, v7
	v_add_co_ci_u32_e32 v5, vcc_lo, v5, v9, vcc_lo
	s_delay_alu instid0(VALU_DEP_2) | instskip(SKIP_1) | instid1(VALU_DEP_3)
	v_mul_hi_u32 v7, s0, v3
	v_mul_lo_u32 v11, s53, v3
	v_mul_lo_u32 v9, s0, v5
	s_delay_alu instid0(VALU_DEP_1) | instskip(SKIP_1) | instid1(VALU_DEP_2)
	v_add_nc_u32_e32 v7, v7, v9
	v_mul_lo_u32 v9, s0, v3
	v_add_nc_u32_e32 v7, v7, v11
	s_delay_alu instid0(VALU_DEP_2) | instskip(NEXT) | instid1(VALU_DEP_2)
	v_mul_hi_u32 v11, v3, v9
	v_mul_lo_u32 v13, v3, v7
	v_mul_hi_u32 v16, v3, v7
	v_mul_hi_u32 v21, v5, v9
	v_mul_lo_u32 v9, v5, v9
	v_mul_hi_u32 v22, v5, v7
	v_mul_lo_u32 v7, v5, v7
	v_add_co_u32 v11, vcc_lo, v11, v13
	v_add_co_ci_u32_e32 v13, vcc_lo, 0, v16, vcc_lo
	s_delay_alu instid0(VALU_DEP_2) | instskip(NEXT) | instid1(VALU_DEP_2)
	v_add_co_u32 v9, vcc_lo, v11, v9
	v_add_co_ci_u32_e32 v9, vcc_lo, v13, v21, vcc_lo
	v_add_co_ci_u32_e32 v11, vcc_lo, 0, v22, vcc_lo
	v_add_co_u32 v13, vcc_lo, v14, v17
	v_add_co_ci_u32_e32 v15, vcc_lo, v15, v17, vcc_lo
	s_delay_alu instid0(VALU_DEP_4) | instskip(NEXT) | instid1(VALU_DEP_4)
	v_add_co_u32 v7, vcc_lo, v9, v7
	v_add_co_ci_u32_e32 v9, vcc_lo, 0, v11, vcc_lo
	s_delay_alu instid0(VALU_DEP_4) | instskip(NEXT) | instid1(VALU_DEP_3)
	v_xor_b32_e32 v11, v13, v17
	v_add_co_u32 v3, vcc_lo, v3, v7
	s_delay_alu instid0(VALU_DEP_3) | instskip(SKIP_1) | instid1(VALU_DEP_3)
	v_add_co_ci_u32_e32 v5, vcc_lo, v5, v9, vcc_lo
	v_xor_b32_e32 v7, v15, v17
	v_mul_hi_u32 v9, v11, v3
	s_delay_alu instid0(VALU_DEP_3) | instskip(NEXT) | instid1(VALU_DEP_3)
	v_mad_u64_u32 v[15:16], null, v11, v5, 0
	v_mad_u64_u32 v[21:22], null, v7, v3, 0
	;; [unrolled: 1-line block ×3, first 2 shown]
	s_delay_alu instid0(VALU_DEP_3) | instskip(NEXT) | instid1(VALU_DEP_4)
	v_add_co_u32 v3, vcc_lo, v9, v15
	v_add_co_ci_u32_e32 v5, vcc_lo, 0, v16, vcc_lo
	s_delay_alu instid0(VALU_DEP_2) | instskip(NEXT) | instid1(VALU_DEP_2)
	v_add_co_u32 v3, vcc_lo, v3, v21
	v_add_co_ci_u32_e32 v3, vcc_lo, v5, v22, vcc_lo
	v_add_co_ci_u32_e32 v5, vcc_lo, 0, v24, vcc_lo
	s_delay_alu instid0(VALU_DEP_2) | instskip(NEXT) | instid1(VALU_DEP_2)
	v_add_co_u32 v3, vcc_lo, v3, v23
	v_add_co_ci_u32_e32 v5, vcc_lo, 0, v5, vcc_lo
	s_delay_alu instid0(VALU_DEP_2) | instskip(SKIP_1) | instid1(VALU_DEP_3)
	v_mul_lo_u32 v9, s29, v3
	v_mad_u64_u32 v[15:16], null, s28, v3, 0
	v_mul_lo_u32 v13, s28, v5
	s_delay_alu instid0(VALU_DEP_2) | instskip(NEXT) | instid1(VALU_DEP_2)
	v_sub_co_u32 v11, vcc_lo, v11, v15
	v_add3_u32 v9, v16, v13, v9
	s_delay_alu instid0(VALU_DEP_1) | instskip(NEXT) | instid1(VALU_DEP_1)
	v_sub_nc_u32_e32 v13, v7, v9
	v_subrev_co_ci_u32_e64 v13, s0, s29, v13, vcc_lo
	v_add_co_u32 v15, s0, v3, 2
	s_delay_alu instid0(VALU_DEP_1) | instskip(SKIP_3) | instid1(VALU_DEP_3)
	v_add_co_ci_u32_e64 v16, s0, 0, v5, s0
	v_sub_co_u32 v21, s0, v11, s28
	v_sub_co_ci_u32_e32 v7, vcc_lo, v7, v9, vcc_lo
	v_subrev_co_ci_u32_e64 v13, s0, 0, v13, s0
	v_cmp_le_u32_e32 vcc_lo, s28, v21
	s_delay_alu instid0(VALU_DEP_3) | instskip(SKIP_1) | instid1(VALU_DEP_4)
	v_cmp_eq_u32_e64 s0, s29, v7
	v_cndmask_b32_e64 v9, 0, -1, vcc_lo
	v_cmp_le_u32_e32 vcc_lo, s29, v13
	v_cndmask_b32_e64 v21, 0, -1, vcc_lo
	v_cmp_le_u32_e32 vcc_lo, s28, v11
	;; [unrolled: 2-line block ×3, first 2 shown]
	v_cndmask_b32_e64 v22, 0, -1, vcc_lo
	v_cmp_eq_u32_e32 vcc_lo, s29, v13
	s_delay_alu instid0(VALU_DEP_2) | instskip(SKIP_3) | instid1(VALU_DEP_3)
	v_cndmask_b32_e64 v7, v22, v11, s0
	v_cndmask_b32_e32 v9, v21, v9, vcc_lo
	v_add_co_u32 v13, vcc_lo, v3, 1
	v_add_co_ci_u32_e32 v21, vcc_lo, 0, v5, vcc_lo
	v_cmp_ne_u32_e32 vcc_lo, 0, v9
	s_delay_alu instid0(VALU_DEP_2) | instskip(NEXT) | instid1(VALU_DEP_4)
	v_cndmask_b32_e32 v9, v21, v16, vcc_lo
	v_cndmask_b32_e32 v11, v13, v15, vcc_lo
	v_cmp_ne_u32_e32 vcc_lo, 0, v7
	v_xor_b32_e32 v7, s26, v17
	s_delay_alu instid0(VALU_DEP_3) | instskip(SKIP_2) | instid1(VALU_DEP_3)
	v_cndmask_b32_e32 v3, v3, v11, vcc_lo
	v_cndmask_b32_e32 v5, v5, v9, vcc_lo
	v_xor_b32_e32 v9, s27, v17
	v_xor_b32_e32 v3, v3, v7
	s_delay_alu instid0(VALU_DEP_2) | instskip(NEXT) | instid1(VALU_DEP_2)
	v_xor_b32_e32 v5, v5, v9
	v_sub_co_u32 v16, vcc_lo, v3, v7
	s_delay_alu instid0(VALU_DEP_2)
	v_sub_co_ci_u32_e32 v17, vcc_lo, v5, v9, vcc_lo
.LBB37_36:                              ;   in Loop: Header=BB37_22 Depth=2
	s_and_not1_saveexec_b32 s0, s52
	s_cbranch_execz .LBB37_38
; %bb.37:                               ;   in Loop: Header=BB37_22 Depth=2
	v_cvt_f32_u32_e32 v3, s51
	s_sub_i32 s26, 0, s51
	v_mov_b32_e32 v17, v2
	s_delay_alu instid0(VALU_DEP_2) | instskip(SKIP_2) | instid1(VALU_DEP_1)
	v_rcp_iflag_f32_e32 v3, v3
	s_waitcnt_depctr 0xfff
	v_mul_f32_e32 v3, 0x4f7ffffe, v3
	v_cvt_u32_f32_e32 v3, v3
	s_delay_alu instid0(VALU_DEP_1) | instskip(NEXT) | instid1(VALU_DEP_1)
	v_mul_lo_u32 v5, s26, v3
	v_mul_hi_u32 v5, v3, v5
	s_delay_alu instid0(VALU_DEP_1) | instskip(NEXT) | instid1(VALU_DEP_1)
	v_add_nc_u32_e32 v3, v3, v5
	v_mul_hi_u32 v3, v14, v3
	s_delay_alu instid0(VALU_DEP_1) | instskip(SKIP_1) | instid1(VALU_DEP_2)
	v_mul_lo_u32 v5, v3, s51
	v_add_nc_u32_e32 v7, 1, v3
	v_sub_nc_u32_e32 v5, v14, v5
	s_delay_alu instid0(VALU_DEP_1) | instskip(SKIP_1) | instid1(VALU_DEP_4)
	v_cmp_le_u32_e32 vcc_lo, s51, v5
	v_subrev_nc_u32_e32 v9, s51, v5
	v_cndmask_b32_e32 v3, v3, v7, vcc_lo
	s_delay_alu instid0(VALU_DEP_1) | instskip(NEXT) | instid1(VALU_DEP_3)
	v_add_nc_u32_e32 v7, 1, v3
	v_cndmask_b32_e32 v5, v5, v9, vcc_lo
	s_delay_alu instid0(VALU_DEP_1) | instskip(NEXT) | instid1(VALU_DEP_3)
	v_cmp_le_u32_e32 vcc_lo, s51, v5
	v_cndmask_b32_e32 v16, v3, v7, vcc_lo
.LBB37_38:                              ;   in Loop: Header=BB37_22 Depth=2
	s_or_b32 exec_lo, exec_lo, s0
	s_add_u32 s24, s36, s24
	s_addc_u32 s25, s37, s25
	v_mul_lo_u32 v3, v10, s13
	s_clause 0x1
	s_load_b32 s0, s[22:23], 0x6c
	s_load_b32 s13, s[24:25], 0x0
	v_mul_lo_u32 v5, v12, s45
	v_mul_lo_u32 v7, v14, s48
	;; [unrolled: 1-line block ×3, first 2 shown]
	s_add_i32 s16, s16, -4
	s_delay_alu instid0(SALU_CYCLE_1) | instskip(SKIP_1) | instid1(VALU_DEP_4)
	s_cmp_eq_u32 s16, -1
	v_sub_nc_u32_e32 v3, v8, v3
	v_sub_nc_u32_e32 v5, v10, v5
	s_delay_alu instid0(VALU_DEP_4) | instskip(NEXT) | instid1(VALU_DEP_4)
	v_sub_nc_u32_e32 v7, v12, v7
	v_sub_nc_u32_e32 v8, v14, v9
	s_delay_alu instid0(VALU_DEP_4)
	v_mul_lo_u32 v9, s43, v3
	v_mul_lo_u32 v3, s44, v3
	;; [unrolled: 1-line block ×6, first 2 shown]
	s_waitcnt lgkmcnt(0)
	v_mul_lo_u32 v12, s0, v8
	v_mul_lo_u32 v8, s13, v8
	v_add3_u32 v6, v9, v6, v10
	v_add3_u32 v3, v3, v4, v5
	s_delay_alu instid0(VALU_DEP_2) | instskip(NEXT) | instid1(VALU_DEP_2)
	v_add3_u32 v6, v11, v6, v12
	v_add3_u32 v4, v7, v3, v8
	s_cbranch_scc1 .LBB37_40
; %bb.39:                               ;   in Loop: Header=BB37_22 Depth=2
	v_dual_mov_b32 v8, v16 :: v_dual_mov_b32 v9, v17
	s_branch .LBB37_22
.LBB37_40:                              ;   in Loop: Header=BB37_3 Depth=1
	v_sub_nc_u32_e32 v8, v19, v20
	v_dual_mov_b32 v7, 0 :: v_dual_mov_b32 v10, 0
	v_mov_b32_e32 v3, 0
	v_mov_b32_e32 v11, 0
	s_delay_alu instid0(VALU_DEP_4) | instskip(SKIP_1) | instid1(VALU_DEP_1)
	v_ashrrev_i32_e32 v9, 31, v8
	s_mov_b32 s13, exec_lo
	v_cmpx_ge_i64_e64 s[4:5], v[8:9]
	s_cbranch_execz .LBB37_46
; %bb.41:                               ;   in Loop: Header=BB37_3 Depth=1
	v_dual_mov_b32 v5, 0 :: v_dual_mov_b32 v10, 0
	v_mov_b32_e32 v3, 0
	v_mov_b32_e32 v7, 0
	s_mov_b32 s0, exec_lo
	v_cmpx_gt_i32_e64 s9, v19
	s_cbranch_execz .LBB37_45
; %bb.42:                               ;   in Loop: Header=BB37_3 Depth=1
	v_ashrrev_i32_e32 v7, 31, v6
	v_mov_b32_e32 v10, 0
	s_delay_alu instid0(VALU_DEP_2) | instskip(SKIP_1) | instid1(VALU_DEP_2)
	v_lshlrev_b64 v[5:6], 2, v[6:7]
	v_add_nc_u32_e32 v7, 1, v19
	v_add_co_u32 v5, vcc_lo, s2, v5
	s_delay_alu instid0(VALU_DEP_3) | instskip(NEXT) | instid1(VALU_DEP_3)
	v_add_co_ci_u32_e32 v6, vcc_lo, s3, v6, vcc_lo
	v_cmp_gt_i32_e32 vcc_lo, s9, v7
	v_mov_b32_e32 v7, 0
	global_load_b32 v3, v[5:6], off
	s_and_saveexec_b32 s16, vcc_lo
	s_delay_alu instid0(SALU_CYCLE_1)
	s_xor_b32 s16, exec_lo, s16
	s_cbranch_execz .LBB37_44
; %bb.43:                               ;   in Loop: Header=BB37_3 Depth=1
	s_lshl_b64 s[22:23], s[18:19], 2
	s_delay_alu instid0(SALU_CYCLE_1)
	v_add_co_u32 v5, vcc_lo, v5, s22
	v_add_co_ci_u32_e32 v6, vcc_lo, s23, v6, vcc_lo
	global_load_b32 v7, v[5:6], off
	s_waitcnt vmcnt(0)
	v_and_b32_e32 v10, 0xffff0000, v7
.LBB37_44:                              ;   in Loop: Header=BB37_3 Depth=1
	s_or_b32 exec_lo, exec_lo, s16
	s_waitcnt vmcnt(0)
	v_lshrrev_b32_e32 v5, 16, v3
.LBB37_45:                              ;   in Loop: Header=BB37_3 Depth=1
	s_or_b32 exec_lo, exec_lo, s0
	v_add_nc_u32_e32 v11, 1, v8
	v_cmp_lt_i64_e32 vcc_lo, s[4:5], v[8:9]
	s_delay_alu instid0(VALU_DEP_2) | instskip(SKIP_1) | instid1(VALU_DEP_2)
	v_ashrrev_i32_e32 v12, 31, v11
	v_cndmask_b32_e64 v3, v3, 0, vcc_lo
	v_cmp_lt_i64_e64 s0, s[4:5], v[11:12]
	v_cndmask_b32_e64 v11, v5, 0, vcc_lo
	s_delay_alu instid0(VALU_DEP_2)
	v_cndmask_b32_e64 v7, v7, 0, s0
	v_cndmask_b32_e64 v10, v10, 0, s0
.LBB37_46:                              ;   in Loop: Header=BB37_3 Depth=1
	s_or_b32 exec_lo, exec_lo, s13
	s_delay_alu instid0(SALU_CYCLE_1)
	s_mov_b32 s0, exec_lo
	v_cmpx_gt_i32_e64 s9, v19
	s_cbranch_execz .LBB37_2
; %bb.47:                               ;   in Loop: Header=BB37_3 Depth=1
	v_ashrrev_i32_e32 v5, 31, v4
	v_and_b32_e32 v6, 0xffff, v3
	v_add_nc_u32_e32 v8, 1, v19
	s_mov_b32 s13, exec_lo
	s_delay_alu instid0(VALU_DEP_3) | instskip(NEXT) | instid1(VALU_DEP_1)
	v_lshlrev_b64 v[4:5], 2, v[4:5]
	v_add_co_u32 v3, vcc_lo, s14, v4
	s_delay_alu instid0(VALU_DEP_2)
	v_add_co_ci_u32_e32 v4, vcc_lo, s15, v5, vcc_lo
	v_lshl_or_b32 v5, v11, 16, v6
	global_store_b32 v[3:4], v5, off
	v_cmpx_gt_i32_e64 s9, v8
	s_xor_b32 s13, exec_lo, s13
	s_cbranch_execz .LBB37_2
; %bb.48:                               ;   in Loop: Header=BB37_3 Depth=1
	s_lshl_b64 s[22:23], s[20:21], 2
	v_bfi_b32 v5, 0xffff0000, v10, v7
	v_add_co_u32 v3, vcc_lo, v3, s22
	v_add_co_ci_u32_e32 v4, vcc_lo, s23, v4, vcc_lo
	global_store_b32 v[3:4], v5, off
	s_branch .LBB37_2
.LBB37_49:
	s_nop 0
	s_sendmsg sendmsg(MSG_DEALLOC_VGPRS)
	s_endpgm
	.section	.rodata,"a",@progbits
	.p2align	6, 0x0
	.amdhsa_kernel _ZN2at6native16triu_tril_kernelIN3c107complexINS2_4HalfEEEiLb0ELi2ELb0EEEvNS_4cuda6detail10TensorInfoIT_T0_EENS8_IKS9_SA_EEllSA_
		.amdhsa_group_segment_fixed_size 0
		.amdhsa_private_segment_fixed_size 0
		.amdhsa_kernarg_size 712
		.amdhsa_user_sgpr_count 15
		.amdhsa_user_sgpr_dispatch_ptr 0
		.amdhsa_user_sgpr_queue_ptr 0
		.amdhsa_user_sgpr_kernarg_segment_ptr 1
		.amdhsa_user_sgpr_dispatch_id 0
		.amdhsa_user_sgpr_private_segment_size 0
		.amdhsa_wavefront_size32 1
		.amdhsa_uses_dynamic_stack 0
		.amdhsa_enable_private_segment 0
		.amdhsa_system_sgpr_workgroup_id_x 1
		.amdhsa_system_sgpr_workgroup_id_y 0
		.amdhsa_system_sgpr_workgroup_id_z 0
		.amdhsa_system_sgpr_workgroup_info 0
		.amdhsa_system_vgpr_workitem_id 0
		.amdhsa_next_free_vgpr 25
		.amdhsa_next_free_sgpr 54
		.amdhsa_reserve_vcc 1
		.amdhsa_float_round_mode_32 0
		.amdhsa_float_round_mode_16_64 0
		.amdhsa_float_denorm_mode_32 3
		.amdhsa_float_denorm_mode_16_64 3
		.amdhsa_dx10_clamp 1
		.amdhsa_ieee_mode 1
		.amdhsa_fp16_overflow 0
		.amdhsa_workgroup_processor_mode 1
		.amdhsa_memory_ordered 1
		.amdhsa_forward_progress 0
		.amdhsa_shared_vgpr_count 0
		.amdhsa_exception_fp_ieee_invalid_op 0
		.amdhsa_exception_fp_denorm_src 0
		.amdhsa_exception_fp_ieee_div_zero 0
		.amdhsa_exception_fp_ieee_overflow 0
		.amdhsa_exception_fp_ieee_underflow 0
		.amdhsa_exception_fp_ieee_inexact 0
		.amdhsa_exception_int_div_zero 0
	.end_amdhsa_kernel
	.section	.text._ZN2at6native16triu_tril_kernelIN3c107complexINS2_4HalfEEEiLb0ELi2ELb0EEEvNS_4cuda6detail10TensorInfoIT_T0_EENS8_IKS9_SA_EEllSA_,"axG",@progbits,_ZN2at6native16triu_tril_kernelIN3c107complexINS2_4HalfEEEiLb0ELi2ELb0EEEvNS_4cuda6detail10TensorInfoIT_T0_EENS8_IKS9_SA_EEllSA_,comdat
.Lfunc_end37:
	.size	_ZN2at6native16triu_tril_kernelIN3c107complexINS2_4HalfEEEiLb0ELi2ELb0EEEvNS_4cuda6detail10TensorInfoIT_T0_EENS8_IKS9_SA_EEllSA_, .Lfunc_end37-_ZN2at6native16triu_tril_kernelIN3c107complexINS2_4HalfEEEiLb0ELi2ELb0EEEvNS_4cuda6detail10TensorInfoIT_T0_EENS8_IKS9_SA_EEllSA_
                                        ; -- End function
	.section	.AMDGPU.csdata,"",@progbits
; Kernel info:
; codeLenInByte = 8428
; NumSgprs: 56
; NumVgprs: 25
; ScratchSize: 0
; MemoryBound: 0
; FloatMode: 240
; IeeeMode: 1
; LDSByteSize: 0 bytes/workgroup (compile time only)
; SGPRBlocks: 6
; VGPRBlocks: 3
; NumSGPRsForWavesPerEU: 56
; NumVGPRsForWavesPerEU: 25
; Occupancy: 16
; WaveLimiterHint : 0
; COMPUTE_PGM_RSRC2:SCRATCH_EN: 0
; COMPUTE_PGM_RSRC2:USER_SGPR: 15
; COMPUTE_PGM_RSRC2:TRAP_HANDLER: 0
; COMPUTE_PGM_RSRC2:TGID_X_EN: 1
; COMPUTE_PGM_RSRC2:TGID_Y_EN: 0
; COMPUTE_PGM_RSRC2:TGID_Z_EN: 0
; COMPUTE_PGM_RSRC2:TIDIG_COMP_CNT: 0
	.section	.text._ZN2at6native16triu_tril_kernelIN3c107complexINS2_4HalfEEElLb0ELi2ELb1EEEvNS_4cuda6detail10TensorInfoIT_T0_EENS8_IKS9_SA_EEllSA_,"axG",@progbits,_ZN2at6native16triu_tril_kernelIN3c107complexINS2_4HalfEEElLb0ELi2ELb1EEEvNS_4cuda6detail10TensorInfoIT_T0_EENS8_IKS9_SA_EEllSA_,comdat
	.protected	_ZN2at6native16triu_tril_kernelIN3c107complexINS2_4HalfEEElLb0ELi2ELb1EEEvNS_4cuda6detail10TensorInfoIT_T0_EENS8_IKS9_SA_EEllSA_ ; -- Begin function _ZN2at6native16triu_tril_kernelIN3c107complexINS2_4HalfEEElLb0ELi2ELb1EEEvNS_4cuda6detail10TensorInfoIT_T0_EENS8_IKS9_SA_EEllSA_
	.globl	_ZN2at6native16triu_tril_kernelIN3c107complexINS2_4HalfEEElLb0ELi2ELb1EEEvNS_4cuda6detail10TensorInfoIT_T0_EENS8_IKS9_SA_EEllSA_
	.p2align	8
	.type	_ZN2at6native16triu_tril_kernelIN3c107complexINS2_4HalfEEElLb0ELi2ELb1EEEvNS_4cuda6detail10TensorInfoIT_T0_EENS8_IKS9_SA_EEllSA_,@function
_ZN2at6native16triu_tril_kernelIN3c107complexINS2_4HalfEEElLb0ELi2ELb1EEEvNS_4cuda6detail10TensorInfoIT_T0_EENS8_IKS9_SA_EEllSA_: ; @_ZN2at6native16triu_tril_kernelIN3c107complexINS2_4HalfEEElLb0ELi2ELb1EEEvNS_4cuda6detail10TensorInfoIT_T0_EENS8_IKS9_SA_EEllSA_
; %bb.0:
	s_clause 0x1
	s_load_b32 s2, s[0:1], 0x364
	s_load_b128 s[4:7], s[0:1], 0x340
	v_mov_b32_e32 v2, 0
	s_add_u32 s8, s0, 0x358
	s_addc_u32 s9, s1, 0
	s_delay_alu instid0(VALU_DEP_1) | instskip(SKIP_3) | instid1(VALU_DEP_1)
	v_mov_b32_e32 v1, v2
	s_waitcnt lgkmcnt(0)
	s_and_b32 s10, s2, 0xffff
	s_mov_b32 s2, exec_lo
	v_mad_u64_u32 v[3:4], null, s10, s15, v[0:1]
	s_delay_alu instid0(VALU_DEP_1) | instskip(NEXT) | instid1(VALU_DEP_1)
	v_lshlrev_b64 v[0:1], 1, v[3:4]
	v_cmpx_gt_i64_e64 s[6:7], v[0:1]
	s_cbranch_execz .LBB38_23
; %bb.1:
	s_clause 0x1
	s_load_b32 s24, s[0:1], 0x338
	s_load_b64 s[2:3], s[0:1], 0x350
	s_load_b32 s11, s[8:9], 0x0
	s_load_b64 s[8:9], s[0:1], 0x0
	s_mov_b32 s44, 0
	s_waitcnt lgkmcnt(0)
	s_ashr_i32 s25, s24, 31
	s_add_u32 s26, s0, 0x1a8
	s_addc_u32 s27, s1, 0
	s_lshl_b64 s[12:13], s[24:25], 3
	v_cvt_f32_u32_e32 v3, s2
	s_add_u32 s14, s12, -16
	s_addc_u32 s15, s13, -1
	s_add_u32 s22, s26, s14
	s_addc_u32 s23, s27, s15
	v_rcp_iflag_f32_e32 v3, v3
	s_add_u32 s17, s12, -8
	s_addc_u32 s18, s13, -1
	s_add_u32 s0, s0, 0xd0
	s_addc_u32 s28, s1, 0
	s_mul_i32 s16, s11, s10
	s_add_u32 s10, s0, s17
	s_addc_u32 s11, s28, s18
	s_add_u32 s12, s0, s14
	s_addc_u32 s13, s28, s15
	s_add_i32 s20, s24, -3
	s_waitcnt_depctr 0xfff
	v_mul_f32_e32 v3, 0x4f7ffffe, v3
	s_ashr_i32 s21, s20, 31
	s_add_u32 s14, s26, s17
	s_addc_u32 s15, s27, s18
	s_lshl_b64 s[18:19], s[20:21], 3
	s_lshl_b32 s1, s16, 1
	s_add_u32 s16, s0, s18
	s_addc_u32 s17, s28, s19
	v_cvt_u32_f32_e32 v3, v3
	s_add_u32 s18, s26, s18
	s_addc_u32 s19, s27, s19
	s_add_u32 s20, s20, 1
	s_addc_u32 s21, s21, 0
	s_sub_i32 s0, 0, s2
	s_load_b64 s[22:23], s[22:23], 0x0
	v_mul_lo_u32 v4, s0, v3
	v_cmp_gt_i64_e64 s33, s[24:25], 2
	s_ashr_i32 s24, s3, 31
	s_delay_alu instid0(VALU_DEP_2) | instskip(NEXT) | instid1(VALU_DEP_1)
	v_mul_hi_u32 v4, v3, v4
	v_add_nc_u32_e32 v16, v3, v4
	s_waitcnt lgkmcnt(0)
	s_ashr_i32 s26, s23, 31
	s_branch .LBB38_3
.LBB38_2:                               ;   in Loop: Header=BB38_3 Depth=1
	s_or_b32 exec_lo, exec_lo, s25
	v_add_co_u32 v0, vcc_lo, v0, s1
	v_add_co_ci_u32_e32 v1, vcc_lo, 0, v1, vcc_lo
	s_delay_alu instid0(VALU_DEP_1) | instskip(SKIP_1) | instid1(SALU_CYCLE_1)
	v_cmp_le_i64_e32 vcc_lo, s[6:7], v[0:1]
	s_or_b32 s44, vcc_lo, s44
	s_and_not1_b32 exec_lo, exec_lo, s44
	s_cbranch_execz .LBB38_23
.LBB38_3:                               ; =>This Loop Header: Depth=1
                                        ;     Child Loop BB38_19 Depth 2
	v_or_b32_e32 v3, s3, v1
                                        ; implicit-def: $vgpr6_vgpr7
	s_mov_b32 s0, exec_lo
	s_delay_alu instid0(VALU_DEP_1)
	v_cmpx_ne_u64_e32 0, v[2:3]
	s_xor_b32 s27, exec_lo, s0
	s_cbranch_execz .LBB38_5
; %bb.4:                                ;   in Loop: Header=BB38_3 Depth=1
	s_add_u32 s28, s2, s24
	s_mov_b32 s25, s24
	s_addc_u32 s29, s3, s24
	s_delay_alu instid0(SALU_CYCLE_1) | instskip(NEXT) | instid1(SALU_CYCLE_1)
	s_xor_b64 s[28:29], s[28:29], s[24:25]
	v_cvt_f32_u32_e32 v3, s28
	v_cvt_f32_u32_e32 v4, s29
	s_sub_u32 s0, 0, s28
	s_subb_u32 s25, 0, s29
	s_delay_alu instid0(VALU_DEP_1) | instskip(NEXT) | instid1(VALU_DEP_1)
	v_fmac_f32_e32 v3, 0x4f800000, v4
	v_rcp_f32_e32 v3, v3
	s_waitcnt_depctr 0xfff
	v_mul_f32_e32 v3, 0x5f7ffffc, v3
	s_delay_alu instid0(VALU_DEP_1) | instskip(NEXT) | instid1(VALU_DEP_1)
	v_mul_f32_e32 v4, 0x2f800000, v3
	v_trunc_f32_e32 v4, v4
	s_delay_alu instid0(VALU_DEP_1) | instskip(SKIP_1) | instid1(VALU_DEP_2)
	v_fmac_f32_e32 v3, 0xcf800000, v4
	v_cvt_u32_f32_e32 v4, v4
	v_cvt_u32_f32_e32 v3, v3
	s_delay_alu instid0(VALU_DEP_2) | instskip(NEXT) | instid1(VALU_DEP_2)
	v_mul_lo_u32 v5, s0, v4
	v_mul_hi_u32 v6, s0, v3
	v_mul_lo_u32 v7, s25, v3
	s_delay_alu instid0(VALU_DEP_2) | instskip(SKIP_1) | instid1(VALU_DEP_2)
	v_add_nc_u32_e32 v5, v6, v5
	v_mul_lo_u32 v6, s0, v3
	v_add_nc_u32_e32 v5, v5, v7
	s_delay_alu instid0(VALU_DEP_2) | instskip(NEXT) | instid1(VALU_DEP_2)
	v_mul_hi_u32 v7, v3, v6
	v_mul_lo_u32 v8, v3, v5
	v_mul_hi_u32 v9, v3, v5
	v_mul_hi_u32 v10, v4, v6
	v_mul_lo_u32 v6, v4, v6
	v_mul_hi_u32 v11, v4, v5
	v_mul_lo_u32 v5, v4, v5
	v_add_co_u32 v7, vcc_lo, v7, v8
	v_add_co_ci_u32_e32 v8, vcc_lo, 0, v9, vcc_lo
	s_delay_alu instid0(VALU_DEP_2) | instskip(NEXT) | instid1(VALU_DEP_2)
	v_add_co_u32 v6, vcc_lo, v7, v6
	v_add_co_ci_u32_e32 v6, vcc_lo, v8, v10, vcc_lo
	v_add_co_ci_u32_e32 v7, vcc_lo, 0, v11, vcc_lo
	v_ashrrev_i32_e32 v10, 31, v1
	s_delay_alu instid0(VALU_DEP_3) | instskip(NEXT) | instid1(VALU_DEP_3)
	v_add_co_u32 v5, vcc_lo, v6, v5
	v_add_co_ci_u32_e32 v6, vcc_lo, 0, v7, vcc_lo
	s_delay_alu instid0(VALU_DEP_2) | instskip(NEXT) | instid1(VALU_DEP_2)
	v_add_co_u32 v3, vcc_lo, v3, v5
	v_add_co_ci_u32_e32 v4, vcc_lo, v4, v6, vcc_lo
	s_delay_alu instid0(VALU_DEP_2) | instskip(SKIP_1) | instid1(VALU_DEP_3)
	v_mul_hi_u32 v5, s0, v3
	v_mul_lo_u32 v7, s25, v3
	v_mul_lo_u32 v6, s0, v4
	s_delay_alu instid0(VALU_DEP_1) | instskip(SKIP_1) | instid1(VALU_DEP_2)
	v_add_nc_u32_e32 v5, v5, v6
	v_mul_lo_u32 v6, s0, v3
	v_add_nc_u32_e32 v5, v5, v7
	s_delay_alu instid0(VALU_DEP_2) | instskip(NEXT) | instid1(VALU_DEP_2)
	v_mul_hi_u32 v7, v3, v6
	v_mul_lo_u32 v8, v3, v5
	v_mul_hi_u32 v9, v3, v5
	v_mul_hi_u32 v11, v4, v6
	v_mul_lo_u32 v6, v4, v6
	v_mul_hi_u32 v12, v4, v5
	v_mul_lo_u32 v5, v4, v5
	v_add_co_u32 v7, vcc_lo, v7, v8
	v_add_co_ci_u32_e32 v8, vcc_lo, 0, v9, vcc_lo
	s_delay_alu instid0(VALU_DEP_2) | instskip(NEXT) | instid1(VALU_DEP_2)
	v_add_co_u32 v6, vcc_lo, v7, v6
	v_add_co_ci_u32_e32 v6, vcc_lo, v8, v11, vcc_lo
	v_add_co_ci_u32_e32 v7, vcc_lo, 0, v12, vcc_lo
	v_add_co_u32 v8, vcc_lo, v0, v10
	v_add_co_ci_u32_e32 v9, vcc_lo, v1, v10, vcc_lo
	s_delay_alu instid0(VALU_DEP_4) | instskip(NEXT) | instid1(VALU_DEP_4)
	v_add_co_u32 v5, vcc_lo, v6, v5
	v_add_co_ci_u32_e32 v6, vcc_lo, 0, v7, vcc_lo
	s_delay_alu instid0(VALU_DEP_4) | instskip(NEXT) | instid1(VALU_DEP_3)
	v_xor_b32_e32 v11, v8, v10
	v_add_co_u32 v7, vcc_lo, v3, v5
	s_delay_alu instid0(VALU_DEP_3) | instskip(SKIP_1) | instid1(VALU_DEP_3)
	v_add_co_ci_u32_e32 v12, vcc_lo, v4, v6, vcc_lo
	v_xor_b32_e32 v9, v9, v10
	v_mul_hi_u32 v13, v11, v7
	s_delay_alu instid0(VALU_DEP_3) | instskip(NEXT) | instid1(VALU_DEP_3)
	v_mad_u64_u32 v[3:4], null, v11, v12, 0
	v_mad_u64_u32 v[5:6], null, v9, v7, 0
	v_mad_u64_u32 v[7:8], null, v9, v12, 0
	s_delay_alu instid0(VALU_DEP_3) | instskip(NEXT) | instid1(VALU_DEP_4)
	v_add_co_u32 v3, vcc_lo, v13, v3
	v_add_co_ci_u32_e32 v4, vcc_lo, 0, v4, vcc_lo
	s_delay_alu instid0(VALU_DEP_2) | instskip(NEXT) | instid1(VALU_DEP_2)
	v_add_co_u32 v3, vcc_lo, v3, v5
	v_add_co_ci_u32_e32 v3, vcc_lo, v4, v6, vcc_lo
	v_add_co_ci_u32_e32 v4, vcc_lo, 0, v8, vcc_lo
	s_delay_alu instid0(VALU_DEP_2) | instskip(NEXT) | instid1(VALU_DEP_2)
	v_add_co_u32 v5, vcc_lo, v3, v7
	v_add_co_ci_u32_e32 v6, vcc_lo, 0, v4, vcc_lo
	s_delay_alu instid0(VALU_DEP_2) | instskip(SKIP_1) | instid1(VALU_DEP_3)
	v_mul_lo_u32 v7, s29, v5
	v_mad_u64_u32 v[3:4], null, s28, v5, 0
	v_mul_lo_u32 v8, s28, v6
	s_delay_alu instid0(VALU_DEP_2) | instskip(NEXT) | instid1(VALU_DEP_2)
	v_sub_co_u32 v3, vcc_lo, v11, v3
	v_add3_u32 v4, v4, v8, v7
	s_delay_alu instid0(VALU_DEP_1) | instskip(NEXT) | instid1(VALU_DEP_1)
	v_sub_nc_u32_e32 v7, v9, v4
	v_subrev_co_ci_u32_e64 v7, s0, s29, v7, vcc_lo
	v_add_co_u32 v8, s0, v5, 2
	s_delay_alu instid0(VALU_DEP_1) | instskip(SKIP_3) | instid1(VALU_DEP_3)
	v_add_co_ci_u32_e64 v11, s0, 0, v6, s0
	v_sub_co_u32 v12, s0, v3, s28
	v_sub_co_ci_u32_e32 v4, vcc_lo, v9, v4, vcc_lo
	v_subrev_co_ci_u32_e64 v7, s0, 0, v7, s0
	v_cmp_le_u32_e32 vcc_lo, s28, v12
	s_delay_alu instid0(VALU_DEP_3) | instskip(SKIP_1) | instid1(VALU_DEP_4)
	v_cmp_eq_u32_e64 s0, s29, v4
	v_cndmask_b32_e64 v9, 0, -1, vcc_lo
	v_cmp_le_u32_e32 vcc_lo, s29, v7
	v_cndmask_b32_e64 v12, 0, -1, vcc_lo
	v_cmp_le_u32_e32 vcc_lo, s28, v3
	;; [unrolled: 2-line block ×3, first 2 shown]
	v_cndmask_b32_e64 v13, 0, -1, vcc_lo
	v_cmp_eq_u32_e32 vcc_lo, s29, v7
	s_delay_alu instid0(VALU_DEP_2) | instskip(SKIP_3) | instid1(VALU_DEP_3)
	v_cndmask_b32_e64 v3, v13, v3, s0
	v_cndmask_b32_e32 v7, v12, v9, vcc_lo
	v_add_co_u32 v9, vcc_lo, v5, 1
	v_add_co_ci_u32_e32 v12, vcc_lo, 0, v6, vcc_lo
	v_cmp_ne_u32_e32 vcc_lo, 0, v7
	s_delay_alu instid0(VALU_DEP_2) | instskip(SKIP_2) | instid1(VALU_DEP_3)
	v_dual_cndmask_b32 v4, v12, v11 :: v_dual_cndmask_b32 v7, v9, v8
	v_cmp_ne_u32_e32 vcc_lo, 0, v3
	v_xor_b32_e32 v3, s24, v10
	v_dual_cndmask_b32 v5, v5, v7 :: v_dual_cndmask_b32 v4, v6, v4
	s_delay_alu instid0(VALU_DEP_1) | instskip(NEXT) | instid1(VALU_DEP_2)
	v_xor_b32_e32 v5, v5, v3
	v_xor_b32_e32 v4, v4, v3
	s_delay_alu instid0(VALU_DEP_2) | instskip(NEXT) | instid1(VALU_DEP_2)
	v_sub_co_u32 v6, vcc_lo, v5, v3
	v_sub_co_ci_u32_e32 v7, vcc_lo, v4, v3, vcc_lo
.LBB38_5:                               ;   in Loop: Header=BB38_3 Depth=1
	s_and_not1_saveexec_b32 s0, s27
; %bb.6:                                ;   in Loop: Header=BB38_3 Depth=1
	v_mul_hi_u32 v3, v0, v16
	v_mov_b32_e32 v7, v2
	s_delay_alu instid0(VALU_DEP_2) | instskip(NEXT) | instid1(VALU_DEP_1)
	v_mul_lo_u32 v4, v3, s2
	v_sub_nc_u32_e32 v4, v0, v4
	s_delay_alu instid0(VALU_DEP_1) | instskip(SKIP_1) | instid1(VALU_DEP_2)
	v_subrev_nc_u32_e32 v6, s2, v4
	v_cmp_le_u32_e32 vcc_lo, s2, v4
	v_dual_cndmask_b32 v4, v4, v6 :: v_dual_add_nc_u32 v5, 1, v3
	s_delay_alu instid0(VALU_DEP_1) | instskip(NEXT) | instid1(VALU_DEP_2)
	v_cndmask_b32_e32 v3, v3, v5, vcc_lo
	v_cmp_le_u32_e32 vcc_lo, s2, v4
	s_delay_alu instid0(VALU_DEP_2) | instskip(NEXT) | instid1(VALU_DEP_1)
	v_add_nc_u32_e32 v5, 1, v3
	v_cndmask_b32_e32 v6, v3, v5, vcc_lo
; %bb.7:                                ;   in Loop: Header=BB38_3 Depth=1
	s_or_b32 exec_lo, exec_lo, s0
	v_or_b32_e32 v3, s23, v7
                                        ; implicit-def: $vgpr8_vgpr9
	s_mov_b32 s0, exec_lo
	s_delay_alu instid0(VALU_DEP_1)
	v_cmpx_ne_u64_e32 0, v[2:3]
	s_xor_b32 s25, exec_lo, s0
	s_cbranch_execz .LBB38_9
; %bb.8:                                ;   in Loop: Header=BB38_3 Depth=1
	s_add_u32 s28, s22, s26
	s_mov_b32 s27, s26
	s_addc_u32 s29, s23, s26
	s_delay_alu instid0(SALU_CYCLE_1) | instskip(NEXT) | instid1(SALU_CYCLE_1)
	s_xor_b64 s[28:29], s[28:29], s[26:27]
	v_cvt_f32_u32_e32 v3, s28
	v_cvt_f32_u32_e32 v4, s29
	s_sub_u32 s0, 0, s28
	s_subb_u32 s27, 0, s29
	s_delay_alu instid0(VALU_DEP_1) | instskip(NEXT) | instid1(VALU_DEP_1)
	v_fmac_f32_e32 v3, 0x4f800000, v4
	v_rcp_f32_e32 v3, v3
	s_waitcnt_depctr 0xfff
	v_mul_f32_e32 v3, 0x5f7ffffc, v3
	s_delay_alu instid0(VALU_DEP_1) | instskip(NEXT) | instid1(VALU_DEP_1)
	v_mul_f32_e32 v4, 0x2f800000, v3
	v_trunc_f32_e32 v4, v4
	s_delay_alu instid0(VALU_DEP_1) | instskip(SKIP_1) | instid1(VALU_DEP_2)
	v_fmac_f32_e32 v3, 0xcf800000, v4
	v_cvt_u32_f32_e32 v4, v4
	v_cvt_u32_f32_e32 v3, v3
	s_delay_alu instid0(VALU_DEP_2) | instskip(NEXT) | instid1(VALU_DEP_2)
	v_mul_lo_u32 v5, s0, v4
	v_mul_hi_u32 v8, s0, v3
	v_mul_lo_u32 v9, s27, v3
	s_delay_alu instid0(VALU_DEP_2) | instskip(SKIP_1) | instid1(VALU_DEP_2)
	v_add_nc_u32_e32 v5, v8, v5
	v_mul_lo_u32 v8, s0, v3
	v_add_nc_u32_e32 v5, v5, v9
	s_delay_alu instid0(VALU_DEP_2) | instskip(NEXT) | instid1(VALU_DEP_2)
	v_mul_hi_u32 v9, v3, v8
	v_mul_lo_u32 v10, v3, v5
	v_mul_hi_u32 v11, v3, v5
	v_mul_hi_u32 v12, v4, v8
	v_mul_lo_u32 v8, v4, v8
	v_mul_hi_u32 v13, v4, v5
	v_mul_lo_u32 v5, v4, v5
	v_add_co_u32 v9, vcc_lo, v9, v10
	v_add_co_ci_u32_e32 v10, vcc_lo, 0, v11, vcc_lo
	s_delay_alu instid0(VALU_DEP_2) | instskip(NEXT) | instid1(VALU_DEP_2)
	v_add_co_u32 v8, vcc_lo, v9, v8
	v_add_co_ci_u32_e32 v8, vcc_lo, v10, v12, vcc_lo
	v_add_co_ci_u32_e32 v9, vcc_lo, 0, v13, vcc_lo
	v_ashrrev_i32_e32 v12, 31, v7
	s_delay_alu instid0(VALU_DEP_3) | instskip(NEXT) | instid1(VALU_DEP_3)
	v_add_co_u32 v5, vcc_lo, v8, v5
	v_add_co_ci_u32_e32 v8, vcc_lo, 0, v9, vcc_lo
	s_delay_alu instid0(VALU_DEP_2) | instskip(NEXT) | instid1(VALU_DEP_2)
	v_add_co_u32 v3, vcc_lo, v3, v5
	v_add_co_ci_u32_e32 v4, vcc_lo, v4, v8, vcc_lo
	s_delay_alu instid0(VALU_DEP_2) | instskip(SKIP_1) | instid1(VALU_DEP_3)
	v_mul_hi_u32 v5, s0, v3
	v_mul_lo_u32 v9, s27, v3
	v_mul_lo_u32 v8, s0, v4
	s_delay_alu instid0(VALU_DEP_1) | instskip(SKIP_1) | instid1(VALU_DEP_2)
	v_add_nc_u32_e32 v5, v5, v8
	v_mul_lo_u32 v8, s0, v3
	v_add_nc_u32_e32 v5, v5, v9
	s_delay_alu instid0(VALU_DEP_2) | instskip(NEXT) | instid1(VALU_DEP_2)
	v_mul_hi_u32 v9, v3, v8
	v_mul_lo_u32 v10, v3, v5
	v_mul_hi_u32 v11, v3, v5
	v_mul_hi_u32 v13, v4, v8
	v_mul_lo_u32 v8, v4, v8
	v_mul_hi_u32 v14, v4, v5
	v_mul_lo_u32 v5, v4, v5
	v_add_co_u32 v9, vcc_lo, v9, v10
	v_add_co_ci_u32_e32 v10, vcc_lo, 0, v11, vcc_lo
	s_delay_alu instid0(VALU_DEP_2) | instskip(NEXT) | instid1(VALU_DEP_2)
	v_add_co_u32 v8, vcc_lo, v9, v8
	v_add_co_ci_u32_e32 v8, vcc_lo, v10, v13, vcc_lo
	v_add_co_ci_u32_e32 v9, vcc_lo, 0, v14, vcc_lo
	v_add_co_u32 v10, vcc_lo, v6, v12
	v_add_co_ci_u32_e32 v11, vcc_lo, v7, v12, vcc_lo
	s_delay_alu instid0(VALU_DEP_4) | instskip(NEXT) | instid1(VALU_DEP_4)
	v_add_co_u32 v5, vcc_lo, v8, v5
	v_add_co_ci_u32_e32 v8, vcc_lo, 0, v9, vcc_lo
	s_delay_alu instid0(VALU_DEP_4) | instskip(NEXT) | instid1(VALU_DEP_3)
	v_xor_b32_e32 v13, v10, v12
	v_add_co_u32 v5, vcc_lo, v3, v5
	s_delay_alu instid0(VALU_DEP_3) | instskip(SKIP_1) | instid1(VALU_DEP_3)
	v_add_co_ci_u32_e32 v14, vcc_lo, v4, v8, vcc_lo
	v_xor_b32_e32 v15, v11, v12
	v_mul_hi_u32 v17, v13, v5
	s_delay_alu instid0(VALU_DEP_3) | instskip(NEXT) | instid1(VALU_DEP_3)
	v_mad_u64_u32 v[3:4], null, v13, v14, 0
	v_mad_u64_u32 v[8:9], null, v15, v5, 0
	;; [unrolled: 1-line block ×3, first 2 shown]
	s_delay_alu instid0(VALU_DEP_3) | instskip(NEXT) | instid1(VALU_DEP_4)
	v_add_co_u32 v3, vcc_lo, v17, v3
	v_add_co_ci_u32_e32 v4, vcc_lo, 0, v4, vcc_lo
	s_delay_alu instid0(VALU_DEP_2) | instskip(NEXT) | instid1(VALU_DEP_2)
	v_add_co_u32 v3, vcc_lo, v3, v8
	v_add_co_ci_u32_e32 v3, vcc_lo, v4, v9, vcc_lo
	v_add_co_ci_u32_e32 v4, vcc_lo, 0, v11, vcc_lo
	s_delay_alu instid0(VALU_DEP_2) | instskip(NEXT) | instid1(VALU_DEP_2)
	v_add_co_u32 v5, vcc_lo, v3, v10
	v_add_co_ci_u32_e32 v8, vcc_lo, 0, v4, vcc_lo
	s_delay_alu instid0(VALU_DEP_2) | instskip(SKIP_1) | instid1(VALU_DEP_3)
	v_mul_lo_u32 v9, s29, v5
	v_mad_u64_u32 v[3:4], null, s28, v5, 0
	v_mul_lo_u32 v10, s28, v8
	s_delay_alu instid0(VALU_DEP_2) | instskip(NEXT) | instid1(VALU_DEP_2)
	v_sub_co_u32 v3, vcc_lo, v13, v3
	v_add3_u32 v4, v4, v10, v9
	s_delay_alu instid0(VALU_DEP_1) | instskip(NEXT) | instid1(VALU_DEP_1)
	v_sub_nc_u32_e32 v9, v15, v4
	v_subrev_co_ci_u32_e64 v9, s0, s29, v9, vcc_lo
	v_add_co_u32 v10, s0, v5, 2
	s_delay_alu instid0(VALU_DEP_1) | instskip(SKIP_3) | instid1(VALU_DEP_3)
	v_add_co_ci_u32_e64 v11, s0, 0, v8, s0
	v_sub_co_u32 v13, s0, v3, s28
	v_sub_co_ci_u32_e32 v4, vcc_lo, v15, v4, vcc_lo
	v_subrev_co_ci_u32_e64 v9, s0, 0, v9, s0
	v_cmp_le_u32_e32 vcc_lo, s28, v13
	s_delay_alu instid0(VALU_DEP_3) | instskip(SKIP_1) | instid1(VALU_DEP_4)
	v_cmp_eq_u32_e64 s0, s29, v4
	v_cndmask_b32_e64 v13, 0, -1, vcc_lo
	v_cmp_le_u32_e32 vcc_lo, s29, v9
	v_cndmask_b32_e64 v14, 0, -1, vcc_lo
	v_cmp_le_u32_e32 vcc_lo, s28, v3
	;; [unrolled: 2-line block ×3, first 2 shown]
	v_cndmask_b32_e64 v15, 0, -1, vcc_lo
	v_cmp_eq_u32_e32 vcc_lo, s29, v9
	s_delay_alu instid0(VALU_DEP_2) | instskip(SKIP_3) | instid1(VALU_DEP_3)
	v_cndmask_b32_e64 v3, v15, v3, s0
	v_cndmask_b32_e32 v9, v14, v13, vcc_lo
	v_add_co_u32 v13, vcc_lo, v5, 1
	v_add_co_ci_u32_e32 v14, vcc_lo, 0, v8, vcc_lo
	v_cmp_ne_u32_e32 vcc_lo, 0, v9
	s_delay_alu instid0(VALU_DEP_2) | instskip(SKIP_2) | instid1(VALU_DEP_3)
	v_dual_cndmask_b32 v4, v14, v11 :: v_dual_cndmask_b32 v9, v13, v10
	v_cmp_ne_u32_e32 vcc_lo, 0, v3
	v_xor_b32_e32 v3, s26, v12
	v_dual_cndmask_b32 v5, v5, v9 :: v_dual_cndmask_b32 v4, v8, v4
	s_delay_alu instid0(VALU_DEP_1) | instskip(NEXT) | instid1(VALU_DEP_2)
	v_xor_b32_e32 v5, v5, v3
	v_xor_b32_e32 v4, v4, v3
	s_delay_alu instid0(VALU_DEP_2) | instskip(NEXT) | instid1(VALU_DEP_2)
	v_sub_co_u32 v8, vcc_lo, v5, v3
	v_sub_co_ci_u32_e32 v9, vcc_lo, v4, v3, vcc_lo
.LBB38_9:                               ;   in Loop: Header=BB38_3 Depth=1
	s_and_not1_saveexec_b32 s0, s25
	s_cbranch_execz .LBB38_11
; %bb.10:                               ;   in Loop: Header=BB38_3 Depth=1
	v_cvt_f32_u32_e32 v3, s22
	s_sub_i32 s25, 0, s22
	v_mov_b32_e32 v9, v2
	s_delay_alu instid0(VALU_DEP_2) | instskip(SKIP_2) | instid1(VALU_DEP_1)
	v_rcp_iflag_f32_e32 v3, v3
	s_waitcnt_depctr 0xfff
	v_mul_f32_e32 v3, 0x4f7ffffe, v3
	v_cvt_u32_f32_e32 v3, v3
	s_delay_alu instid0(VALU_DEP_1) | instskip(NEXT) | instid1(VALU_DEP_1)
	v_mul_lo_u32 v4, s25, v3
	v_mul_hi_u32 v4, v3, v4
	s_delay_alu instid0(VALU_DEP_1) | instskip(NEXT) | instid1(VALU_DEP_1)
	v_add_nc_u32_e32 v3, v3, v4
	v_mul_hi_u32 v3, v6, v3
	s_delay_alu instid0(VALU_DEP_1) | instskip(SKIP_1) | instid1(VALU_DEP_2)
	v_mul_lo_u32 v4, v3, s22
	v_add_nc_u32_e32 v5, 1, v3
	v_sub_nc_u32_e32 v4, v6, v4
	s_delay_alu instid0(VALU_DEP_1) | instskip(SKIP_1) | instid1(VALU_DEP_2)
	v_subrev_nc_u32_e32 v8, s22, v4
	v_cmp_le_u32_e32 vcc_lo, s22, v4
	v_dual_cndmask_b32 v4, v4, v8 :: v_dual_cndmask_b32 v3, v3, v5
	s_delay_alu instid0(VALU_DEP_1) | instskip(NEXT) | instid1(VALU_DEP_2)
	v_cmp_le_u32_e32 vcc_lo, s22, v4
	v_add_nc_u32_e32 v5, 1, v3
	s_delay_alu instid0(VALU_DEP_1)
	v_cndmask_b32_e32 v8, v3, v5, vcc_lo
.LBB38_11:                              ;   in Loop: Header=BB38_3 Depth=1
	s_or_b32 exec_lo, exec_lo, s0
	v_mul_lo_u32 v5, v7, s2
	v_mul_lo_u32 v12, v6, s3
	v_mad_u64_u32 v[3:4], null, v6, s2, 0
	v_mul_lo_u32 v13, v9, s22
	v_mul_lo_u32 v14, v8, s23
	v_mad_u64_u32 v[10:11], null, v8, s22, 0
	s_mov_b32 s25, exec_lo
	s_delay_alu instid0(VALU_DEP_4) | instskip(SKIP_1) | instid1(VALU_DEP_3)
	v_add3_u32 v5, v4, v12, v5
	v_sub_co_u32 v4, vcc_lo, v0, v3
	v_add3_u32 v11, v11, v14, v13
	s_delay_alu instid0(VALU_DEP_3) | instskip(SKIP_1) | instid1(VALU_DEP_3)
	v_sub_co_ci_u32_e32 v5, vcc_lo, v1, v5, vcc_lo
	v_sub_co_u32 v17, vcc_lo, v6, v10
	v_sub_co_ci_u32_e32 v18, vcc_lo, v7, v11, vcc_lo
	s_delay_alu instid0(VALU_DEP_2) | instskip(NEXT) | instid1(VALU_DEP_2)
	v_sub_co_u32 v6, vcc_lo, v4, v17
	v_sub_co_ci_u32_e32 v7, vcc_lo, v5, v18, vcc_lo
	s_delay_alu instid0(VALU_DEP_2) | instskip(NEXT) | instid1(VALU_DEP_2)
	v_add_co_u32 v10, vcc_lo, v6, 2
	v_add_co_ci_u32_e32 v11, vcc_lo, 0, v7, vcc_lo
	s_delay_alu instid0(VALU_DEP_1)
	v_cmpx_lt_i64_e64 s[4:5], v[10:11]
	s_cbranch_execz .LBB38_2
; %bb.12:                               ;   in Loop: Header=BB38_3 Depth=1
	s_clause 0x1
	s_load_b64 s[28:29], s[10:11], 0x0
	s_load_b64 s[30:31], s[12:13], 0x0
	s_and_b32 vcc_lo, exec_lo, s33
	s_mov_b64 s[34:35], s[18:19]
	s_mov_b64 s[36:37], s[16:17]
	s_waitcnt lgkmcnt(0)
	v_mul_lo_u32 v3, s29, v4
	v_mul_lo_u32 v12, s28, v5
	v_mad_u64_u32 v[10:11], null, s28, v4, 0
	s_delay_alu instid0(VALU_DEP_1) | instskip(SKIP_1) | instid1(VALU_DEP_2)
	v_add3_u32 v11, v11, v12, v3
	v_mul_lo_u32 v3, s30, v18
	v_mad_u64_u32 v[14:15], null, s30, v17, v[10:11]
	v_mul_lo_u32 v10, s31, v17
	s_mov_b64 s[30:31], s[20:21]
	s_delay_alu instid0(VALU_DEP_1) | instskip(NEXT) | instid1(VALU_DEP_1)
	v_add3_u32 v15, v10, v15, v3
	v_dual_mov_b32 v10, v14 :: v_dual_mov_b32 v11, v15
	s_cbranch_vccnz .LBB38_19
.LBB38_13:                              ;   in Loop: Header=BB38_3 Depth=1
	s_load_b64 s[30:31], s[14:15], 0x0
	s_waitcnt lgkmcnt(0)
	v_cmp_gt_i64_e32 vcc_lo, s[30:31], v[4:5]
	s_and_b32 exec_lo, exec_lo, vcc_lo
	s_cbranch_execz .LBB38_2
; %bb.14:                               ;   in Loop: Header=BB38_3 Depth=1
	v_lshlrev_b64 v[8:9], 2, v[14:15]
	v_cmp_lt_i64_e32 vcc_lo, s[4:5], v[6:7]
	s_delay_alu instid0(VALU_DEP_2) | instskip(NEXT) | instid1(VALU_DEP_1)
	v_add_co_u32 v6, s0, s8, v8
	v_add_co_ci_u32_e64 v7, s0, s9, v9, s0
	s_and_saveexec_b32 s0, vcc_lo
	s_cbranch_execz .LBB38_16
; %bb.15:                               ;   in Loop: Header=BB38_3 Depth=1
	global_store_b32 v[6:7], v2, off
.LBB38_16:                              ;   in Loop: Header=BB38_3 Depth=1
	s_or_b32 exec_lo, exec_lo, s0
	v_add_co_u32 v3, vcc_lo, v4, 1
	v_add_co_ci_u32_e32 v4, vcc_lo, 0, v5, vcc_lo
	s_delay_alu instid0(VALU_DEP_2) | instskip(NEXT) | instid1(VALU_DEP_2)
	v_sub_co_u32 v8, vcc_lo, v3, v17
	v_sub_co_ci_u32_e32 v9, vcc_lo, v4, v18, vcc_lo
	v_cmp_gt_i64_e32 vcc_lo, s[30:31], v[3:4]
	s_delay_alu instid0(VALU_DEP_2) | instskip(NEXT) | instid1(VALU_DEP_1)
	v_cmp_lt_i64_e64 s0, s[4:5], v[8:9]
	s_and_b32 s0, vcc_lo, s0
	s_delay_alu instid0(SALU_CYCLE_1)
	s_and_b32 exec_lo, exec_lo, s0
	s_cbranch_execz .LBB38_2
; %bb.17:                               ;   in Loop: Header=BB38_3 Depth=1
	s_lshl_b64 s[28:29], s[28:29], 2
	s_delay_alu instid0(SALU_CYCLE_1)
	v_add_co_u32 v3, vcc_lo, v6, s28
	v_add_co_ci_u32_e32 v4, vcc_lo, s29, v7, vcc_lo
	global_store_b32 v[3:4], v2, off
	s_branch .LBB38_2
.LBB38_18:                              ;   in Loop: Header=BB38_19 Depth=2
	s_or_b32 exec_lo, exec_lo, s0
	s_load_b64 s[40:41], s[36:37], 0x0
	s_delay_alu instid0(VALU_DEP_1)
	v_mul_lo_u32 v3, v13, s38
	v_mul_lo_u32 v19, v12, s39
	v_mad_u64_u32 v[14:15], null, v12, s38, 0
	s_add_u32 s36, s36, -8
	s_addc_u32 s37, s37, -1
	s_add_u32 s34, s34, -8
	s_addc_u32 s35, s35, -1
	;; [unrolled: 2-line block ×3, first 2 shown]
	s_delay_alu instid0(VALU_DEP_1) | instskip(SKIP_2) | instid1(VALU_DEP_3)
	v_add3_u32 v3, v15, v19, v3
	v_sub_co_u32 v8, vcc_lo, v8, v14
	v_cmp_lt_i64_e64 s0, s[30:31], 1
	v_sub_co_ci_u32_e32 v3, vcc_lo, v9, v3, vcc_lo
	s_delay_alu instid0(VALU_DEP_2) | instskip(SKIP_1) | instid1(VALU_DEP_1)
	s_and_b32 vcc_lo, exec_lo, s0
	s_waitcnt lgkmcnt(0)
	v_mul_lo_u32 v3, s40, v3
	v_mul_lo_u32 v9, s41, v8
	v_mad_u64_u32 v[14:15], null, s40, v8, v[10:11]
	s_delay_alu instid0(VALU_DEP_1) | instskip(NEXT) | instid1(VALU_DEP_2)
	v_add3_u32 v15, v9, v15, v3
	v_mov_b32_e32 v10, v14
	v_dual_mov_b32 v8, v12 :: v_dual_mov_b32 v9, v13
	s_delay_alu instid0(VALU_DEP_3)
	v_mov_b32_e32 v11, v15
	s_cbranch_vccnz .LBB38_13
.LBB38_19:                              ;   Parent Loop BB38_3 Depth=1
                                        ; =>  This Inner Loop Header: Depth=2
	s_load_b64 s[38:39], s[34:35], 0x0
                                        ; implicit-def: $vgpr12_vgpr13
	s_mov_b32 s0, exec_lo
	s_waitcnt lgkmcnt(0)
	v_or_b32_e32 v3, s39, v9
	s_delay_alu instid0(VALU_DEP_1)
	v_cmpx_ne_u64_e32 0, v[2:3]
	s_xor_b32 s27, exec_lo, s0
	s_cbranch_execz .LBB38_21
; %bb.20:                               ;   in Loop: Header=BB38_19 Depth=2
	s_ashr_i32 s40, s39, 31
	s_delay_alu instid0(SALU_CYCLE_1) | instskip(SKIP_2) | instid1(SALU_CYCLE_1)
	s_add_u32 s42, s38, s40
	s_mov_b32 s41, s40
	s_addc_u32 s43, s39, s40
	s_xor_b64 s[42:43], s[42:43], s[40:41]
	s_delay_alu instid0(SALU_CYCLE_1) | instskip(SKIP_3) | instid1(VALU_DEP_1)
	v_cvt_f32_u32_e32 v3, s42
	v_cvt_f32_u32_e32 v12, s43
	s_sub_u32 s0, 0, s42
	s_subb_u32 s41, 0, s43
	v_fmac_f32_e32 v3, 0x4f800000, v12
	s_delay_alu instid0(VALU_DEP_1) | instskip(SKIP_2) | instid1(VALU_DEP_1)
	v_rcp_f32_e32 v3, v3
	s_waitcnt_depctr 0xfff
	v_mul_f32_e32 v3, 0x5f7ffffc, v3
	v_mul_f32_e32 v12, 0x2f800000, v3
	s_delay_alu instid0(VALU_DEP_1) | instskip(NEXT) | instid1(VALU_DEP_1)
	v_trunc_f32_e32 v12, v12
	v_fmac_f32_e32 v3, 0xcf800000, v12
	v_cvt_u32_f32_e32 v12, v12
	s_delay_alu instid0(VALU_DEP_2) | instskip(NEXT) | instid1(VALU_DEP_2)
	v_cvt_u32_f32_e32 v3, v3
	v_mul_lo_u32 v13, s0, v12
	s_delay_alu instid0(VALU_DEP_2) | instskip(SKIP_1) | instid1(VALU_DEP_2)
	v_mul_hi_u32 v14, s0, v3
	v_mul_lo_u32 v15, s41, v3
	v_add_nc_u32_e32 v13, v14, v13
	v_mul_lo_u32 v14, s0, v3
	s_delay_alu instid0(VALU_DEP_2) | instskip(NEXT) | instid1(VALU_DEP_2)
	v_add_nc_u32_e32 v13, v13, v15
	v_mul_hi_u32 v15, v3, v14
	s_delay_alu instid0(VALU_DEP_2)
	v_mul_lo_u32 v19, v3, v13
	v_mul_hi_u32 v20, v3, v13
	v_mul_hi_u32 v21, v12, v14
	v_mul_lo_u32 v14, v12, v14
	v_mul_hi_u32 v22, v12, v13
	v_mul_lo_u32 v13, v12, v13
	v_add_co_u32 v15, vcc_lo, v15, v19
	v_add_co_ci_u32_e32 v19, vcc_lo, 0, v20, vcc_lo
	s_delay_alu instid0(VALU_DEP_2) | instskip(NEXT) | instid1(VALU_DEP_2)
	v_add_co_u32 v14, vcc_lo, v15, v14
	v_add_co_ci_u32_e32 v14, vcc_lo, v19, v21, vcc_lo
	v_add_co_ci_u32_e32 v15, vcc_lo, 0, v22, vcc_lo
	v_ashrrev_i32_e32 v21, 31, v9
	s_delay_alu instid0(VALU_DEP_3) | instskip(NEXT) | instid1(VALU_DEP_3)
	v_add_co_u32 v13, vcc_lo, v14, v13
	v_add_co_ci_u32_e32 v14, vcc_lo, 0, v15, vcc_lo
	s_delay_alu instid0(VALU_DEP_2) | instskip(NEXT) | instid1(VALU_DEP_2)
	v_add_co_u32 v3, vcc_lo, v3, v13
	v_add_co_ci_u32_e32 v12, vcc_lo, v12, v14, vcc_lo
	s_delay_alu instid0(VALU_DEP_2) | instskip(SKIP_1) | instid1(VALU_DEP_3)
	v_mul_hi_u32 v13, s0, v3
	v_mul_lo_u32 v15, s41, v3
	v_mul_lo_u32 v14, s0, v12
	s_delay_alu instid0(VALU_DEP_1) | instskip(SKIP_1) | instid1(VALU_DEP_2)
	v_add_nc_u32_e32 v13, v13, v14
	v_mul_lo_u32 v14, s0, v3
	v_add_nc_u32_e32 v13, v13, v15
	s_delay_alu instid0(VALU_DEP_2) | instskip(NEXT) | instid1(VALU_DEP_2)
	v_mul_hi_u32 v15, v3, v14
	v_mul_lo_u32 v19, v3, v13
	v_mul_hi_u32 v20, v3, v13
	v_mul_hi_u32 v22, v12, v14
	v_mul_lo_u32 v14, v12, v14
	v_mul_hi_u32 v23, v12, v13
	v_mul_lo_u32 v13, v12, v13
	v_add_co_u32 v15, vcc_lo, v15, v19
	v_add_co_ci_u32_e32 v19, vcc_lo, 0, v20, vcc_lo
	s_delay_alu instid0(VALU_DEP_2) | instskip(NEXT) | instid1(VALU_DEP_2)
	v_add_co_u32 v14, vcc_lo, v15, v14
	v_add_co_ci_u32_e32 v14, vcc_lo, v19, v22, vcc_lo
	v_add_co_ci_u32_e32 v15, vcc_lo, 0, v23, vcc_lo
	v_add_co_u32 v19, vcc_lo, v8, v21
	v_add_co_ci_u32_e32 v20, vcc_lo, v9, v21, vcc_lo
	s_delay_alu instid0(VALU_DEP_4) | instskip(NEXT) | instid1(VALU_DEP_4)
	v_add_co_u32 v13, vcc_lo, v14, v13
	v_add_co_ci_u32_e32 v14, vcc_lo, 0, v15, vcc_lo
	s_delay_alu instid0(VALU_DEP_4) | instskip(NEXT) | instid1(VALU_DEP_3)
	v_xor_b32_e32 v22, v19, v21
	v_add_co_u32 v3, vcc_lo, v3, v13
	s_delay_alu instid0(VALU_DEP_3) | instskip(SKIP_1) | instid1(VALU_DEP_3)
	v_add_co_ci_u32_e32 v23, vcc_lo, v12, v14, vcc_lo
	v_xor_b32_e32 v24, v20, v21
	v_mul_hi_u32 v25, v22, v3
	s_delay_alu instid0(VALU_DEP_3) | instskip(NEXT) | instid1(VALU_DEP_3)
	v_mad_u64_u32 v[12:13], null, v22, v23, 0
	v_mad_u64_u32 v[14:15], null, v24, v3, 0
	;; [unrolled: 1-line block ×3, first 2 shown]
	s_delay_alu instid0(VALU_DEP_3) | instskip(NEXT) | instid1(VALU_DEP_4)
	v_add_co_u32 v3, vcc_lo, v25, v12
	v_add_co_ci_u32_e32 v12, vcc_lo, 0, v13, vcc_lo
	s_delay_alu instid0(VALU_DEP_2) | instskip(NEXT) | instid1(VALU_DEP_2)
	v_add_co_u32 v3, vcc_lo, v3, v14
	v_add_co_ci_u32_e32 v3, vcc_lo, v12, v15, vcc_lo
	v_add_co_ci_u32_e32 v12, vcc_lo, 0, v20, vcc_lo
	s_delay_alu instid0(VALU_DEP_2) | instskip(NEXT) | instid1(VALU_DEP_2)
	v_add_co_u32 v3, vcc_lo, v3, v19
	v_add_co_ci_u32_e32 v14, vcc_lo, 0, v12, vcc_lo
	s_delay_alu instid0(VALU_DEP_2) | instskip(SKIP_1) | instid1(VALU_DEP_3)
	v_mul_lo_u32 v15, s43, v3
	v_mad_u64_u32 v[12:13], null, s42, v3, 0
	v_mul_lo_u32 v19, s42, v14
	s_delay_alu instid0(VALU_DEP_2) | instskip(NEXT) | instid1(VALU_DEP_2)
	v_sub_co_u32 v12, vcc_lo, v22, v12
	v_add3_u32 v13, v13, v19, v15
	s_delay_alu instid0(VALU_DEP_1) | instskip(NEXT) | instid1(VALU_DEP_1)
	v_sub_nc_u32_e32 v15, v24, v13
	v_subrev_co_ci_u32_e64 v15, s0, s43, v15, vcc_lo
	v_add_co_u32 v19, s0, v3, 2
	s_delay_alu instid0(VALU_DEP_1) | instskip(SKIP_3) | instid1(VALU_DEP_3)
	v_add_co_ci_u32_e64 v20, s0, 0, v14, s0
	v_sub_co_u32 v22, s0, v12, s42
	v_sub_co_ci_u32_e32 v13, vcc_lo, v24, v13, vcc_lo
	v_subrev_co_ci_u32_e64 v15, s0, 0, v15, s0
	v_cmp_le_u32_e32 vcc_lo, s42, v22
	s_delay_alu instid0(VALU_DEP_3) | instskip(SKIP_1) | instid1(VALU_DEP_4)
	v_cmp_eq_u32_e64 s0, s43, v13
	v_cndmask_b32_e64 v22, 0, -1, vcc_lo
	v_cmp_le_u32_e32 vcc_lo, s43, v15
	v_cndmask_b32_e64 v23, 0, -1, vcc_lo
	v_cmp_le_u32_e32 vcc_lo, s42, v12
	v_cndmask_b32_e64 v12, 0, -1, vcc_lo
	v_cmp_le_u32_e32 vcc_lo, s43, v13
	v_cndmask_b32_e64 v24, 0, -1, vcc_lo
	v_cmp_eq_u32_e32 vcc_lo, s43, v15
	s_delay_alu instid0(VALU_DEP_2) | instskip(SKIP_3) | instid1(VALU_DEP_3)
	v_cndmask_b32_e64 v12, v24, v12, s0
	v_cndmask_b32_e32 v15, v23, v22, vcc_lo
	v_add_co_u32 v22, vcc_lo, v3, 1
	v_add_co_ci_u32_e32 v23, vcc_lo, 0, v14, vcc_lo
	v_cmp_ne_u32_e32 vcc_lo, 0, v15
	s_delay_alu instid0(VALU_DEP_2) | instskip(NEXT) | instid1(VALU_DEP_4)
	v_cndmask_b32_e32 v13, v23, v20, vcc_lo
	v_cndmask_b32_e32 v15, v22, v19, vcc_lo
	v_cmp_ne_u32_e32 vcc_lo, 0, v12
	v_xor_b32_e32 v19, s40, v21
	s_delay_alu instid0(VALU_DEP_3) | instskip(NEXT) | instid1(VALU_DEP_1)
	v_dual_cndmask_b32 v3, v3, v15 :: v_dual_cndmask_b32 v12, v14, v13
	v_xor_b32_e32 v3, v3, v19
	s_delay_alu instid0(VALU_DEP_2) | instskip(NEXT) | instid1(VALU_DEP_2)
	v_xor_b32_e32 v13, v12, v19
	v_sub_co_u32 v12, vcc_lo, v3, v19
	s_delay_alu instid0(VALU_DEP_2)
	v_sub_co_ci_u32_e32 v13, vcc_lo, v13, v19, vcc_lo
.LBB38_21:                              ;   in Loop: Header=BB38_19 Depth=2
	s_and_not1_saveexec_b32 s0, s27
	s_cbranch_execz .LBB38_18
; %bb.22:                               ;   in Loop: Header=BB38_19 Depth=2
	v_cvt_f32_u32_e32 v3, s38
	s_sub_i32 s27, 0, s38
	s_delay_alu instid0(VALU_DEP_1) | instskip(SKIP_2) | instid1(VALU_DEP_1)
	v_rcp_iflag_f32_e32 v3, v3
	s_waitcnt_depctr 0xfff
	v_mul_f32_e32 v3, 0x4f7ffffe, v3
	v_cvt_u32_f32_e32 v3, v3
	s_delay_alu instid0(VALU_DEP_1) | instskip(NEXT) | instid1(VALU_DEP_1)
	v_mul_lo_u32 v12, s27, v3
	v_mul_hi_u32 v12, v3, v12
	s_delay_alu instid0(VALU_DEP_1) | instskip(NEXT) | instid1(VALU_DEP_1)
	v_add_nc_u32_e32 v3, v3, v12
	v_mul_hi_u32 v3, v8, v3
	s_delay_alu instid0(VALU_DEP_1) | instskip(SKIP_1) | instid1(VALU_DEP_2)
	v_mul_lo_u32 v12, v3, s38
	v_add_nc_u32_e32 v13, 1, v3
	v_sub_nc_u32_e32 v12, v8, v12
	s_delay_alu instid0(VALU_DEP_1) | instskip(SKIP_1) | instid1(VALU_DEP_2)
	v_subrev_nc_u32_e32 v14, s38, v12
	v_cmp_le_u32_e32 vcc_lo, s38, v12
	v_dual_cndmask_b32 v12, v12, v14 :: v_dual_cndmask_b32 v3, v3, v13
	s_delay_alu instid0(VALU_DEP_1) | instskip(NEXT) | instid1(VALU_DEP_2)
	v_cmp_le_u32_e32 vcc_lo, s38, v12
	v_add_nc_u32_e32 v13, 1, v3
	s_delay_alu instid0(VALU_DEP_1)
	v_dual_cndmask_b32 v12, v3, v13 :: v_dual_mov_b32 v13, v2
	s_branch .LBB38_18
.LBB38_23:
	s_nop 0
	s_sendmsg sendmsg(MSG_DEALLOC_VGPRS)
	s_endpgm
	.section	.rodata,"a",@progbits
	.p2align	6, 0x0
	.amdhsa_kernel _ZN2at6native16triu_tril_kernelIN3c107complexINS2_4HalfEEElLb0ELi2ELb1EEEvNS_4cuda6detail10TensorInfoIT_T0_EENS8_IKS9_SA_EEllSA_
		.amdhsa_group_segment_fixed_size 0
		.amdhsa_private_segment_fixed_size 0
		.amdhsa_kernarg_size 1112
		.amdhsa_user_sgpr_count 15
		.amdhsa_user_sgpr_dispatch_ptr 0
		.amdhsa_user_sgpr_queue_ptr 0
		.amdhsa_user_sgpr_kernarg_segment_ptr 1
		.amdhsa_user_sgpr_dispatch_id 0
		.amdhsa_user_sgpr_private_segment_size 0
		.amdhsa_wavefront_size32 1
		.amdhsa_uses_dynamic_stack 0
		.amdhsa_enable_private_segment 0
		.amdhsa_system_sgpr_workgroup_id_x 1
		.amdhsa_system_sgpr_workgroup_id_y 0
		.amdhsa_system_sgpr_workgroup_id_z 0
		.amdhsa_system_sgpr_workgroup_info 0
		.amdhsa_system_vgpr_workitem_id 0
		.amdhsa_next_free_vgpr 26
		.amdhsa_next_free_sgpr 45
		.amdhsa_reserve_vcc 1
		.amdhsa_float_round_mode_32 0
		.amdhsa_float_round_mode_16_64 0
		.amdhsa_float_denorm_mode_32 3
		.amdhsa_float_denorm_mode_16_64 3
		.amdhsa_dx10_clamp 1
		.amdhsa_ieee_mode 1
		.amdhsa_fp16_overflow 0
		.amdhsa_workgroup_processor_mode 1
		.amdhsa_memory_ordered 1
		.amdhsa_forward_progress 0
		.amdhsa_shared_vgpr_count 0
		.amdhsa_exception_fp_ieee_invalid_op 0
		.amdhsa_exception_fp_denorm_src 0
		.amdhsa_exception_fp_ieee_div_zero 0
		.amdhsa_exception_fp_ieee_overflow 0
		.amdhsa_exception_fp_ieee_underflow 0
		.amdhsa_exception_fp_ieee_inexact 0
		.amdhsa_exception_int_div_zero 0
	.end_amdhsa_kernel
	.section	.text._ZN2at6native16triu_tril_kernelIN3c107complexINS2_4HalfEEElLb0ELi2ELb1EEEvNS_4cuda6detail10TensorInfoIT_T0_EENS8_IKS9_SA_EEllSA_,"axG",@progbits,_ZN2at6native16triu_tril_kernelIN3c107complexINS2_4HalfEEElLb0ELi2ELb1EEEvNS_4cuda6detail10TensorInfoIT_T0_EENS8_IKS9_SA_EEllSA_,comdat
.Lfunc_end38:
	.size	_ZN2at6native16triu_tril_kernelIN3c107complexINS2_4HalfEEElLb0ELi2ELb1EEEvNS_4cuda6detail10TensorInfoIT_T0_EENS8_IKS9_SA_EEllSA_, .Lfunc_end38-_ZN2at6native16triu_tril_kernelIN3c107complexINS2_4HalfEEElLb0ELi2ELb1EEEvNS_4cuda6detail10TensorInfoIT_T0_EENS8_IKS9_SA_EEllSA_
                                        ; -- End function
	.section	.AMDGPU.csdata,"",@progbits
; Kernel info:
; codeLenInByte = 3912
; NumSgprs: 47
; NumVgprs: 26
; ScratchSize: 0
; MemoryBound: 0
; FloatMode: 240
; IeeeMode: 1
; LDSByteSize: 0 bytes/workgroup (compile time only)
; SGPRBlocks: 5
; VGPRBlocks: 3
; NumSGPRsForWavesPerEU: 47
; NumVGPRsForWavesPerEU: 26
; Occupancy: 16
; WaveLimiterHint : 0
; COMPUTE_PGM_RSRC2:SCRATCH_EN: 0
; COMPUTE_PGM_RSRC2:USER_SGPR: 15
; COMPUTE_PGM_RSRC2:TRAP_HANDLER: 0
; COMPUTE_PGM_RSRC2:TGID_X_EN: 1
; COMPUTE_PGM_RSRC2:TGID_Y_EN: 0
; COMPUTE_PGM_RSRC2:TGID_Z_EN: 0
; COMPUTE_PGM_RSRC2:TIDIG_COMP_CNT: 0
	.section	.text._ZN2at6native16triu_tril_kernelIN3c107complexINS2_4HalfEEElLb0ELi2ELb0EEEvNS_4cuda6detail10TensorInfoIT_T0_EENS8_IKS9_SA_EEllSA_,"axG",@progbits,_ZN2at6native16triu_tril_kernelIN3c107complexINS2_4HalfEEElLb0ELi2ELb0EEEvNS_4cuda6detail10TensorInfoIT_T0_EENS8_IKS9_SA_EEllSA_,comdat
	.protected	_ZN2at6native16triu_tril_kernelIN3c107complexINS2_4HalfEEElLb0ELi2ELb0EEEvNS_4cuda6detail10TensorInfoIT_T0_EENS8_IKS9_SA_EEllSA_ ; -- Begin function _ZN2at6native16triu_tril_kernelIN3c107complexINS2_4HalfEEElLb0ELi2ELb0EEEvNS_4cuda6detail10TensorInfoIT_T0_EENS8_IKS9_SA_EEllSA_
	.globl	_ZN2at6native16triu_tril_kernelIN3c107complexINS2_4HalfEEElLb0ELi2ELb0EEEvNS_4cuda6detail10TensorInfoIT_T0_EENS8_IKS9_SA_EEllSA_
	.p2align	8
	.type	_ZN2at6native16triu_tril_kernelIN3c107complexINS2_4HalfEEElLb0ELi2ELb0EEEvNS_4cuda6detail10TensorInfoIT_T0_EENS8_IKS9_SA_EEllSA_,@function
_ZN2at6native16triu_tril_kernelIN3c107complexINS2_4HalfEEElLb0ELi2ELb0EEEvNS_4cuda6detail10TensorInfoIT_T0_EENS8_IKS9_SA_EEllSA_: ; @_ZN2at6native16triu_tril_kernelIN3c107complexINS2_4HalfEEElLb0ELi2ELb0EEEvNS_4cuda6detail10TensorInfoIT_T0_EENS8_IKS9_SA_EEllSA_
; %bb.0:
	s_clause 0x1
	s_load_b32 s2, s[0:1], 0x364
	s_load_b128 s[4:7], s[0:1], 0x340
	v_mov_b32_e32 v2, 0
	s_add_u32 s8, s0, 0x358
	s_addc_u32 s9, s1, 0
	s_delay_alu instid0(VALU_DEP_1) | instskip(SKIP_3) | instid1(VALU_DEP_1)
	v_mov_b32_e32 v1, v2
	s_waitcnt lgkmcnt(0)
	s_and_b32 s24, s2, 0xffff
	s_mov_b32 s2, exec_lo
	v_mad_u64_u32 v[3:4], null, s24, s15, v[0:1]
	s_delay_alu instid0(VALU_DEP_1) | instskip(NEXT) | instid1(VALU_DEP_1)
	v_lshlrev_b64 v[0:1], 1, v[3:4]
	v_cmpx_gt_i64_e64 s[6:7], v[0:1]
	s_cbranch_execz .LBB39_26
; %bb.1:
	s_clause 0x1
	s_load_b32 s26, s[0:1], 0x338
	s_load_b64 s[2:3], s[0:1], 0x350
	s_add_u32 s10, s0, 0x1a0
	s_addc_u32 s11, s1, 0
	s_load_b32 s25, s[8:9], 0x0
	s_clause 0x1
	s_load_b64 s[20:21], s[0:1], 0x1a0
	s_load_b64 s[22:23], s[0:1], 0x0
	s_mov_b32 s46, 0
	s_waitcnt lgkmcnt(0)
	s_ashr_i32 s27, s26, 31
	s_add_u32 s30, s0, 0x1a8
	s_addc_u32 s31, s1, 0
	s_lshl_b64 s[8:9], s[26:27], 3
	v_cvt_f32_u32_e32 v3, s2
	s_add_u32 s14, s8, -16
	s_addc_u32 s15, s9, -1
	s_add_u32 s8, s30, s14
	s_addc_u32 s9, s31, s15
	s_add_u32 s12, s10, s14
	s_addc_u32 s13, s11, s15
	;; [unrolled: 2-line block ×4, first 2 shown]
	s_clause 0x2
	s_load_b128 s[8:11], s[8:9], 0x0
	s_load_b128 s[12:15], s[12:13], 0xd0
	;; [unrolled: 1-line block ×3, first 2 shown]
	v_rcp_iflag_f32_e32 v3, v3
	s_add_i32 s28, s26, -3
	s_mul_i32 s25, s25, s24
	s_ashr_i32 s29, s28, 31
	v_cmp_gt_i64_e64 s1, s[26:27], 2
	s_lshl_b64 s[26:27], s[28:29], 3
	s_lshl_b32 s33, s25, 1
	s_add_u32 s24, s34, s26
	s_addc_u32 s25, s35, s27
	s_add_u32 s26, s30, s26
	s_waitcnt_depctr 0xfff
	v_mul_f32_e32 v3, 0x4f7ffffe, v3
	s_addc_u32 s27, s31, s27
	s_add_u32 s28, s28, 1
	s_addc_u32 s29, s29, 0
	s_ashr_i32 s30, s3, 31
	v_cvt_u32_f32_e32 v18, v3
	s_branch .LBB39_3
.LBB39_2:                               ;   in Loop: Header=BB39_3 Depth=1
	s_or_b32 exec_lo, exec_lo, s0
	v_add_co_u32 v0, vcc_lo, v0, s33
	v_add_co_ci_u32_e32 v1, vcc_lo, 0, v1, vcc_lo
	s_delay_alu instid0(VALU_DEP_1) | instskip(SKIP_1) | instid1(SALU_CYCLE_1)
	v_cmp_le_i64_e32 vcc_lo, s[6:7], v[0:1]
	s_or_b32 s46, vcc_lo, s46
	s_and_not1_b32 exec_lo, exec_lo, s46
	s_cbranch_execz .LBB39_26
.LBB39_3:                               ; =>This Loop Header: Depth=1
                                        ;     Child Loop BB39_22 Depth 2
	v_or_b32_e32 v3, s3, v1
                                        ; implicit-def: $vgpr8_vgpr9
	s_mov_b32 s0, exec_lo
	s_delay_alu instid0(VALU_DEP_1)
	v_cmpx_ne_u64_e32 0, v[2:3]
	s_xor_b32 s36, exec_lo, s0
	s_cbranch_execz .LBB39_5
; %bb.4:                                ;   in Loop: Header=BB39_3 Depth=1
	s_add_u32 s34, s2, s30
	s_mov_b32 s31, s30
	s_addc_u32 s35, s3, s30
	s_delay_alu instid0(SALU_CYCLE_1) | instskip(NEXT) | instid1(SALU_CYCLE_1)
	s_xor_b64 s[34:35], s[34:35], s[30:31]
	v_cvt_f32_u32_e32 v3, s34
	v_cvt_f32_u32_e32 v4, s35
	s_sub_u32 s0, 0, s34
	s_subb_u32 s31, 0, s35
	s_delay_alu instid0(VALU_DEP_1) | instskip(NEXT) | instid1(VALU_DEP_1)
	v_fmac_f32_e32 v3, 0x4f800000, v4
	v_rcp_f32_e32 v3, v3
	s_waitcnt_depctr 0xfff
	v_mul_f32_e32 v3, 0x5f7ffffc, v3
	s_delay_alu instid0(VALU_DEP_1) | instskip(NEXT) | instid1(VALU_DEP_1)
	v_mul_f32_e32 v4, 0x2f800000, v3
	v_trunc_f32_e32 v4, v4
	s_delay_alu instid0(VALU_DEP_1) | instskip(SKIP_1) | instid1(VALU_DEP_2)
	v_fmac_f32_e32 v3, 0xcf800000, v4
	v_cvt_u32_f32_e32 v4, v4
	v_cvt_u32_f32_e32 v3, v3
	s_delay_alu instid0(VALU_DEP_2) | instskip(NEXT) | instid1(VALU_DEP_2)
	v_mul_lo_u32 v5, s0, v4
	v_mul_hi_u32 v6, s0, v3
	v_mul_lo_u32 v7, s31, v3
	s_delay_alu instid0(VALU_DEP_2) | instskip(SKIP_1) | instid1(VALU_DEP_2)
	v_add_nc_u32_e32 v5, v6, v5
	v_mul_lo_u32 v6, s0, v3
	v_add_nc_u32_e32 v5, v5, v7
	s_delay_alu instid0(VALU_DEP_2) | instskip(NEXT) | instid1(VALU_DEP_2)
	v_mul_hi_u32 v7, v3, v6
	v_mul_lo_u32 v8, v3, v5
	v_mul_hi_u32 v9, v3, v5
	v_mul_hi_u32 v10, v4, v6
	v_mul_lo_u32 v6, v4, v6
	v_mul_hi_u32 v11, v4, v5
	v_mul_lo_u32 v5, v4, v5
	v_add_co_u32 v7, vcc_lo, v7, v8
	v_add_co_ci_u32_e32 v8, vcc_lo, 0, v9, vcc_lo
	s_delay_alu instid0(VALU_DEP_2) | instskip(NEXT) | instid1(VALU_DEP_2)
	v_add_co_u32 v6, vcc_lo, v7, v6
	v_add_co_ci_u32_e32 v6, vcc_lo, v8, v10, vcc_lo
	v_add_co_ci_u32_e32 v7, vcc_lo, 0, v11, vcc_lo
	v_ashrrev_i32_e32 v10, 31, v1
	s_delay_alu instid0(VALU_DEP_3) | instskip(NEXT) | instid1(VALU_DEP_3)
	v_add_co_u32 v5, vcc_lo, v6, v5
	v_add_co_ci_u32_e32 v6, vcc_lo, 0, v7, vcc_lo
	s_delay_alu instid0(VALU_DEP_2) | instskip(NEXT) | instid1(VALU_DEP_2)
	v_add_co_u32 v3, vcc_lo, v3, v5
	v_add_co_ci_u32_e32 v4, vcc_lo, v4, v6, vcc_lo
	s_delay_alu instid0(VALU_DEP_2) | instskip(SKIP_1) | instid1(VALU_DEP_3)
	v_mul_hi_u32 v5, s0, v3
	v_mul_lo_u32 v7, s31, v3
	v_mul_lo_u32 v6, s0, v4
	s_delay_alu instid0(VALU_DEP_1) | instskip(SKIP_1) | instid1(VALU_DEP_2)
	v_add_nc_u32_e32 v5, v5, v6
	v_mul_lo_u32 v6, s0, v3
	v_add_nc_u32_e32 v5, v5, v7
	s_delay_alu instid0(VALU_DEP_2) | instskip(NEXT) | instid1(VALU_DEP_2)
	v_mul_hi_u32 v7, v3, v6
	v_mul_lo_u32 v8, v3, v5
	v_mul_hi_u32 v9, v3, v5
	v_mul_hi_u32 v11, v4, v6
	v_mul_lo_u32 v6, v4, v6
	v_mul_hi_u32 v12, v4, v5
	v_mul_lo_u32 v5, v4, v5
	v_add_co_u32 v7, vcc_lo, v7, v8
	v_add_co_ci_u32_e32 v8, vcc_lo, 0, v9, vcc_lo
	s_delay_alu instid0(VALU_DEP_2) | instskip(NEXT) | instid1(VALU_DEP_2)
	v_add_co_u32 v6, vcc_lo, v7, v6
	v_add_co_ci_u32_e32 v6, vcc_lo, v8, v11, vcc_lo
	v_add_co_ci_u32_e32 v7, vcc_lo, 0, v12, vcc_lo
	v_add_co_u32 v8, vcc_lo, v0, v10
	v_add_co_ci_u32_e32 v9, vcc_lo, v1, v10, vcc_lo
	s_delay_alu instid0(VALU_DEP_4) | instskip(NEXT) | instid1(VALU_DEP_4)
	v_add_co_u32 v5, vcc_lo, v6, v5
	v_add_co_ci_u32_e32 v6, vcc_lo, 0, v7, vcc_lo
	s_delay_alu instid0(VALU_DEP_4) | instskip(NEXT) | instid1(VALU_DEP_3)
	v_xor_b32_e32 v11, v8, v10
	v_add_co_u32 v7, vcc_lo, v3, v5
	s_delay_alu instid0(VALU_DEP_3) | instskip(SKIP_1) | instid1(VALU_DEP_3)
	v_add_co_ci_u32_e32 v12, vcc_lo, v4, v6, vcc_lo
	v_xor_b32_e32 v9, v9, v10
	v_mul_hi_u32 v13, v11, v7
	s_delay_alu instid0(VALU_DEP_3) | instskip(NEXT) | instid1(VALU_DEP_3)
	v_mad_u64_u32 v[3:4], null, v11, v12, 0
	v_mad_u64_u32 v[5:6], null, v9, v7, 0
	;; [unrolled: 1-line block ×3, first 2 shown]
	s_delay_alu instid0(VALU_DEP_3) | instskip(NEXT) | instid1(VALU_DEP_4)
	v_add_co_u32 v3, vcc_lo, v13, v3
	v_add_co_ci_u32_e32 v4, vcc_lo, 0, v4, vcc_lo
	s_delay_alu instid0(VALU_DEP_2) | instskip(NEXT) | instid1(VALU_DEP_2)
	v_add_co_u32 v3, vcc_lo, v3, v5
	v_add_co_ci_u32_e32 v3, vcc_lo, v4, v6, vcc_lo
	v_add_co_ci_u32_e32 v4, vcc_lo, 0, v8, vcc_lo
	s_delay_alu instid0(VALU_DEP_2) | instskip(NEXT) | instid1(VALU_DEP_2)
	v_add_co_u32 v5, vcc_lo, v3, v7
	v_add_co_ci_u32_e32 v6, vcc_lo, 0, v4, vcc_lo
	s_delay_alu instid0(VALU_DEP_2) | instskip(SKIP_1) | instid1(VALU_DEP_3)
	v_mul_lo_u32 v7, s35, v5
	v_mad_u64_u32 v[3:4], null, s34, v5, 0
	v_mul_lo_u32 v8, s34, v6
	s_delay_alu instid0(VALU_DEP_2) | instskip(NEXT) | instid1(VALU_DEP_2)
	v_sub_co_u32 v3, vcc_lo, v11, v3
	v_add3_u32 v4, v4, v8, v7
	s_delay_alu instid0(VALU_DEP_1) | instskip(NEXT) | instid1(VALU_DEP_1)
	v_sub_nc_u32_e32 v7, v9, v4
	v_subrev_co_ci_u32_e64 v7, s0, s35, v7, vcc_lo
	v_add_co_u32 v8, s0, v5, 2
	s_delay_alu instid0(VALU_DEP_1) | instskip(SKIP_3) | instid1(VALU_DEP_3)
	v_add_co_ci_u32_e64 v11, s0, 0, v6, s0
	v_sub_co_u32 v12, s0, v3, s34
	v_sub_co_ci_u32_e32 v4, vcc_lo, v9, v4, vcc_lo
	v_subrev_co_ci_u32_e64 v7, s0, 0, v7, s0
	v_cmp_le_u32_e32 vcc_lo, s34, v12
	s_delay_alu instid0(VALU_DEP_3) | instskip(SKIP_1) | instid1(VALU_DEP_4)
	v_cmp_eq_u32_e64 s0, s35, v4
	v_cndmask_b32_e64 v9, 0, -1, vcc_lo
	v_cmp_le_u32_e32 vcc_lo, s35, v7
	v_cndmask_b32_e64 v12, 0, -1, vcc_lo
	v_cmp_le_u32_e32 vcc_lo, s34, v3
	;; [unrolled: 2-line block ×3, first 2 shown]
	v_cndmask_b32_e64 v13, 0, -1, vcc_lo
	v_cmp_eq_u32_e32 vcc_lo, s35, v7
	s_delay_alu instid0(VALU_DEP_2) | instskip(SKIP_3) | instid1(VALU_DEP_3)
	v_cndmask_b32_e64 v3, v13, v3, s0
	v_cndmask_b32_e32 v7, v12, v9, vcc_lo
	v_add_co_u32 v9, vcc_lo, v5, 1
	v_add_co_ci_u32_e32 v12, vcc_lo, 0, v6, vcc_lo
	v_cmp_ne_u32_e32 vcc_lo, 0, v7
	s_delay_alu instid0(VALU_DEP_2) | instskip(SKIP_2) | instid1(VALU_DEP_3)
	v_dual_cndmask_b32 v4, v12, v11 :: v_dual_cndmask_b32 v7, v9, v8
	v_cmp_ne_u32_e32 vcc_lo, 0, v3
	v_xor_b32_e32 v3, s30, v10
	v_dual_cndmask_b32 v5, v5, v7 :: v_dual_cndmask_b32 v4, v6, v4
	s_delay_alu instid0(VALU_DEP_1) | instskip(NEXT) | instid1(VALU_DEP_2)
	v_xor_b32_e32 v5, v5, v3
	v_xor_b32_e32 v4, v4, v3
	s_delay_alu instid0(VALU_DEP_2) | instskip(NEXT) | instid1(VALU_DEP_2)
	v_sub_co_u32 v8, vcc_lo, v5, v3
	v_sub_co_ci_u32_e32 v9, vcc_lo, v4, v3, vcc_lo
.LBB39_5:                               ;   in Loop: Header=BB39_3 Depth=1
	s_and_not1_saveexec_b32 s0, s36
	s_cbranch_execz .LBB39_7
; %bb.6:                                ;   in Loop: Header=BB39_3 Depth=1
	s_sub_i32 s31, 0, s2
	v_mov_b32_e32 v9, v2
	v_mul_lo_u32 v3, s31, v18
	s_delay_alu instid0(VALU_DEP_1) | instskip(NEXT) | instid1(VALU_DEP_1)
	v_mul_hi_u32 v3, v18, v3
	v_add_nc_u32_e32 v3, v18, v3
	s_delay_alu instid0(VALU_DEP_1) | instskip(NEXT) | instid1(VALU_DEP_1)
	v_mul_hi_u32 v3, v0, v3
	v_mul_lo_u32 v4, v3, s2
	v_add_nc_u32_e32 v5, 1, v3
	s_delay_alu instid0(VALU_DEP_2) | instskip(NEXT) | instid1(VALU_DEP_1)
	v_sub_nc_u32_e32 v4, v0, v4
	v_subrev_nc_u32_e32 v6, s2, v4
	v_cmp_le_u32_e32 vcc_lo, s2, v4
	s_delay_alu instid0(VALU_DEP_2) | instskip(NEXT) | instid1(VALU_DEP_1)
	v_dual_cndmask_b32 v4, v4, v6 :: v_dual_cndmask_b32 v3, v3, v5
	v_cmp_le_u32_e32 vcc_lo, s2, v4
	s_delay_alu instid0(VALU_DEP_2) | instskip(NEXT) | instid1(VALU_DEP_1)
	v_add_nc_u32_e32 v5, 1, v3
	v_cndmask_b32_e32 v8, v3, v5, vcc_lo
.LBB39_7:                               ;   in Loop: Header=BB39_3 Depth=1
	s_or_b32 exec_lo, exec_lo, s0
	s_waitcnt lgkmcnt(0)
	v_or_b32_e32 v3, s9, v9
                                        ; implicit-def: $vgpr6_vgpr7
	s_mov_b32 s0, exec_lo
	s_delay_alu instid0(VALU_DEP_1)
	v_cmpx_ne_u64_e32 0, v[2:3]
	s_xor_b32 s31, exec_lo, s0
	s_cbranch_execz .LBB39_9
; %bb.8:                                ;   in Loop: Header=BB39_3 Depth=1
	s_ashr_i32 s34, s9, 31
	s_delay_alu instid0(SALU_CYCLE_1) | instskip(SKIP_2) | instid1(SALU_CYCLE_1)
	s_add_u32 s36, s8, s34
	s_mov_b32 s35, s34
	s_addc_u32 s37, s9, s34
	s_xor_b64 s[36:37], s[36:37], s[34:35]
	s_delay_alu instid0(SALU_CYCLE_1) | instskip(SKIP_3) | instid1(VALU_DEP_1)
	v_cvt_f32_u32_e32 v3, s36
	v_cvt_f32_u32_e32 v4, s37
	s_sub_u32 s0, 0, s36
	s_subb_u32 s35, 0, s37
	v_fmac_f32_e32 v3, 0x4f800000, v4
	s_delay_alu instid0(VALU_DEP_1) | instskip(SKIP_2) | instid1(VALU_DEP_1)
	v_rcp_f32_e32 v3, v3
	s_waitcnt_depctr 0xfff
	v_mul_f32_e32 v3, 0x5f7ffffc, v3
	v_mul_f32_e32 v4, 0x2f800000, v3
	s_delay_alu instid0(VALU_DEP_1) | instskip(NEXT) | instid1(VALU_DEP_1)
	v_trunc_f32_e32 v4, v4
	v_fmac_f32_e32 v3, 0xcf800000, v4
	v_cvt_u32_f32_e32 v4, v4
	s_delay_alu instid0(VALU_DEP_2) | instskip(NEXT) | instid1(VALU_DEP_2)
	v_cvt_u32_f32_e32 v3, v3
	v_mul_lo_u32 v5, s0, v4
	s_delay_alu instid0(VALU_DEP_2) | instskip(SKIP_1) | instid1(VALU_DEP_2)
	v_mul_hi_u32 v6, s0, v3
	v_mul_lo_u32 v7, s35, v3
	v_add_nc_u32_e32 v5, v6, v5
	v_mul_lo_u32 v6, s0, v3
	s_delay_alu instid0(VALU_DEP_2) | instskip(NEXT) | instid1(VALU_DEP_2)
	v_add_nc_u32_e32 v5, v5, v7
	v_mul_hi_u32 v7, v3, v6
	s_delay_alu instid0(VALU_DEP_2)
	v_mul_lo_u32 v10, v3, v5
	v_mul_hi_u32 v11, v3, v5
	v_mul_hi_u32 v12, v4, v6
	v_mul_lo_u32 v6, v4, v6
	v_mul_hi_u32 v13, v4, v5
	v_mul_lo_u32 v5, v4, v5
	v_add_co_u32 v7, vcc_lo, v7, v10
	v_add_co_ci_u32_e32 v10, vcc_lo, 0, v11, vcc_lo
	s_delay_alu instid0(VALU_DEP_2) | instskip(NEXT) | instid1(VALU_DEP_2)
	v_add_co_u32 v6, vcc_lo, v7, v6
	v_add_co_ci_u32_e32 v6, vcc_lo, v10, v12, vcc_lo
	v_add_co_ci_u32_e32 v7, vcc_lo, 0, v13, vcc_lo
	v_ashrrev_i32_e32 v12, 31, v9
	s_delay_alu instid0(VALU_DEP_3) | instskip(NEXT) | instid1(VALU_DEP_3)
	v_add_co_u32 v5, vcc_lo, v6, v5
	v_add_co_ci_u32_e32 v6, vcc_lo, 0, v7, vcc_lo
	s_delay_alu instid0(VALU_DEP_2) | instskip(NEXT) | instid1(VALU_DEP_2)
	v_add_co_u32 v3, vcc_lo, v3, v5
	v_add_co_ci_u32_e32 v4, vcc_lo, v4, v6, vcc_lo
	s_delay_alu instid0(VALU_DEP_2) | instskip(SKIP_1) | instid1(VALU_DEP_3)
	v_mul_hi_u32 v5, s0, v3
	v_mul_lo_u32 v7, s35, v3
	v_mul_lo_u32 v6, s0, v4
	s_delay_alu instid0(VALU_DEP_1) | instskip(SKIP_1) | instid1(VALU_DEP_2)
	v_add_nc_u32_e32 v5, v5, v6
	v_mul_lo_u32 v6, s0, v3
	v_add_nc_u32_e32 v5, v5, v7
	s_delay_alu instid0(VALU_DEP_2) | instskip(NEXT) | instid1(VALU_DEP_2)
	v_mul_hi_u32 v7, v3, v6
	v_mul_lo_u32 v10, v3, v5
	v_mul_hi_u32 v11, v3, v5
	v_mul_hi_u32 v13, v4, v6
	v_mul_lo_u32 v6, v4, v6
	v_mul_hi_u32 v14, v4, v5
	v_mul_lo_u32 v5, v4, v5
	v_add_co_u32 v7, vcc_lo, v7, v10
	v_add_co_ci_u32_e32 v10, vcc_lo, 0, v11, vcc_lo
	s_delay_alu instid0(VALU_DEP_2) | instskip(NEXT) | instid1(VALU_DEP_2)
	v_add_co_u32 v6, vcc_lo, v7, v6
	v_add_co_ci_u32_e32 v6, vcc_lo, v10, v13, vcc_lo
	v_add_co_ci_u32_e32 v7, vcc_lo, 0, v14, vcc_lo
	v_add_co_u32 v10, vcc_lo, v8, v12
	v_add_co_ci_u32_e32 v11, vcc_lo, v9, v12, vcc_lo
	s_delay_alu instid0(VALU_DEP_4) | instskip(NEXT) | instid1(VALU_DEP_4)
	v_add_co_u32 v5, vcc_lo, v6, v5
	v_add_co_ci_u32_e32 v6, vcc_lo, 0, v7, vcc_lo
	s_delay_alu instid0(VALU_DEP_4) | instskip(NEXT) | instid1(VALU_DEP_3)
	v_xor_b32_e32 v7, v10, v12
	v_add_co_u32 v10, vcc_lo, v3, v5
	s_delay_alu instid0(VALU_DEP_3) | instskip(SKIP_1) | instid1(VALU_DEP_3)
	v_add_co_ci_u32_e32 v13, vcc_lo, v4, v6, vcc_lo
	v_xor_b32_e32 v14, v11, v12
	v_mul_hi_u32 v15, v7, v10
	s_delay_alu instid0(VALU_DEP_3) | instskip(NEXT) | instid1(VALU_DEP_3)
	v_mad_u64_u32 v[3:4], null, v7, v13, 0
	v_mad_u64_u32 v[5:6], null, v14, v10, 0
	;; [unrolled: 1-line block ×3, first 2 shown]
	s_delay_alu instid0(VALU_DEP_3) | instskip(NEXT) | instid1(VALU_DEP_4)
	v_add_co_u32 v3, vcc_lo, v15, v3
	v_add_co_ci_u32_e32 v4, vcc_lo, 0, v4, vcc_lo
	s_delay_alu instid0(VALU_DEP_2) | instskip(NEXT) | instid1(VALU_DEP_2)
	v_add_co_u32 v3, vcc_lo, v3, v5
	v_add_co_ci_u32_e32 v3, vcc_lo, v4, v6, vcc_lo
	v_add_co_ci_u32_e32 v4, vcc_lo, 0, v11, vcc_lo
	s_delay_alu instid0(VALU_DEP_2) | instskip(NEXT) | instid1(VALU_DEP_2)
	v_add_co_u32 v5, vcc_lo, v3, v10
	v_add_co_ci_u32_e32 v6, vcc_lo, 0, v4, vcc_lo
	s_delay_alu instid0(VALU_DEP_2) | instskip(SKIP_1) | instid1(VALU_DEP_3)
	v_mul_lo_u32 v10, s37, v5
	v_mad_u64_u32 v[3:4], null, s36, v5, 0
	v_mul_lo_u32 v11, s36, v6
	s_delay_alu instid0(VALU_DEP_2) | instskip(NEXT) | instid1(VALU_DEP_2)
	v_sub_co_u32 v3, vcc_lo, v7, v3
	v_add3_u32 v4, v4, v11, v10
	s_delay_alu instid0(VALU_DEP_1) | instskip(NEXT) | instid1(VALU_DEP_1)
	v_sub_nc_u32_e32 v10, v14, v4
	v_subrev_co_ci_u32_e64 v7, s0, s37, v10, vcc_lo
	v_add_co_u32 v10, s0, v5, 2
	s_delay_alu instid0(VALU_DEP_1) | instskip(SKIP_3) | instid1(VALU_DEP_3)
	v_add_co_ci_u32_e64 v11, s0, 0, v6, s0
	v_sub_co_u32 v13, s0, v3, s36
	v_sub_co_ci_u32_e32 v4, vcc_lo, v14, v4, vcc_lo
	v_subrev_co_ci_u32_e64 v7, s0, 0, v7, s0
	v_cmp_le_u32_e32 vcc_lo, s36, v13
	s_delay_alu instid0(VALU_DEP_3) | instskip(SKIP_1) | instid1(VALU_DEP_4)
	v_cmp_eq_u32_e64 s0, s37, v4
	v_cndmask_b32_e64 v13, 0, -1, vcc_lo
	v_cmp_le_u32_e32 vcc_lo, s37, v7
	v_cndmask_b32_e64 v14, 0, -1, vcc_lo
	v_cmp_le_u32_e32 vcc_lo, s36, v3
	;; [unrolled: 2-line block ×3, first 2 shown]
	v_cndmask_b32_e64 v15, 0, -1, vcc_lo
	v_cmp_eq_u32_e32 vcc_lo, s37, v7
	s_delay_alu instid0(VALU_DEP_2) | instskip(SKIP_3) | instid1(VALU_DEP_3)
	v_cndmask_b32_e64 v3, v15, v3, s0
	v_cndmask_b32_e32 v7, v14, v13, vcc_lo
	v_add_co_u32 v13, vcc_lo, v5, 1
	v_add_co_ci_u32_e32 v14, vcc_lo, 0, v6, vcc_lo
	v_cmp_ne_u32_e32 vcc_lo, 0, v7
	s_delay_alu instid0(VALU_DEP_2) | instskip(SKIP_2) | instid1(VALU_DEP_3)
	v_dual_cndmask_b32 v4, v14, v11 :: v_dual_cndmask_b32 v7, v13, v10
	v_cmp_ne_u32_e32 vcc_lo, 0, v3
	v_xor_b32_e32 v3, s34, v12
	v_dual_cndmask_b32 v5, v5, v7 :: v_dual_cndmask_b32 v4, v6, v4
	s_delay_alu instid0(VALU_DEP_1) | instskip(NEXT) | instid1(VALU_DEP_2)
	v_xor_b32_e32 v5, v5, v3
	v_xor_b32_e32 v4, v4, v3
	s_delay_alu instid0(VALU_DEP_2) | instskip(NEXT) | instid1(VALU_DEP_2)
	v_sub_co_u32 v6, vcc_lo, v5, v3
	v_sub_co_ci_u32_e32 v7, vcc_lo, v4, v3, vcc_lo
.LBB39_9:                               ;   in Loop: Header=BB39_3 Depth=1
	s_and_not1_saveexec_b32 s0, s31
	s_cbranch_execz .LBB39_11
; %bb.10:                               ;   in Loop: Header=BB39_3 Depth=1
	v_cvt_f32_u32_e32 v3, s8
	s_sub_i32 s31, 0, s8
	v_mov_b32_e32 v7, v2
	s_delay_alu instid0(VALU_DEP_2) | instskip(SKIP_2) | instid1(VALU_DEP_1)
	v_rcp_iflag_f32_e32 v3, v3
	s_waitcnt_depctr 0xfff
	v_mul_f32_e32 v3, 0x4f7ffffe, v3
	v_cvt_u32_f32_e32 v3, v3
	s_delay_alu instid0(VALU_DEP_1) | instskip(NEXT) | instid1(VALU_DEP_1)
	v_mul_lo_u32 v4, s31, v3
	v_mul_hi_u32 v4, v3, v4
	s_delay_alu instid0(VALU_DEP_1) | instskip(NEXT) | instid1(VALU_DEP_1)
	v_add_nc_u32_e32 v3, v3, v4
	v_mul_hi_u32 v3, v8, v3
	s_delay_alu instid0(VALU_DEP_1) | instskip(SKIP_1) | instid1(VALU_DEP_2)
	v_mul_lo_u32 v4, v3, s8
	v_add_nc_u32_e32 v5, 1, v3
	v_sub_nc_u32_e32 v4, v8, v4
	s_delay_alu instid0(VALU_DEP_1) | instskip(SKIP_1) | instid1(VALU_DEP_2)
	v_subrev_nc_u32_e32 v6, s8, v4
	v_cmp_le_u32_e32 vcc_lo, s8, v4
	v_dual_cndmask_b32 v4, v4, v6 :: v_dual_cndmask_b32 v3, v3, v5
	s_delay_alu instid0(VALU_DEP_1) | instskip(NEXT) | instid1(VALU_DEP_2)
	v_cmp_le_u32_e32 vcc_lo, s8, v4
	v_add_nc_u32_e32 v5, 1, v3
	s_delay_alu instid0(VALU_DEP_1)
	v_cndmask_b32_e32 v6, v3, v5, vcc_lo
.LBB39_11:                              ;   in Loop: Header=BB39_3 Depth=1
	s_or_b32 exec_lo, exec_lo, s0
	v_mul_lo_u32 v5, v9, s2
	v_mul_lo_u32 v12, v8, s3
	v_mad_u64_u32 v[3:4], null, v8, s2, 0
	v_mul_lo_u32 v13, v7, s8
	v_mul_lo_u32 v14, v6, s9
	v_mad_u64_u32 v[10:11], null, v6, s8, 0
	s_mov_b64 s[34:35], s[28:29]
	s_mov_b64 s[36:37], s[26:27]
	s_delay_alu instid0(VALU_DEP_4) | instskip(SKIP_2) | instid1(VALU_DEP_3)
	v_add3_u32 v5, v4, v12, v5
	v_sub_co_u32 v4, vcc_lo, v0, v3
	s_mov_b64 s[38:39], s[24:25]
	v_add3_u32 v3, v11, v14, v13
	s_delay_alu instid0(VALU_DEP_3) | instskip(NEXT) | instid1(VALU_DEP_3)
	v_sub_co_ci_u32_e32 v5, vcc_lo, v1, v5, vcc_lo
	v_mul_lo_u32 v11, s15, v4
	v_mul_lo_u32 v12, s19, v4
	v_mad_u64_u32 v[14:15], null, s18, v4, 0
	s_delay_alu instid0(VALU_DEP_4)
	v_mul_lo_u32 v13, s14, v5
	v_mul_lo_u32 v16, s18, v5
	v_mad_u64_u32 v[21:22], null, s14, v4, 0
	v_sub_co_u32 v19, vcc_lo, v8, v10
	v_sub_co_ci_u32_e32 v20, vcc_lo, v9, v3, vcc_lo
	s_and_b32 vcc_lo, exec_lo, s1
	s_delay_alu instid0(VALU_DEP_4) | instskip(NEXT) | instid1(VALU_DEP_4)
	v_add3_u32 v15, v15, v16, v12
	v_add3_u32 v22, v22, v13, v11
	v_mul_lo_u32 v3, s13, v19
	v_mul_lo_u32 v8, s12, v20
	;; [unrolled: 1-line block ×3, first 2 shown]
	v_mad_u64_u32 v[12:13], null, s16, v19, v[14:15]
	v_mul_lo_u32 v10, s17, v19
	v_mad_u64_u32 v[16:17], null, s12, v19, v[21:22]
	s_delay_alu instid0(VALU_DEP_2) | instskip(NEXT) | instid1(VALU_DEP_2)
	v_add3_u32 v13, v10, v13, v9
	v_add3_u32 v17, v3, v17, v8
	v_mov_b32_e32 v8, v12
	s_delay_alu instid0(VALU_DEP_3) | instskip(NEXT) | instid1(VALU_DEP_3)
	v_dual_mov_b32 v10, v16 :: v_dual_mov_b32 v9, v13
	v_mov_b32_e32 v11, v17
	s_cbranch_vccnz .LBB39_22
.LBB39_12:                              ;   in Loop: Header=BB39_3 Depth=1
	v_sub_co_u32 v6, vcc_lo, v4, v19
	v_sub_co_ci_u32_e32 v7, vcc_lo, v5, v20, vcc_lo
	v_dual_mov_b32 v9, 0 :: v_dual_mov_b32 v10, 0
	v_dual_mov_b32 v3, 0 :: v_dual_mov_b32 v8, 0
	s_mov_b32 s0, exec_lo
	s_delay_alu instid0(VALU_DEP_3)
	v_cmpx_ge_i64_e64 s[4:5], v[6:7]
	s_cbranch_execz .LBB39_18
; %bb.13:                               ;   in Loop: Header=BB39_3 Depth=1
	v_dual_mov_b32 v8, 0 :: v_dual_mov_b32 v3, 0
	v_dual_mov_b32 v11, 0 :: v_dual_mov_b32 v10, 0
	s_mov_b32 s31, exec_lo
	v_cmpx_gt_i64_e64 s[10:11], v[4:5]
	s_cbranch_execz .LBB39_17
; %bb.14:                               ;   in Loop: Header=BB39_3 Depth=1
	v_lshlrev_b64 v[8:9], 2, v[16:17]
	s_delay_alu instid0(VALU_DEP_1) | instskip(NEXT) | instid1(VALU_DEP_2)
	v_add_co_u32 v8, vcc_lo, s20, v8
	v_add_co_ci_u32_e32 v9, vcc_lo, s21, v9, vcc_lo
	v_add_co_u32 v10, vcc_lo, v4, 1
	v_add_co_ci_u32_e32 v11, vcc_lo, 0, v5, vcc_lo
	global_load_b32 v3, v[8:9], off
	v_cmp_gt_i64_e32 vcc_lo, s[10:11], v[10:11]
	v_dual_mov_b32 v10, 0 :: v_dual_mov_b32 v11, 0
	s_and_saveexec_b32 s34, vcc_lo
	s_cbranch_execz .LBB39_16
; %bb.15:                               ;   in Loop: Header=BB39_3 Depth=1
	s_lshl_b64 s[36:37], s[14:15], 2
	s_delay_alu instid0(SALU_CYCLE_1)
	v_add_co_u32 v8, vcc_lo, v8, s36
	v_add_co_ci_u32_e32 v9, vcc_lo, s37, v9, vcc_lo
	global_load_b32 v10, v[8:9], off
	s_waitcnt vmcnt(0)
	v_and_b32_e32 v11, 0xffff0000, v10
.LBB39_16:                              ;   in Loop: Header=BB39_3 Depth=1
	s_or_b32 exec_lo, exec_lo, s34
	s_waitcnt vmcnt(0)
	v_lshrrev_b32_e32 v8, 16, v3
.LBB39_17:                              ;   in Loop: Header=BB39_3 Depth=1
	s_or_b32 exec_lo, exec_lo, s31
	v_add_co_u32 v6, vcc_lo, v6, 1
	v_add_co_ci_u32_e32 v7, vcc_lo, 0, v7, vcc_lo
	s_delay_alu instid0(VALU_DEP_1)
	v_cmp_lt_i64_e32 vcc_lo, s[4:5], v[6:7]
	v_cndmask_b32_e64 v9, v10, 0, vcc_lo
	v_cndmask_b32_e64 v10, v11, 0, vcc_lo
.LBB39_18:                              ;   in Loop: Header=BB39_3 Depth=1
	s_or_b32 exec_lo, exec_lo, s0
	s_delay_alu instid0(SALU_CYCLE_1)
	s_mov_b32 s0, exec_lo
	v_cmpx_gt_i64_e64 s[10:11], v[4:5]
	s_cbranch_execz .LBB39_2
; %bb.19:                               ;   in Loop: Header=BB39_3 Depth=1
	v_lshlrev_b64 v[6:7], 2, v[12:13]
	v_and_b32_e32 v13, 0xffff, v3
	v_add_co_u32 v11, vcc_lo, v4, 1
	v_add_co_ci_u32_e32 v12, vcc_lo, 0, v5, vcc_lo
	s_delay_alu instid0(VALU_DEP_4)
	v_add_co_u32 v3, vcc_lo, s22, v6
	v_add_co_ci_u32_e32 v4, vcc_lo, s23, v7, vcc_lo
	v_lshl_or_b32 v5, v8, 16, v13
	s_mov_b32 s31, exec_lo
	global_store_b32 v[3:4], v5, off
	v_cmpx_gt_i64_e64 s[10:11], v[11:12]
	s_xor_b32 s31, exec_lo, s31
	s_cbranch_execz .LBB39_2
; %bb.20:                               ;   in Loop: Header=BB39_3 Depth=1
	s_lshl_b64 s[34:35], s[18:19], 2
	v_bfi_b32 v5, 0xffff0000, v10, v9
	v_add_co_u32 v3, vcc_lo, v3, s34
	v_add_co_ci_u32_e32 v4, vcc_lo, s35, v4, vcc_lo
	global_store_b32 v[3:4], v5, off
	s_branch .LBB39_2
.LBB39_21:                              ;   in Loop: Header=BB39_22 Depth=2
	s_or_b32 exec_lo, exec_lo, s0
	s_delay_alu instid0(VALU_DEP_1) | instskip(NEXT) | instid1(VALU_DEP_2)
	v_mul_lo_u32 v3, v15, s40
	v_mul_lo_u32 v16, v14, s41
	s_load_b64 s[42:43], s[36:37], 0xc8
	v_mad_u64_u32 v[12:13], null, v14, s40, 0
	s_load_b64 s[40:41], s[38:39], 0x0
	s_add_u32 s38, s38, -8
	s_addc_u32 s39, s39, -1
	s_add_u32 s36, s36, -8
	s_addc_u32 s37, s37, -1
	s_add_u32 s34, s34, -1
	s_delay_alu instid0(VALU_DEP_1) | instskip(SKIP_2) | instid1(VALU_DEP_2)
	v_add3_u32 v3, v13, v16, v3
	v_sub_co_u32 v6, vcc_lo, v6, v12
	s_addc_u32 s35, s35, -1
	v_sub_co_ci_u32_e32 v3, vcc_lo, v7, v3, vcc_lo
	v_cmp_lt_i64_e64 s0, s[34:35], 1
	s_waitcnt lgkmcnt(0)
	s_delay_alu instid0(VALU_DEP_2)
	v_mul_lo_u32 v7, s42, v3
	v_mul_lo_u32 v21, s43, v6
	v_mad_u64_u32 v[16:17], null, s42, v6, v[10:11]
	v_mul_lo_u32 v3, s40, v3
	v_mul_lo_u32 v10, s41, v6
	v_mad_u64_u32 v[12:13], null, s40, v6, v[8:9]
	s_and_b32 vcc_lo, exec_lo, s0
	s_delay_alu instid0(VALU_DEP_4) | instskip(SKIP_1) | instid1(VALU_DEP_3)
	v_add3_u32 v17, v21, v17, v7
	v_dual_mov_b32 v6, v14 :: v_dual_mov_b32 v7, v15
	v_add3_u32 v13, v10, v13, v3
	s_delay_alu instid0(VALU_DEP_4) | instskip(NEXT) | instid1(VALU_DEP_4)
	v_mov_b32_e32 v8, v12
	v_dual_mov_b32 v10, v16 :: v_dual_mov_b32 v11, v17
	s_delay_alu instid0(VALU_DEP_3)
	v_mov_b32_e32 v9, v13
	s_cbranch_vccnz .LBB39_12
.LBB39_22:                              ;   Parent Loop BB39_3 Depth=1
                                        ; =>  This Inner Loop Header: Depth=2
	s_load_b64 s[40:41], s[36:37], 0x0
                                        ; implicit-def: $vgpr14_vgpr15
	s_mov_b32 s0, exec_lo
	s_waitcnt lgkmcnt(0)
	v_or_b32_e32 v3, s41, v7
	s_delay_alu instid0(VALU_DEP_1)
	v_cmpx_ne_u64_e32 0, v[2:3]
	s_xor_b32 s31, exec_lo, s0
	s_cbranch_execz .LBB39_24
; %bb.23:                               ;   in Loop: Header=BB39_22 Depth=2
	s_ashr_i32 s42, s41, 31
	s_delay_alu instid0(SALU_CYCLE_1) | instskip(SKIP_2) | instid1(SALU_CYCLE_1)
	s_add_u32 s44, s40, s42
	s_mov_b32 s43, s42
	s_addc_u32 s45, s41, s42
	s_xor_b64 s[44:45], s[44:45], s[42:43]
	s_delay_alu instid0(SALU_CYCLE_1) | instskip(SKIP_3) | instid1(VALU_DEP_1)
	v_cvt_f32_u32_e32 v3, s44
	v_cvt_f32_u32_e32 v12, s45
	s_sub_u32 s0, 0, s44
	s_subb_u32 s43, 0, s45
	v_fmac_f32_e32 v3, 0x4f800000, v12
	s_delay_alu instid0(VALU_DEP_1) | instskip(SKIP_2) | instid1(VALU_DEP_1)
	v_rcp_f32_e32 v3, v3
	s_waitcnt_depctr 0xfff
	v_mul_f32_e32 v3, 0x5f7ffffc, v3
	v_mul_f32_e32 v12, 0x2f800000, v3
	s_delay_alu instid0(VALU_DEP_1) | instskip(NEXT) | instid1(VALU_DEP_1)
	v_trunc_f32_e32 v12, v12
	v_fmac_f32_e32 v3, 0xcf800000, v12
	v_cvt_u32_f32_e32 v12, v12
	s_delay_alu instid0(VALU_DEP_2) | instskip(NEXT) | instid1(VALU_DEP_2)
	v_cvt_u32_f32_e32 v3, v3
	v_mul_lo_u32 v13, s0, v12
	s_delay_alu instid0(VALU_DEP_2) | instskip(SKIP_1) | instid1(VALU_DEP_2)
	v_mul_hi_u32 v14, s0, v3
	v_mul_lo_u32 v15, s43, v3
	v_add_nc_u32_e32 v13, v14, v13
	v_mul_lo_u32 v14, s0, v3
	s_delay_alu instid0(VALU_DEP_2) | instskip(NEXT) | instid1(VALU_DEP_2)
	v_add_nc_u32_e32 v13, v13, v15
	v_mul_hi_u32 v15, v3, v14
	s_delay_alu instid0(VALU_DEP_2)
	v_mul_lo_u32 v16, v3, v13
	v_mul_hi_u32 v17, v3, v13
	v_mul_hi_u32 v21, v12, v14
	v_mul_lo_u32 v14, v12, v14
	v_mul_hi_u32 v22, v12, v13
	v_mul_lo_u32 v13, v12, v13
	v_add_co_u32 v15, vcc_lo, v15, v16
	v_add_co_ci_u32_e32 v16, vcc_lo, 0, v17, vcc_lo
	s_delay_alu instid0(VALU_DEP_2) | instskip(NEXT) | instid1(VALU_DEP_2)
	v_add_co_u32 v14, vcc_lo, v15, v14
	v_add_co_ci_u32_e32 v14, vcc_lo, v16, v21, vcc_lo
	v_add_co_ci_u32_e32 v15, vcc_lo, 0, v22, vcc_lo
	v_ashrrev_i32_e32 v21, 31, v7
	s_delay_alu instid0(VALU_DEP_3) | instskip(NEXT) | instid1(VALU_DEP_3)
	v_add_co_u32 v13, vcc_lo, v14, v13
	v_add_co_ci_u32_e32 v14, vcc_lo, 0, v15, vcc_lo
	s_delay_alu instid0(VALU_DEP_2) | instskip(NEXT) | instid1(VALU_DEP_2)
	v_add_co_u32 v3, vcc_lo, v3, v13
	v_add_co_ci_u32_e32 v12, vcc_lo, v12, v14, vcc_lo
	s_delay_alu instid0(VALU_DEP_2) | instskip(SKIP_1) | instid1(VALU_DEP_3)
	v_mul_hi_u32 v13, s0, v3
	v_mul_lo_u32 v15, s43, v3
	v_mul_lo_u32 v14, s0, v12
	s_delay_alu instid0(VALU_DEP_1) | instskip(SKIP_1) | instid1(VALU_DEP_2)
	v_add_nc_u32_e32 v13, v13, v14
	v_mul_lo_u32 v14, s0, v3
	v_add_nc_u32_e32 v13, v13, v15
	s_delay_alu instid0(VALU_DEP_2) | instskip(NEXT) | instid1(VALU_DEP_2)
	v_mul_hi_u32 v15, v3, v14
	v_mul_lo_u32 v16, v3, v13
	v_mul_hi_u32 v17, v3, v13
	v_mul_hi_u32 v22, v12, v14
	v_mul_lo_u32 v14, v12, v14
	v_mul_hi_u32 v23, v12, v13
	v_mul_lo_u32 v13, v12, v13
	v_add_co_u32 v15, vcc_lo, v15, v16
	v_add_co_ci_u32_e32 v16, vcc_lo, 0, v17, vcc_lo
	s_delay_alu instid0(VALU_DEP_2) | instskip(NEXT) | instid1(VALU_DEP_2)
	v_add_co_u32 v14, vcc_lo, v15, v14
	v_add_co_ci_u32_e32 v14, vcc_lo, v16, v22, vcc_lo
	v_add_co_ci_u32_e32 v15, vcc_lo, 0, v23, vcc_lo
	v_add_co_u32 v16, vcc_lo, v6, v21
	v_add_co_ci_u32_e32 v17, vcc_lo, v7, v21, vcc_lo
	s_delay_alu instid0(VALU_DEP_4) | instskip(NEXT) | instid1(VALU_DEP_4)
	v_add_co_u32 v13, vcc_lo, v14, v13
	v_add_co_ci_u32_e32 v14, vcc_lo, 0, v15, vcc_lo
	s_delay_alu instid0(VALU_DEP_4) | instskip(NEXT) | instid1(VALU_DEP_3)
	v_xor_b32_e32 v22, v16, v21
	v_add_co_u32 v3, vcc_lo, v3, v13
	s_delay_alu instid0(VALU_DEP_3) | instskip(SKIP_1) | instid1(VALU_DEP_3)
	v_add_co_ci_u32_e32 v23, vcc_lo, v12, v14, vcc_lo
	v_xor_b32_e32 v24, v17, v21
	v_mul_hi_u32 v25, v22, v3
	s_delay_alu instid0(VALU_DEP_3) | instskip(NEXT) | instid1(VALU_DEP_3)
	v_mad_u64_u32 v[12:13], null, v22, v23, 0
	v_mad_u64_u32 v[14:15], null, v24, v3, 0
	;; [unrolled: 1-line block ×3, first 2 shown]
	s_delay_alu instid0(VALU_DEP_3) | instskip(NEXT) | instid1(VALU_DEP_4)
	v_add_co_u32 v3, vcc_lo, v25, v12
	v_add_co_ci_u32_e32 v12, vcc_lo, 0, v13, vcc_lo
	s_delay_alu instid0(VALU_DEP_2) | instskip(NEXT) | instid1(VALU_DEP_2)
	v_add_co_u32 v3, vcc_lo, v3, v14
	v_add_co_ci_u32_e32 v3, vcc_lo, v12, v15, vcc_lo
	v_add_co_ci_u32_e32 v12, vcc_lo, 0, v17, vcc_lo
	s_delay_alu instid0(VALU_DEP_2) | instskip(NEXT) | instid1(VALU_DEP_2)
	v_add_co_u32 v3, vcc_lo, v3, v16
	v_add_co_ci_u32_e32 v14, vcc_lo, 0, v12, vcc_lo
	s_delay_alu instid0(VALU_DEP_2) | instskip(SKIP_1) | instid1(VALU_DEP_3)
	v_mul_lo_u32 v15, s45, v3
	v_mad_u64_u32 v[12:13], null, s44, v3, 0
	v_mul_lo_u32 v16, s44, v14
	s_delay_alu instid0(VALU_DEP_2) | instskip(NEXT) | instid1(VALU_DEP_2)
	v_sub_co_u32 v12, vcc_lo, v22, v12
	v_add3_u32 v13, v13, v16, v15
	s_delay_alu instid0(VALU_DEP_1) | instskip(NEXT) | instid1(VALU_DEP_1)
	v_sub_nc_u32_e32 v15, v24, v13
	v_subrev_co_ci_u32_e64 v15, s0, s45, v15, vcc_lo
	v_add_co_u32 v16, s0, v3, 2
	s_delay_alu instid0(VALU_DEP_1) | instskip(SKIP_3) | instid1(VALU_DEP_3)
	v_add_co_ci_u32_e64 v17, s0, 0, v14, s0
	v_sub_co_u32 v22, s0, v12, s44
	v_sub_co_ci_u32_e32 v13, vcc_lo, v24, v13, vcc_lo
	v_subrev_co_ci_u32_e64 v15, s0, 0, v15, s0
	v_cmp_le_u32_e32 vcc_lo, s44, v22
	s_delay_alu instid0(VALU_DEP_3) | instskip(SKIP_1) | instid1(VALU_DEP_4)
	v_cmp_eq_u32_e64 s0, s45, v13
	v_cndmask_b32_e64 v22, 0, -1, vcc_lo
	v_cmp_le_u32_e32 vcc_lo, s45, v15
	v_cndmask_b32_e64 v23, 0, -1, vcc_lo
	v_cmp_le_u32_e32 vcc_lo, s44, v12
	;; [unrolled: 2-line block ×3, first 2 shown]
	v_cndmask_b32_e64 v24, 0, -1, vcc_lo
	v_cmp_eq_u32_e32 vcc_lo, s45, v15
	s_delay_alu instid0(VALU_DEP_2) | instskip(SKIP_3) | instid1(VALU_DEP_3)
	v_cndmask_b32_e64 v12, v24, v12, s0
	v_cndmask_b32_e32 v15, v23, v22, vcc_lo
	v_add_co_u32 v22, vcc_lo, v3, 1
	v_add_co_ci_u32_e32 v23, vcc_lo, 0, v14, vcc_lo
	v_cmp_ne_u32_e32 vcc_lo, 0, v15
	s_delay_alu instid0(VALU_DEP_2) | instskip(NEXT) | instid1(VALU_DEP_4)
	v_cndmask_b32_e32 v13, v23, v17, vcc_lo
	v_cndmask_b32_e32 v15, v22, v16, vcc_lo
	v_cmp_ne_u32_e32 vcc_lo, 0, v12
	v_xor_b32_e32 v12, s42, v21
	s_delay_alu instid0(VALU_DEP_3) | instskip(SKIP_1) | instid1(VALU_DEP_2)
	v_cndmask_b32_e32 v3, v3, v15, vcc_lo
	v_cndmask_b32_e32 v13, v14, v13, vcc_lo
	v_xor_b32_e32 v3, v3, v12
	s_delay_alu instid0(VALU_DEP_2) | instskip(NEXT) | instid1(VALU_DEP_2)
	v_xor_b32_e32 v13, v13, v12
	v_sub_co_u32 v14, vcc_lo, v3, v12
	s_delay_alu instid0(VALU_DEP_2)
	v_sub_co_ci_u32_e32 v15, vcc_lo, v13, v12, vcc_lo
.LBB39_24:                              ;   in Loop: Header=BB39_22 Depth=2
	s_and_not1_saveexec_b32 s0, s31
	s_cbranch_execz .LBB39_21
; %bb.25:                               ;   in Loop: Header=BB39_22 Depth=2
	v_cvt_f32_u32_e32 v3, s40
	s_sub_i32 s31, 0, s40
	v_mov_b32_e32 v15, v2
	s_delay_alu instid0(VALU_DEP_2) | instskip(SKIP_2) | instid1(VALU_DEP_1)
	v_rcp_iflag_f32_e32 v3, v3
	s_waitcnt_depctr 0xfff
	v_mul_f32_e32 v3, 0x4f7ffffe, v3
	v_cvt_u32_f32_e32 v3, v3
	s_delay_alu instid0(VALU_DEP_1) | instskip(NEXT) | instid1(VALU_DEP_1)
	v_mul_lo_u32 v12, s31, v3
	v_mul_hi_u32 v12, v3, v12
	s_delay_alu instid0(VALU_DEP_1) | instskip(NEXT) | instid1(VALU_DEP_1)
	v_add_nc_u32_e32 v3, v3, v12
	v_mul_hi_u32 v3, v6, v3
	s_delay_alu instid0(VALU_DEP_1) | instskip(SKIP_1) | instid1(VALU_DEP_2)
	v_mul_lo_u32 v12, v3, s40
	v_add_nc_u32_e32 v13, 1, v3
	v_sub_nc_u32_e32 v12, v6, v12
	s_delay_alu instid0(VALU_DEP_1) | instskip(SKIP_1) | instid1(VALU_DEP_2)
	v_subrev_nc_u32_e32 v14, s40, v12
	v_cmp_le_u32_e32 vcc_lo, s40, v12
	v_dual_cndmask_b32 v12, v12, v14 :: v_dual_cndmask_b32 v3, v3, v13
	s_delay_alu instid0(VALU_DEP_1) | instskip(NEXT) | instid1(VALU_DEP_2)
	v_cmp_le_u32_e32 vcc_lo, s40, v12
	v_add_nc_u32_e32 v13, 1, v3
	s_delay_alu instid0(VALU_DEP_1)
	v_cndmask_b32_e32 v14, v3, v13, vcc_lo
	s_branch .LBB39_21
.LBB39_26:
	s_nop 0
	s_sendmsg sendmsg(MSG_DEALLOC_VGPRS)
	s_endpgm
	.section	.rodata,"a",@progbits
	.p2align	6, 0x0
	.amdhsa_kernel _ZN2at6native16triu_tril_kernelIN3c107complexINS2_4HalfEEElLb0ELi2ELb0EEEvNS_4cuda6detail10TensorInfoIT_T0_EENS8_IKS9_SA_EEllSA_
		.amdhsa_group_segment_fixed_size 0
		.amdhsa_private_segment_fixed_size 0
		.amdhsa_kernarg_size 1112
		.amdhsa_user_sgpr_count 15
		.amdhsa_user_sgpr_dispatch_ptr 0
		.amdhsa_user_sgpr_queue_ptr 0
		.amdhsa_user_sgpr_kernarg_segment_ptr 1
		.amdhsa_user_sgpr_dispatch_id 0
		.amdhsa_user_sgpr_private_segment_size 0
		.amdhsa_wavefront_size32 1
		.amdhsa_uses_dynamic_stack 0
		.amdhsa_enable_private_segment 0
		.amdhsa_system_sgpr_workgroup_id_x 1
		.amdhsa_system_sgpr_workgroup_id_y 0
		.amdhsa_system_sgpr_workgroup_id_z 0
		.amdhsa_system_sgpr_workgroup_info 0
		.amdhsa_system_vgpr_workitem_id 0
		.amdhsa_next_free_vgpr 26
		.amdhsa_next_free_sgpr 47
		.amdhsa_reserve_vcc 1
		.amdhsa_float_round_mode_32 0
		.amdhsa_float_round_mode_16_64 0
		.amdhsa_float_denorm_mode_32 3
		.amdhsa_float_denorm_mode_16_64 3
		.amdhsa_dx10_clamp 1
		.amdhsa_ieee_mode 1
		.amdhsa_fp16_overflow 0
		.amdhsa_workgroup_processor_mode 1
		.amdhsa_memory_ordered 1
		.amdhsa_forward_progress 0
		.amdhsa_shared_vgpr_count 0
		.amdhsa_exception_fp_ieee_invalid_op 0
		.amdhsa_exception_fp_denorm_src 0
		.amdhsa_exception_fp_ieee_div_zero 0
		.amdhsa_exception_fp_ieee_overflow 0
		.amdhsa_exception_fp_ieee_underflow 0
		.amdhsa_exception_fp_ieee_inexact 0
		.amdhsa_exception_int_div_zero 0
	.end_amdhsa_kernel
	.section	.text._ZN2at6native16triu_tril_kernelIN3c107complexINS2_4HalfEEElLb0ELi2ELb0EEEvNS_4cuda6detail10TensorInfoIT_T0_EENS8_IKS9_SA_EEllSA_,"axG",@progbits,_ZN2at6native16triu_tril_kernelIN3c107complexINS2_4HalfEEElLb0ELi2ELb0EEEvNS_4cuda6detail10TensorInfoIT_T0_EENS8_IKS9_SA_EEllSA_,comdat
.Lfunc_end39:
	.size	_ZN2at6native16triu_tril_kernelIN3c107complexINS2_4HalfEEElLb0ELi2ELb0EEEvNS_4cuda6detail10TensorInfoIT_T0_EENS8_IKS9_SA_EEllSA_, .Lfunc_end39-_ZN2at6native16triu_tril_kernelIN3c107complexINS2_4HalfEEElLb0ELi2ELb0EEEvNS_4cuda6detail10TensorInfoIT_T0_EENS8_IKS9_SA_EEllSA_
                                        ; -- End function
	.section	.AMDGPU.csdata,"",@progbits
; Kernel info:
; codeLenInByte = 4216
; NumSgprs: 49
; NumVgprs: 26
; ScratchSize: 0
; MemoryBound: 0
; FloatMode: 240
; IeeeMode: 1
; LDSByteSize: 0 bytes/workgroup (compile time only)
; SGPRBlocks: 6
; VGPRBlocks: 3
; NumSGPRsForWavesPerEU: 49
; NumVGPRsForWavesPerEU: 26
; Occupancy: 16
; WaveLimiterHint : 0
; COMPUTE_PGM_RSRC2:SCRATCH_EN: 0
; COMPUTE_PGM_RSRC2:USER_SGPR: 15
; COMPUTE_PGM_RSRC2:TRAP_HANDLER: 0
; COMPUTE_PGM_RSRC2:TGID_X_EN: 1
; COMPUTE_PGM_RSRC2:TGID_Y_EN: 0
; COMPUTE_PGM_RSRC2:TGID_Z_EN: 0
; COMPUTE_PGM_RSRC2:TIDIG_COMP_CNT: 0
	.section	.text._ZN2at6native16triu_tril_kernelIN3c104HalfEiLb0ELi4ELb1EEEvNS_4cuda6detail10TensorInfoIT_T0_EENS6_IKS7_S8_EEllS8_,"axG",@progbits,_ZN2at6native16triu_tril_kernelIN3c104HalfEiLb0ELi4ELb1EEEvNS_4cuda6detail10TensorInfoIT_T0_EENS6_IKS7_S8_EEllS8_,comdat
	.protected	_ZN2at6native16triu_tril_kernelIN3c104HalfEiLb0ELi4ELb1EEEvNS_4cuda6detail10TensorInfoIT_T0_EENS6_IKS7_S8_EEllS8_ ; -- Begin function _ZN2at6native16triu_tril_kernelIN3c104HalfEiLb0ELi4ELb1EEEvNS_4cuda6detail10TensorInfoIT_T0_EENS6_IKS7_S8_EEllS8_
	.globl	_ZN2at6native16triu_tril_kernelIN3c104HalfEiLb0ELi4ELb1EEEvNS_4cuda6detail10TensorInfoIT_T0_EENS6_IKS7_S8_EEllS8_
	.p2align	8
	.type	_ZN2at6native16triu_tril_kernelIN3c104HalfEiLb0ELi4ELb1EEEvNS_4cuda6detail10TensorInfoIT_T0_EENS6_IKS7_S8_EEllS8_,@function
_ZN2at6native16triu_tril_kernelIN3c104HalfEiLb0ELi4ELb1EEEvNS_4cuda6detail10TensorInfoIT_T0_EENS6_IKS7_S8_EEllS8_: ; @_ZN2at6native16triu_tril_kernelIN3c104HalfEiLb0ELi4ELb1EEEvNS_4cuda6detail10TensorInfoIT_T0_EENS6_IKS7_S8_EEllS8_
; %bb.0:
	s_clause 0x1
	s_load_b32 s2, s[0:1], 0x1d4
	s_load_b128 s[4:7], s[0:1], 0x1b0
	v_mov_b32_e32 v2, 0
	s_add_u32 s8, s0, 0x1c8
	s_addc_u32 s9, s1, 0
	s_delay_alu instid0(VALU_DEP_1) | instskip(SKIP_3) | instid1(VALU_DEP_1)
	v_mov_b32_e32 v1, v2
	s_waitcnt lgkmcnt(0)
	s_and_b32 s14, s2, 0xffff
	s_mov_b32 s2, exec_lo
	v_mad_u64_u32 v[3:4], null, s14, s15, v[0:1]
	s_delay_alu instid0(VALU_DEP_1) | instskip(NEXT) | instid1(VALU_DEP_1)
	v_lshlrev_b64 v[0:1], 2, v[3:4]
	v_cmpx_gt_i64_e64 s[6:7], v[0:1]
	s_cbranch_execz .LBB40_70
; %bb.1:
	s_clause 0x2
	s_load_b32 s24, s[0:1], 0x1c0
	s_load_b32 s16, s[0:1], 0x1a8
	s_load_b64 s[2:3], s[0:1], 0x0
	s_load_b32 s19, s[8:9], 0x0
	s_mov_b32 s38, 0
	s_waitcnt lgkmcnt(0)
	s_ashr_i32 s25, s24, 31
	s_ashr_i32 s17, s16, 31
	s_add_u32 s26, s0, 0xe0
	s_addc_u32 s27, s1, 0
	s_lshl_b64 s[10:11], s[16:17], 2
	v_cvt_f32_u32_e32 v3, s24
	s_add_u32 s15, s10, -8
	s_addc_u32 s18, s11, -1
	s_add_u32 s12, s26, s15
	s_addc_u32 s13, s27, s18
	v_rcp_iflag_f32_e32 v3, v3
	s_load_b32 s28, s[12:13], 0x0
	s_mul_i32 s19, s19, s14
	v_cmp_gt_i64_e64 s37, s[16:17], 2
	s_waitcnt_depctr 0xfff
	v_mul_f32_e32 v3, 0x4f7ffffe, v3
	s_delay_alu instid0(VALU_DEP_1)
	v_cvt_u32_f32_e32 v3, v3
	s_waitcnt lgkmcnt(0)
	s_ashr_i32 s29, s28, 31
	s_add_u32 s12, s10, -4
	s_addc_u32 s13, s11, -1
	s_add_u32 s30, s0, 0x6c
	s_addc_u32 s1, s1, 0
	s_add_u32 s8, s30, s12
	s_addc_u32 s9, s1, s13
	;; [unrolled: 2-line block ×3, first 2 shown]
	s_add_i32 s31, s16, -3
	s_add_u32 s12, s26, s12
	s_addc_u32 s13, s27, s13
	s_add_i32 s0, s16, 6
	s_lshl_b32 s34, s19, 2
	s_and_b32 s33, s0, 7
	s_mov_b32 s15, 0
	s_cmp_lg_u32 s33, 0
	s_cselect_b32 s35, -1, 0
	s_cmp_gt_u32 s31, 6
	s_cselect_b32 s36, -1, 0
	s_sub_i32 s0, 0, s24
	s_delay_alu instid0(SALU_CYCLE_1) | instskip(NEXT) | instid1(VALU_DEP_1)
	v_mul_lo_u32 v4, s0, v3
	v_mul_hi_u32 v4, v3, v4
	s_delay_alu instid0(VALU_DEP_1)
	v_add_nc_u32_e32 v25, v3, v4
	s_branch .LBB40_3
.LBB40_2:                               ;   in Loop: Header=BB40_3 Depth=1
	s_or_b32 exec_lo, exec_lo, s39
	v_add_co_u32 v0, vcc_lo, v0, s34
	v_add_co_ci_u32_e32 v1, vcc_lo, 0, v1, vcc_lo
	s_delay_alu instid0(VALU_DEP_1) | instskip(SKIP_1) | instid1(SALU_CYCLE_1)
	v_cmp_le_i64_e32 vcc_lo, s[6:7], v[0:1]
	s_or_b32 s38, vcc_lo, s38
	s_and_not1_b32 exec_lo, exec_lo, s38
	s_cbranch_execz .LBB40_70
.LBB40_3:                               ; =>This Loop Header: Depth=1
                                        ;     Child Loop BB40_15 Depth 2
                                        ;     Child Loop BB40_24 Depth 2
	v_or_b32_e32 v3, s25, v1
                                        ; implicit-def: $vgpr4_vgpr5
	s_mov_b32 s0, exec_lo
	s_delay_alu instid0(VALU_DEP_1)
	v_cmpx_ne_u64_e32 0, v[2:3]
	s_xor_b32 s14, exec_lo, s0
	s_cbranch_execz .LBB40_5
; %bb.4:                                ;   in Loop: Header=BB40_3 Depth=1
	s_add_u32 s18, s24, s25
	s_mov_b32 s16, s25
	s_mov_b32 s17, s25
	s_addc_u32 s19, s25, s25
	s_delay_alu instid0(SALU_CYCLE_1) | instskip(NEXT) | instid1(SALU_CYCLE_1)
	s_xor_b64 s[18:19], s[18:19], s[16:17]
	v_cvt_f32_u32_e32 v3, s18
	v_cvt_f32_u32_e32 v4, s19
	s_sub_u32 s0, 0, s18
	s_subb_u32 s20, 0, s19
	s_delay_alu instid0(VALU_DEP_1) | instskip(NEXT) | instid1(VALU_DEP_1)
	v_fmac_f32_e32 v3, 0x4f800000, v4
	v_rcp_f32_e32 v3, v3
	s_waitcnt_depctr 0xfff
	v_mul_f32_e32 v3, 0x5f7ffffc, v3
	s_delay_alu instid0(VALU_DEP_1) | instskip(NEXT) | instid1(VALU_DEP_1)
	v_mul_f32_e32 v4, 0x2f800000, v3
	v_trunc_f32_e32 v4, v4
	s_delay_alu instid0(VALU_DEP_1) | instskip(SKIP_1) | instid1(VALU_DEP_2)
	v_fmac_f32_e32 v3, 0xcf800000, v4
	v_cvt_u32_f32_e32 v4, v4
	v_cvt_u32_f32_e32 v3, v3
	s_delay_alu instid0(VALU_DEP_2) | instskip(NEXT) | instid1(VALU_DEP_2)
	v_mul_lo_u32 v5, s0, v4
	v_mul_hi_u32 v6, s0, v3
	v_mul_lo_u32 v7, s20, v3
	s_delay_alu instid0(VALU_DEP_2) | instskip(SKIP_1) | instid1(VALU_DEP_2)
	v_add_nc_u32_e32 v5, v6, v5
	v_mul_lo_u32 v6, s0, v3
	v_add_nc_u32_e32 v5, v5, v7
	s_delay_alu instid0(VALU_DEP_2) | instskip(NEXT) | instid1(VALU_DEP_2)
	v_mul_hi_u32 v7, v3, v6
	v_mul_lo_u32 v8, v3, v5
	v_mul_hi_u32 v9, v3, v5
	v_mul_hi_u32 v10, v4, v6
	v_mul_lo_u32 v6, v4, v6
	v_mul_hi_u32 v11, v4, v5
	v_mul_lo_u32 v5, v4, v5
	v_add_co_u32 v7, vcc_lo, v7, v8
	v_add_co_ci_u32_e32 v8, vcc_lo, 0, v9, vcc_lo
	s_delay_alu instid0(VALU_DEP_2) | instskip(NEXT) | instid1(VALU_DEP_2)
	v_add_co_u32 v6, vcc_lo, v7, v6
	v_add_co_ci_u32_e32 v6, vcc_lo, v8, v10, vcc_lo
	v_add_co_ci_u32_e32 v7, vcc_lo, 0, v11, vcc_lo
	v_ashrrev_i32_e32 v10, 31, v1
	s_delay_alu instid0(VALU_DEP_3) | instskip(NEXT) | instid1(VALU_DEP_3)
	v_add_co_u32 v5, vcc_lo, v6, v5
	v_add_co_ci_u32_e32 v6, vcc_lo, 0, v7, vcc_lo
	s_delay_alu instid0(VALU_DEP_2) | instskip(NEXT) | instid1(VALU_DEP_2)
	v_add_co_u32 v3, vcc_lo, v3, v5
	v_add_co_ci_u32_e32 v4, vcc_lo, v4, v6, vcc_lo
	s_delay_alu instid0(VALU_DEP_2) | instskip(SKIP_1) | instid1(VALU_DEP_3)
	v_mul_hi_u32 v5, s0, v3
	v_mul_lo_u32 v7, s20, v3
	v_mul_lo_u32 v6, s0, v4
	s_delay_alu instid0(VALU_DEP_1) | instskip(SKIP_1) | instid1(VALU_DEP_2)
	v_add_nc_u32_e32 v5, v5, v6
	v_mul_lo_u32 v6, s0, v3
	v_add_nc_u32_e32 v5, v5, v7
	s_delay_alu instid0(VALU_DEP_2) | instskip(NEXT) | instid1(VALU_DEP_2)
	v_mul_hi_u32 v7, v3, v6
	v_mul_lo_u32 v8, v3, v5
	v_mul_hi_u32 v9, v3, v5
	v_mul_hi_u32 v11, v4, v6
	v_mul_lo_u32 v6, v4, v6
	v_mul_hi_u32 v12, v4, v5
	v_mul_lo_u32 v5, v4, v5
	v_add_co_u32 v7, vcc_lo, v7, v8
	v_add_co_ci_u32_e32 v8, vcc_lo, 0, v9, vcc_lo
	s_delay_alu instid0(VALU_DEP_2) | instskip(NEXT) | instid1(VALU_DEP_2)
	v_add_co_u32 v6, vcc_lo, v7, v6
	v_add_co_ci_u32_e32 v6, vcc_lo, v8, v11, vcc_lo
	v_add_co_ci_u32_e32 v7, vcc_lo, 0, v12, vcc_lo
	v_add_co_u32 v8, vcc_lo, v0, v10
	v_add_co_ci_u32_e32 v9, vcc_lo, v1, v10, vcc_lo
	s_delay_alu instid0(VALU_DEP_4) | instskip(NEXT) | instid1(VALU_DEP_4)
	v_add_co_u32 v5, vcc_lo, v6, v5
	v_add_co_ci_u32_e32 v6, vcc_lo, 0, v7, vcc_lo
	s_delay_alu instid0(VALU_DEP_4) | instskip(NEXT) | instid1(VALU_DEP_3)
	v_xor_b32_e32 v11, v8, v10
	v_add_co_u32 v7, vcc_lo, v3, v5
	s_delay_alu instid0(VALU_DEP_3) | instskip(SKIP_1) | instid1(VALU_DEP_3)
	v_add_co_ci_u32_e32 v12, vcc_lo, v4, v6, vcc_lo
	v_xor_b32_e32 v9, v9, v10
	v_mul_hi_u32 v13, v11, v7
	s_delay_alu instid0(VALU_DEP_3) | instskip(NEXT) | instid1(VALU_DEP_3)
	v_mad_u64_u32 v[3:4], null, v11, v12, 0
	v_mad_u64_u32 v[5:6], null, v9, v7, 0
	;; [unrolled: 1-line block ×3, first 2 shown]
	s_delay_alu instid0(VALU_DEP_3) | instskip(NEXT) | instid1(VALU_DEP_4)
	v_add_co_u32 v3, vcc_lo, v13, v3
	v_add_co_ci_u32_e32 v4, vcc_lo, 0, v4, vcc_lo
	s_delay_alu instid0(VALU_DEP_2) | instskip(NEXT) | instid1(VALU_DEP_2)
	v_add_co_u32 v3, vcc_lo, v3, v5
	v_add_co_ci_u32_e32 v3, vcc_lo, v4, v6, vcc_lo
	v_add_co_ci_u32_e32 v4, vcc_lo, 0, v8, vcc_lo
	s_delay_alu instid0(VALU_DEP_2) | instskip(NEXT) | instid1(VALU_DEP_2)
	v_add_co_u32 v5, vcc_lo, v3, v7
	v_add_co_ci_u32_e32 v6, vcc_lo, 0, v4, vcc_lo
	s_delay_alu instid0(VALU_DEP_2) | instskip(SKIP_1) | instid1(VALU_DEP_3)
	v_mul_lo_u32 v7, s19, v5
	v_mad_u64_u32 v[3:4], null, s18, v5, 0
	v_mul_lo_u32 v8, s18, v6
	s_delay_alu instid0(VALU_DEP_2) | instskip(NEXT) | instid1(VALU_DEP_2)
	v_sub_co_u32 v3, vcc_lo, v11, v3
	v_add3_u32 v4, v4, v8, v7
	s_delay_alu instid0(VALU_DEP_1) | instskip(NEXT) | instid1(VALU_DEP_1)
	v_sub_nc_u32_e32 v7, v9, v4
	v_subrev_co_ci_u32_e64 v7, s0, s19, v7, vcc_lo
	v_add_co_u32 v8, s0, v5, 2
	s_delay_alu instid0(VALU_DEP_1) | instskip(SKIP_3) | instid1(VALU_DEP_3)
	v_add_co_ci_u32_e64 v11, s0, 0, v6, s0
	v_sub_co_u32 v12, s0, v3, s18
	v_sub_co_ci_u32_e32 v4, vcc_lo, v9, v4, vcc_lo
	v_subrev_co_ci_u32_e64 v7, s0, 0, v7, s0
	v_cmp_le_u32_e32 vcc_lo, s18, v12
	s_delay_alu instid0(VALU_DEP_3) | instskip(SKIP_1) | instid1(VALU_DEP_4)
	v_cmp_eq_u32_e64 s0, s19, v4
	v_cndmask_b32_e64 v9, 0, -1, vcc_lo
	v_cmp_le_u32_e32 vcc_lo, s19, v7
	v_cndmask_b32_e64 v12, 0, -1, vcc_lo
	v_cmp_le_u32_e32 vcc_lo, s18, v3
	;; [unrolled: 2-line block ×3, first 2 shown]
	v_cndmask_b32_e64 v13, 0, -1, vcc_lo
	v_cmp_eq_u32_e32 vcc_lo, s19, v7
	s_delay_alu instid0(VALU_DEP_2) | instskip(SKIP_3) | instid1(VALU_DEP_3)
	v_cndmask_b32_e64 v3, v13, v3, s0
	v_cndmask_b32_e32 v7, v12, v9, vcc_lo
	v_add_co_u32 v9, vcc_lo, v5, 1
	v_add_co_ci_u32_e32 v12, vcc_lo, 0, v6, vcc_lo
	v_cmp_ne_u32_e32 vcc_lo, 0, v7
	s_delay_alu instid0(VALU_DEP_2) | instskip(SKIP_2) | instid1(VALU_DEP_3)
	v_dual_cndmask_b32 v4, v12, v11 :: v_dual_cndmask_b32 v7, v9, v8
	v_cmp_ne_u32_e32 vcc_lo, 0, v3
	v_xor_b32_e32 v3, s16, v10
	v_dual_cndmask_b32 v5, v5, v7 :: v_dual_cndmask_b32 v4, v6, v4
	v_xor_b32_e32 v6, s17, v10
	s_delay_alu instid0(VALU_DEP_2) | instskip(NEXT) | instid1(VALU_DEP_2)
	v_xor_b32_e32 v5, v5, v3
	v_xor_b32_e32 v7, v4, v6
	s_delay_alu instid0(VALU_DEP_2) | instskip(NEXT) | instid1(VALU_DEP_2)
	v_sub_co_u32 v4, vcc_lo, v5, v3
	v_sub_co_ci_u32_e32 v5, vcc_lo, v7, v6, vcc_lo
.LBB40_5:                               ;   in Loop: Header=BB40_3 Depth=1
	s_and_not1_saveexec_b32 s0, s14
; %bb.6:                                ;   in Loop: Header=BB40_3 Depth=1
	v_mul_hi_u32 v3, v0, v25
	s_delay_alu instid0(VALU_DEP_1) | instskip(NEXT) | instid1(VALU_DEP_1)
	v_mul_lo_u32 v4, v3, s24
	v_sub_nc_u32_e32 v4, v0, v4
	s_delay_alu instid0(VALU_DEP_1) | instskip(SKIP_1) | instid1(VALU_DEP_2)
	v_subrev_nc_u32_e32 v6, s24, v4
	v_cmp_le_u32_e32 vcc_lo, s24, v4
	v_dual_cndmask_b32 v4, v4, v6 :: v_dual_add_nc_u32 v5, 1, v3
	s_delay_alu instid0(VALU_DEP_1) | instskip(NEXT) | instid1(VALU_DEP_2)
	v_cndmask_b32_e32 v3, v3, v5, vcc_lo
	v_cmp_le_u32_e32 vcc_lo, s24, v4
	s_delay_alu instid0(VALU_DEP_2) | instskip(NEXT) | instid1(VALU_DEP_1)
	v_add_nc_u32_e32 v5, 1, v3
	v_dual_cndmask_b32 v4, v3, v5 :: v_dual_mov_b32 v5, v2
; %bb.7:                                ;   in Loop: Header=BB40_3 Depth=1
	s_or_b32 exec_lo, exec_lo, s0
	s_delay_alu instid0(VALU_DEP_1) | instskip(SKIP_1) | instid1(VALU_DEP_1)
	v_or_b32_e32 v3, s29, v5
                                        ; implicit-def: $vgpr7_vgpr8
	s_mov_b32 s0, exec_lo
	v_cmpx_ne_u64_e32 0, v[2:3]
	s_xor_b32 s14, exec_lo, s0
	s_cbranch_execz .LBB40_9
; %bb.8:                                ;   in Loop: Header=BB40_3 Depth=1
	s_add_u32 s18, s28, s29
	s_mov_b32 s16, s29
	s_mov_b32 s17, s29
	s_addc_u32 s19, s29, s29
	s_delay_alu instid0(SALU_CYCLE_1) | instskip(NEXT) | instid1(SALU_CYCLE_1)
	s_xor_b64 s[18:19], s[18:19], s[16:17]
	v_cvt_f32_u32_e32 v3, s18
	v_cvt_f32_u32_e32 v6, s19
	s_sub_u32 s0, 0, s18
	s_subb_u32 s20, 0, s19
	s_delay_alu instid0(VALU_DEP_1) | instskip(NEXT) | instid1(VALU_DEP_1)
	v_fmac_f32_e32 v3, 0x4f800000, v6
	v_rcp_f32_e32 v3, v3
	s_waitcnt_depctr 0xfff
	v_mul_f32_e32 v3, 0x5f7ffffc, v3
	s_delay_alu instid0(VALU_DEP_1) | instskip(NEXT) | instid1(VALU_DEP_1)
	v_mul_f32_e32 v6, 0x2f800000, v3
	v_trunc_f32_e32 v6, v6
	s_delay_alu instid0(VALU_DEP_1) | instskip(SKIP_1) | instid1(VALU_DEP_2)
	v_fmac_f32_e32 v3, 0xcf800000, v6
	v_cvt_u32_f32_e32 v6, v6
	v_cvt_u32_f32_e32 v3, v3
	s_delay_alu instid0(VALU_DEP_2) | instskip(NEXT) | instid1(VALU_DEP_2)
	v_mul_lo_u32 v7, s0, v6
	v_mul_hi_u32 v8, s0, v3
	v_mul_lo_u32 v9, s20, v3
	s_delay_alu instid0(VALU_DEP_2) | instskip(SKIP_1) | instid1(VALU_DEP_2)
	v_add_nc_u32_e32 v7, v8, v7
	v_mul_lo_u32 v8, s0, v3
	v_add_nc_u32_e32 v7, v7, v9
	s_delay_alu instid0(VALU_DEP_2) | instskip(NEXT) | instid1(VALU_DEP_2)
	v_mul_hi_u32 v9, v3, v8
	v_mul_lo_u32 v10, v3, v7
	v_mul_hi_u32 v11, v3, v7
	v_mul_hi_u32 v12, v6, v8
	v_mul_lo_u32 v8, v6, v8
	v_mul_hi_u32 v13, v6, v7
	v_mul_lo_u32 v7, v6, v7
	v_add_co_u32 v9, vcc_lo, v9, v10
	v_add_co_ci_u32_e32 v10, vcc_lo, 0, v11, vcc_lo
	s_delay_alu instid0(VALU_DEP_2) | instskip(NEXT) | instid1(VALU_DEP_2)
	v_add_co_u32 v8, vcc_lo, v9, v8
	v_add_co_ci_u32_e32 v8, vcc_lo, v10, v12, vcc_lo
	v_add_co_ci_u32_e32 v9, vcc_lo, 0, v13, vcc_lo
	v_ashrrev_i32_e32 v12, 31, v5
	s_delay_alu instid0(VALU_DEP_3) | instskip(NEXT) | instid1(VALU_DEP_3)
	v_add_co_u32 v7, vcc_lo, v8, v7
	v_add_co_ci_u32_e32 v8, vcc_lo, 0, v9, vcc_lo
	s_delay_alu instid0(VALU_DEP_2) | instskip(NEXT) | instid1(VALU_DEP_2)
	v_add_co_u32 v3, vcc_lo, v3, v7
	v_add_co_ci_u32_e32 v6, vcc_lo, v6, v8, vcc_lo
	s_delay_alu instid0(VALU_DEP_2) | instskip(SKIP_1) | instid1(VALU_DEP_3)
	v_mul_hi_u32 v7, s0, v3
	v_mul_lo_u32 v9, s20, v3
	v_mul_lo_u32 v8, s0, v6
	s_delay_alu instid0(VALU_DEP_1) | instskip(SKIP_1) | instid1(VALU_DEP_2)
	v_add_nc_u32_e32 v7, v7, v8
	v_mul_lo_u32 v8, s0, v3
	v_add_nc_u32_e32 v7, v7, v9
	s_delay_alu instid0(VALU_DEP_2) | instskip(NEXT) | instid1(VALU_DEP_2)
	v_mul_hi_u32 v9, v3, v8
	v_mul_lo_u32 v10, v3, v7
	v_mul_hi_u32 v11, v3, v7
	v_mul_hi_u32 v13, v6, v8
	v_mul_lo_u32 v8, v6, v8
	v_mul_hi_u32 v14, v6, v7
	v_mul_lo_u32 v7, v6, v7
	v_add_co_u32 v9, vcc_lo, v9, v10
	v_add_co_ci_u32_e32 v10, vcc_lo, 0, v11, vcc_lo
	s_delay_alu instid0(VALU_DEP_2) | instskip(NEXT) | instid1(VALU_DEP_2)
	v_add_co_u32 v8, vcc_lo, v9, v8
	v_add_co_ci_u32_e32 v8, vcc_lo, v10, v13, vcc_lo
	v_add_co_ci_u32_e32 v9, vcc_lo, 0, v14, vcc_lo
	v_add_co_u32 v10, vcc_lo, v4, v12
	v_add_co_ci_u32_e32 v5, vcc_lo, v5, v12, vcc_lo
	s_delay_alu instid0(VALU_DEP_4) | instskip(NEXT) | instid1(VALU_DEP_4)
	v_add_co_u32 v7, vcc_lo, v8, v7
	v_add_co_ci_u32_e32 v8, vcc_lo, 0, v9, vcc_lo
	s_delay_alu instid0(VALU_DEP_4) | instskip(NEXT) | instid1(VALU_DEP_3)
	v_xor_b32_e32 v11, v10, v12
	v_add_co_u32 v3, vcc_lo, v3, v7
	s_delay_alu instid0(VALU_DEP_3) | instskip(SKIP_1) | instid1(VALU_DEP_3)
	v_add_co_ci_u32_e32 v13, vcc_lo, v6, v8, vcc_lo
	v_xor_b32_e32 v14, v5, v12
	v_mul_hi_u32 v15, v11, v3
	s_delay_alu instid0(VALU_DEP_3) | instskip(NEXT) | instid1(VALU_DEP_3)
	v_mad_u64_u32 v[5:6], null, v11, v13, 0
	v_mad_u64_u32 v[7:8], null, v14, v3, 0
	;; [unrolled: 1-line block ×3, first 2 shown]
	s_delay_alu instid0(VALU_DEP_3) | instskip(NEXT) | instid1(VALU_DEP_4)
	v_add_co_u32 v3, vcc_lo, v15, v5
	v_add_co_ci_u32_e32 v5, vcc_lo, 0, v6, vcc_lo
	s_delay_alu instid0(VALU_DEP_2) | instskip(NEXT) | instid1(VALU_DEP_2)
	v_add_co_u32 v3, vcc_lo, v3, v7
	v_add_co_ci_u32_e32 v3, vcc_lo, v5, v8, vcc_lo
	v_add_co_ci_u32_e32 v5, vcc_lo, 0, v10, vcc_lo
	s_delay_alu instid0(VALU_DEP_2) | instskip(NEXT) | instid1(VALU_DEP_2)
	v_add_co_u32 v3, vcc_lo, v3, v9
	v_add_co_ci_u32_e32 v7, vcc_lo, 0, v5, vcc_lo
	s_delay_alu instid0(VALU_DEP_2) | instskip(SKIP_1) | instid1(VALU_DEP_3)
	v_mul_lo_u32 v8, s19, v3
	v_mad_u64_u32 v[5:6], null, s18, v3, 0
	v_mul_lo_u32 v9, s18, v7
	s_delay_alu instid0(VALU_DEP_2) | instskip(NEXT) | instid1(VALU_DEP_2)
	v_sub_co_u32 v5, vcc_lo, v11, v5
	v_add3_u32 v6, v6, v9, v8
	s_delay_alu instid0(VALU_DEP_1) | instskip(NEXT) | instid1(VALU_DEP_1)
	v_sub_nc_u32_e32 v8, v14, v6
	v_subrev_co_ci_u32_e64 v8, s0, s19, v8, vcc_lo
	v_add_co_u32 v9, s0, v3, 2
	s_delay_alu instid0(VALU_DEP_1) | instskip(SKIP_3) | instid1(VALU_DEP_3)
	v_add_co_ci_u32_e64 v10, s0, 0, v7, s0
	v_sub_co_u32 v11, s0, v5, s18
	v_sub_co_ci_u32_e32 v6, vcc_lo, v14, v6, vcc_lo
	v_subrev_co_ci_u32_e64 v8, s0, 0, v8, s0
	v_cmp_le_u32_e32 vcc_lo, s18, v11
	s_delay_alu instid0(VALU_DEP_3) | instskip(SKIP_1) | instid1(VALU_DEP_4)
	v_cmp_eq_u32_e64 s0, s19, v6
	v_cndmask_b32_e64 v11, 0, -1, vcc_lo
	v_cmp_le_u32_e32 vcc_lo, s19, v8
	v_cndmask_b32_e64 v13, 0, -1, vcc_lo
	v_cmp_le_u32_e32 vcc_lo, s18, v5
	;; [unrolled: 2-line block ×3, first 2 shown]
	v_cndmask_b32_e64 v14, 0, -1, vcc_lo
	v_cmp_eq_u32_e32 vcc_lo, s19, v8
	s_delay_alu instid0(VALU_DEP_2) | instskip(SKIP_3) | instid1(VALU_DEP_3)
	v_cndmask_b32_e64 v5, v14, v5, s0
	v_cndmask_b32_e32 v8, v13, v11, vcc_lo
	v_add_co_u32 v11, vcc_lo, v3, 1
	v_add_co_ci_u32_e32 v13, vcc_lo, 0, v7, vcc_lo
	v_cmp_ne_u32_e32 vcc_lo, 0, v8
	s_delay_alu instid0(VALU_DEP_3) | instskip(NEXT) | instid1(VALU_DEP_3)
	v_cndmask_b32_e32 v8, v11, v9, vcc_lo
	v_cndmask_b32_e32 v6, v13, v10, vcc_lo
	v_cmp_ne_u32_e32 vcc_lo, 0, v5
	v_xor_b32_e32 v5, s16, v12
	s_delay_alu instid0(VALU_DEP_4) | instskip(NEXT) | instid1(VALU_DEP_4)
	v_cndmask_b32_e32 v3, v3, v8, vcc_lo
	v_cndmask_b32_e32 v6, v7, v6, vcc_lo
	v_xor_b32_e32 v8, s17, v12
	s_delay_alu instid0(VALU_DEP_3) | instskip(NEXT) | instid1(VALU_DEP_2)
	v_xor_b32_e32 v3, v3, v5
	v_xor_b32_e32 v6, v6, v8
	s_delay_alu instid0(VALU_DEP_2) | instskip(NEXT) | instid1(VALU_DEP_2)
	v_sub_co_u32 v7, vcc_lo, v3, v5
	v_sub_co_ci_u32_e32 v8, vcc_lo, v6, v8, vcc_lo
.LBB40_9:                               ;   in Loop: Header=BB40_3 Depth=1
	s_and_not1_saveexec_b32 s0, s14
	s_cbranch_execz .LBB40_11
; %bb.10:                               ;   in Loop: Header=BB40_3 Depth=1
	v_cvt_f32_u32_e32 v3, s28
	s_sub_i32 s14, 0, s28
	v_mov_b32_e32 v8, v2
	s_delay_alu instid0(VALU_DEP_2) | instskip(SKIP_2) | instid1(VALU_DEP_1)
	v_rcp_iflag_f32_e32 v3, v3
	s_waitcnt_depctr 0xfff
	v_mul_f32_e32 v3, 0x4f7ffffe, v3
	v_cvt_u32_f32_e32 v3, v3
	s_delay_alu instid0(VALU_DEP_1) | instskip(NEXT) | instid1(VALU_DEP_1)
	v_mul_lo_u32 v5, s14, v3
	v_mul_hi_u32 v5, v3, v5
	s_delay_alu instid0(VALU_DEP_1) | instskip(NEXT) | instid1(VALU_DEP_1)
	v_add_nc_u32_e32 v3, v3, v5
	v_mul_hi_u32 v3, v4, v3
	s_delay_alu instid0(VALU_DEP_1) | instskip(SKIP_1) | instid1(VALU_DEP_2)
	v_mul_lo_u32 v5, v3, s28
	v_add_nc_u32_e32 v6, 1, v3
	v_sub_nc_u32_e32 v5, v4, v5
	s_delay_alu instid0(VALU_DEP_1) | instskip(SKIP_1) | instid1(VALU_DEP_2)
	v_subrev_nc_u32_e32 v7, s28, v5
	v_cmp_le_u32_e32 vcc_lo, s28, v5
	v_cndmask_b32_e32 v5, v5, v7, vcc_lo
	v_cndmask_b32_e32 v3, v3, v6, vcc_lo
	s_delay_alu instid0(VALU_DEP_2) | instskip(NEXT) | instid1(VALU_DEP_2)
	v_cmp_le_u32_e32 vcc_lo, s28, v5
	v_add_nc_u32_e32 v6, 1, v3
	s_delay_alu instid0(VALU_DEP_1)
	v_cndmask_b32_e32 v7, v3, v6, vcc_lo
.LBB40_11:                              ;   in Loop: Header=BB40_3 Depth=1
	s_or_b32 exec_lo, exec_lo, s0
	v_mad_u64_u32 v[5:6], null, v4, s24, 0
	s_delay_alu instid0(VALU_DEP_2) | instskip(SKIP_1) | instid1(VALU_DEP_2)
	v_mad_u64_u32 v[9:10], null, v7, s28, 0
	s_mov_b32 s39, exec_lo
	v_sub_co_u32 v27, null, v0, v5
	s_delay_alu instid0(VALU_DEP_2) | instskip(NEXT) | instid1(VALU_DEP_1)
	v_sub_co_u32 v26, null, v4, v9
	v_sub_nc_u32_e32 v6, v27, v26
	s_delay_alu instid0(VALU_DEP_1) | instskip(NEXT) | instid1(VALU_DEP_1)
	v_add_nc_u32_e32 v3, 4, v6
	v_ashrrev_i32_e32 v4, 31, v3
	s_delay_alu instid0(VALU_DEP_1)
	v_cmpx_lt_i64_e64 s[4:5], v[3:4]
	s_cbranch_execz .LBB40_2
; %bb.12:                               ;   in Loop: Header=BB40_3 Depth=1
	s_clause 0x1
	s_load_b32 s40, s[8:9], 0x0
	s_load_b32 s0, s[10:11], 0x0
	s_and_not1_b32 vcc_lo, exec_lo, s37
	s_waitcnt lgkmcnt(0)
	v_mul_lo_u32 v3, s40, v27
	s_delay_alu instid0(VALU_DEP_1)
	v_mad_u64_u32 v[4:5], null, s0, v26, v[3:4]
	s_cbranch_vccnz .LBB40_58
; %bb.13:                               ;   in Loop: Header=BB40_3 Depth=1
	s_and_not1_b32 vcc_lo, exec_lo, s35
	s_cbranch_vccnz .LBB40_21
; %bb.14:                               ;   in Loop: Header=BB40_3 Depth=1
	v_dual_mov_b32 v10, v8 :: v_dual_mov_b32 v9, v7
	s_mov_b32 s22, s33
	s_mov_b32 s14, s31
.LBB40_15:                              ;   Parent Loop BB40_3 Depth=1
                                        ; =>  This Inner Loop Header: Depth=2
	s_delay_alu instid0(SALU_CYCLE_1) | instskip(NEXT) | instid1(SALU_CYCLE_1)
	s_lshl_b64 s[16:17], s[14:15], 2
                                        ; implicit-def: $vgpr7_vgpr8
	s_add_u32 s18, s26, s16
	s_addc_u32 s19, s27, s17
	s_load_b32 s23, s[18:19], 0x0
	s_mov_b32 s18, exec_lo
	s_waitcnt lgkmcnt(0)
	s_ashr_i32 s0, s23, 31
	s_delay_alu instid0(SALU_CYCLE_1) | instskip(NEXT) | instid1(VALU_DEP_1)
	v_or_b32_e32 v3, s0, v10
	v_cmpx_ne_u64_e32 0, v[2:3]
	s_xor_b32 s41, exec_lo, s18
	s_cbranch_execz .LBB40_17
; %bb.16:                               ;   in Loop: Header=BB40_15 Depth=2
	s_add_u32 s20, s23, s0
	s_mov_b32 s18, s0
	s_mov_b32 s19, s0
	s_addc_u32 s21, s0, s0
	s_delay_alu instid0(SALU_CYCLE_1) | instskip(NEXT) | instid1(SALU_CYCLE_1)
	s_xor_b64 s[20:21], s[20:21], s[18:19]
	v_cvt_f32_u32_e32 v3, s20
	v_cvt_f32_u32_e32 v5, s21
	s_sub_u32 s0, 0, s20
	s_subb_u32 s42, 0, s21
	s_delay_alu instid0(VALU_DEP_1) | instskip(NEXT) | instid1(VALU_DEP_1)
	v_fmac_f32_e32 v3, 0x4f800000, v5
	v_rcp_f32_e32 v3, v3
	s_waitcnt_depctr 0xfff
	v_mul_f32_e32 v3, 0x5f7ffffc, v3
	s_delay_alu instid0(VALU_DEP_1) | instskip(NEXT) | instid1(VALU_DEP_1)
	v_mul_f32_e32 v5, 0x2f800000, v3
	v_trunc_f32_e32 v5, v5
	s_delay_alu instid0(VALU_DEP_1) | instskip(SKIP_1) | instid1(VALU_DEP_2)
	v_fmac_f32_e32 v3, 0xcf800000, v5
	v_cvt_u32_f32_e32 v5, v5
	v_cvt_u32_f32_e32 v3, v3
	s_delay_alu instid0(VALU_DEP_2) | instskip(NEXT) | instid1(VALU_DEP_2)
	v_mul_lo_u32 v7, s0, v5
	v_mul_hi_u32 v8, s0, v3
	v_mul_lo_u32 v11, s42, v3
	s_delay_alu instid0(VALU_DEP_2) | instskip(SKIP_1) | instid1(VALU_DEP_2)
	v_add_nc_u32_e32 v7, v8, v7
	v_mul_lo_u32 v8, s0, v3
	v_add_nc_u32_e32 v7, v7, v11
	s_delay_alu instid0(VALU_DEP_2) | instskip(NEXT) | instid1(VALU_DEP_2)
	v_mul_hi_u32 v11, v3, v8
	v_mul_lo_u32 v12, v3, v7
	v_mul_hi_u32 v13, v3, v7
	v_mul_hi_u32 v14, v5, v8
	v_mul_lo_u32 v8, v5, v8
	v_mul_hi_u32 v15, v5, v7
	v_mul_lo_u32 v7, v5, v7
	v_add_co_u32 v11, vcc_lo, v11, v12
	v_add_co_ci_u32_e32 v12, vcc_lo, 0, v13, vcc_lo
	s_delay_alu instid0(VALU_DEP_2) | instskip(NEXT) | instid1(VALU_DEP_2)
	v_add_co_u32 v8, vcc_lo, v11, v8
	v_add_co_ci_u32_e32 v8, vcc_lo, v12, v14, vcc_lo
	v_add_co_ci_u32_e32 v11, vcc_lo, 0, v15, vcc_lo
	v_ashrrev_i32_e32 v14, 31, v10
	s_delay_alu instid0(VALU_DEP_3) | instskip(NEXT) | instid1(VALU_DEP_3)
	v_add_co_u32 v7, vcc_lo, v8, v7
	v_add_co_ci_u32_e32 v8, vcc_lo, 0, v11, vcc_lo
	s_delay_alu instid0(VALU_DEP_2) | instskip(NEXT) | instid1(VALU_DEP_2)
	v_add_co_u32 v3, vcc_lo, v3, v7
	v_add_co_ci_u32_e32 v5, vcc_lo, v5, v8, vcc_lo
	s_delay_alu instid0(VALU_DEP_2) | instskip(SKIP_1) | instid1(VALU_DEP_3)
	v_mul_hi_u32 v7, s0, v3
	v_mul_lo_u32 v11, s42, v3
	v_mul_lo_u32 v8, s0, v5
	s_delay_alu instid0(VALU_DEP_1) | instskip(SKIP_1) | instid1(VALU_DEP_2)
	v_add_nc_u32_e32 v7, v7, v8
	v_mul_lo_u32 v8, s0, v3
	v_add_nc_u32_e32 v7, v7, v11
	s_delay_alu instid0(VALU_DEP_2) | instskip(NEXT) | instid1(VALU_DEP_2)
	v_mul_hi_u32 v11, v3, v8
	v_mul_lo_u32 v12, v3, v7
	v_mul_hi_u32 v13, v3, v7
	v_mul_hi_u32 v15, v5, v8
	v_mul_lo_u32 v8, v5, v8
	v_mul_hi_u32 v16, v5, v7
	v_mul_lo_u32 v7, v5, v7
	v_add_co_u32 v11, vcc_lo, v11, v12
	v_add_co_ci_u32_e32 v12, vcc_lo, 0, v13, vcc_lo
	s_delay_alu instid0(VALU_DEP_2) | instskip(NEXT) | instid1(VALU_DEP_2)
	v_add_co_u32 v8, vcc_lo, v11, v8
	v_add_co_ci_u32_e32 v8, vcc_lo, v12, v15, vcc_lo
	v_add_co_ci_u32_e32 v11, vcc_lo, 0, v16, vcc_lo
	v_add_co_u32 v12, vcc_lo, v9, v14
	v_add_co_ci_u32_e32 v10, vcc_lo, v10, v14, vcc_lo
	s_delay_alu instid0(VALU_DEP_4) | instskip(NEXT) | instid1(VALU_DEP_4)
	v_add_co_u32 v7, vcc_lo, v8, v7
	v_add_co_ci_u32_e32 v8, vcc_lo, 0, v11, vcc_lo
	s_delay_alu instid0(VALU_DEP_4) | instskip(NEXT) | instid1(VALU_DEP_3)
	v_xor_b32_e32 v15, v12, v14
	v_add_co_u32 v3, vcc_lo, v3, v7
	s_delay_alu instid0(VALU_DEP_3) | instskip(SKIP_1) | instid1(VALU_DEP_3)
	v_add_co_ci_u32_e32 v5, vcc_lo, v5, v8, vcc_lo
	v_xor_b32_e32 v16, v10, v14
	v_mul_hi_u32 v17, v15, v3
	s_delay_alu instid0(VALU_DEP_3) | instskip(NEXT) | instid1(VALU_DEP_3)
	v_mad_u64_u32 v[7:8], null, v15, v5, 0
	v_mad_u64_u32 v[10:11], null, v16, v3, 0
	;; [unrolled: 1-line block ×3, first 2 shown]
	s_delay_alu instid0(VALU_DEP_3) | instskip(NEXT) | instid1(VALU_DEP_4)
	v_add_co_u32 v3, vcc_lo, v17, v7
	v_add_co_ci_u32_e32 v5, vcc_lo, 0, v8, vcc_lo
	s_delay_alu instid0(VALU_DEP_2) | instskip(NEXT) | instid1(VALU_DEP_2)
	v_add_co_u32 v3, vcc_lo, v3, v10
	v_add_co_ci_u32_e32 v3, vcc_lo, v5, v11, vcc_lo
	v_add_co_ci_u32_e32 v5, vcc_lo, 0, v13, vcc_lo
	s_delay_alu instid0(VALU_DEP_2) | instskip(NEXT) | instid1(VALU_DEP_2)
	v_add_co_u32 v3, vcc_lo, v3, v12
	v_add_co_ci_u32_e32 v5, vcc_lo, 0, v5, vcc_lo
	s_delay_alu instid0(VALU_DEP_2) | instskip(SKIP_1) | instid1(VALU_DEP_3)
	v_mul_lo_u32 v10, s21, v3
	v_mad_u64_u32 v[7:8], null, s20, v3, 0
	v_mul_lo_u32 v11, s20, v5
	s_delay_alu instid0(VALU_DEP_2) | instskip(NEXT) | instid1(VALU_DEP_2)
	v_sub_co_u32 v7, vcc_lo, v15, v7
	v_add3_u32 v8, v8, v11, v10
	s_delay_alu instid0(VALU_DEP_1) | instskip(NEXT) | instid1(VALU_DEP_1)
	v_sub_nc_u32_e32 v10, v16, v8
	v_subrev_co_ci_u32_e64 v10, s0, s21, v10, vcc_lo
	v_add_co_u32 v11, s0, v3, 2
	s_delay_alu instid0(VALU_DEP_1) | instskip(SKIP_3) | instid1(VALU_DEP_3)
	v_add_co_ci_u32_e64 v12, s0, 0, v5, s0
	v_sub_co_u32 v13, s0, v7, s20
	v_sub_co_ci_u32_e32 v8, vcc_lo, v16, v8, vcc_lo
	v_subrev_co_ci_u32_e64 v10, s0, 0, v10, s0
	v_cmp_le_u32_e32 vcc_lo, s20, v13
	s_delay_alu instid0(VALU_DEP_3) | instskip(SKIP_1) | instid1(VALU_DEP_4)
	v_cmp_eq_u32_e64 s0, s21, v8
	v_cndmask_b32_e64 v13, 0, -1, vcc_lo
	v_cmp_le_u32_e32 vcc_lo, s21, v10
	v_cndmask_b32_e64 v15, 0, -1, vcc_lo
	v_cmp_le_u32_e32 vcc_lo, s20, v7
	;; [unrolled: 2-line block ×3, first 2 shown]
	v_cndmask_b32_e64 v16, 0, -1, vcc_lo
	v_cmp_eq_u32_e32 vcc_lo, s21, v10
	s_delay_alu instid0(VALU_DEP_2) | instskip(SKIP_3) | instid1(VALU_DEP_3)
	v_cndmask_b32_e64 v7, v16, v7, s0
	v_cndmask_b32_e32 v10, v15, v13, vcc_lo
	v_add_co_u32 v13, vcc_lo, v3, 1
	v_add_co_ci_u32_e32 v15, vcc_lo, 0, v5, vcc_lo
	v_cmp_ne_u32_e32 vcc_lo, 0, v10
	s_delay_alu instid0(VALU_DEP_3) | instskip(NEXT) | instid1(VALU_DEP_3)
	v_cndmask_b32_e32 v10, v13, v11, vcc_lo
	v_cndmask_b32_e32 v8, v15, v12, vcc_lo
	v_cmp_ne_u32_e32 vcc_lo, 0, v7
	v_xor_b32_e32 v7, s18, v14
	s_delay_alu instid0(VALU_DEP_4) | instskip(NEXT) | instid1(VALU_DEP_4)
	v_cndmask_b32_e32 v3, v3, v10, vcc_lo
	v_cndmask_b32_e32 v5, v5, v8, vcc_lo
	v_xor_b32_e32 v8, s19, v14
	s_delay_alu instid0(VALU_DEP_3) | instskip(NEXT) | instid1(VALU_DEP_2)
	v_xor_b32_e32 v3, v3, v7
	v_xor_b32_e32 v5, v5, v8
	s_delay_alu instid0(VALU_DEP_2) | instskip(NEXT) | instid1(VALU_DEP_2)
	v_sub_co_u32 v7, vcc_lo, v3, v7
	v_sub_co_ci_u32_e32 v8, vcc_lo, v5, v8, vcc_lo
.LBB40_17:                              ;   in Loop: Header=BB40_15 Depth=2
	s_and_not1_saveexec_b32 s0, s41
	s_cbranch_execz .LBB40_19
; %bb.18:                               ;   in Loop: Header=BB40_15 Depth=2
	v_cvt_f32_u32_e32 v3, s23
	s_sub_i32 s18, 0, s23
	s_delay_alu instid0(VALU_DEP_1) | instskip(SKIP_2) | instid1(VALU_DEP_1)
	v_rcp_iflag_f32_e32 v3, v3
	s_waitcnt_depctr 0xfff
	v_mul_f32_e32 v3, 0x4f7ffffe, v3
	v_cvt_u32_f32_e32 v3, v3
	s_delay_alu instid0(VALU_DEP_1) | instskip(NEXT) | instid1(VALU_DEP_1)
	v_mul_lo_u32 v5, s18, v3
	v_mul_hi_u32 v5, v3, v5
	s_delay_alu instid0(VALU_DEP_1) | instskip(NEXT) | instid1(VALU_DEP_1)
	v_add_nc_u32_e32 v3, v3, v5
	v_mul_hi_u32 v3, v9, v3
	s_delay_alu instid0(VALU_DEP_1) | instskip(SKIP_1) | instid1(VALU_DEP_2)
	v_mul_lo_u32 v5, v3, s23
	v_add_nc_u32_e32 v7, 1, v3
	v_sub_nc_u32_e32 v5, v9, v5
	s_delay_alu instid0(VALU_DEP_1) | instskip(SKIP_1) | instid1(VALU_DEP_2)
	v_subrev_nc_u32_e32 v8, s23, v5
	v_cmp_le_u32_e32 vcc_lo, s23, v5
	v_dual_cndmask_b32 v5, v5, v8 :: v_dual_mov_b32 v8, v2
	v_cndmask_b32_e32 v3, v3, v7, vcc_lo
	s_delay_alu instid0(VALU_DEP_2) | instskip(NEXT) | instid1(VALU_DEP_2)
	v_cmp_le_u32_e32 vcc_lo, s23, v5
	v_add_nc_u32_e32 v7, 1, v3
	s_delay_alu instid0(VALU_DEP_1)
	v_cndmask_b32_e32 v7, v3, v7, vcc_lo
.LBB40_19:                              ;   in Loop: Header=BB40_15 Depth=2
	s_or_b32 exec_lo, exec_lo, s0
	s_add_u32 s16, s30, s16
	s_addc_u32 s17, s1, s17
	s_delay_alu instid0(VALU_DEP_1) | instskip(SKIP_4) | instid1(VALU_DEP_1)
	v_mul_lo_u32 v3, v7, s23
	s_load_b32 s0, s[16:17], 0x0
	s_add_i32 s22, s22, -1
	s_add_i32 s14, s14, -1
	s_cmp_lg_u32 s22, 0
	v_sub_nc_u32_e32 v3, v9, v3
	s_waitcnt lgkmcnt(0)
	s_delay_alu instid0(VALU_DEP_1) | instskip(NEXT) | instid1(VALU_DEP_1)
	v_mad_u64_u32 v[9:10], null, s0, v3, v[4:5]
	v_mov_b32_e32 v4, v9
	s_cbranch_scc0 .LBB40_22
; %bb.20:                               ;   in Loop: Header=BB40_15 Depth=2
	v_dual_mov_b32 v10, v8 :: v_dual_mov_b32 v9, v7
	s_branch .LBB40_15
.LBB40_21:                              ;   in Loop: Header=BB40_3 Depth=1
	s_mov_b32 s14, s31
.LBB40_22:                              ;   in Loop: Header=BB40_3 Depth=1
	s_and_not1_b32 vcc_lo, exec_lo, s36
	s_cbranch_vccnz .LBB40_58
; %bb.23:                               ;   in Loop: Header=BB40_3 Depth=1
	s_add_i32 s16, s14, -7
.LBB40_24:                              ;   Parent Loop BB40_3 Depth=1
                                        ; =>  This Inner Loop Header: Depth=2
	s_delay_alu instid0(SALU_CYCLE_1) | instskip(NEXT) | instid1(SALU_CYCLE_1)
	s_add_i32 s14, s16, 7
                                        ; implicit-def: $vgpr9_vgpr10
	s_lshl_b64 s[18:19], s[14:15], 2
	s_mov_b32 s14, exec_lo
	s_add_u32 s20, s26, s18
	s_addc_u32 s21, s27, s19
	s_load_b32 s41, s[20:21], 0x0
	s_waitcnt lgkmcnt(0)
	s_ashr_i32 s0, s41, 31
	s_delay_alu instid0(SALU_CYCLE_1) | instskip(NEXT) | instid1(VALU_DEP_1)
	v_or_b32_e32 v3, s0, v8
	v_cmpx_ne_u64_e32 0, v[2:3]
	s_xor_b32 s14, exec_lo, s14
	s_cbranch_execz .LBB40_26
; %bb.25:                               ;   in Loop: Header=BB40_24 Depth=2
	s_add_u32 s22, s41, s0
	s_mov_b32 s20, s0
	s_mov_b32 s21, s0
	s_addc_u32 s23, s0, s0
	s_delay_alu instid0(SALU_CYCLE_1) | instskip(NEXT) | instid1(SALU_CYCLE_1)
	s_xor_b64 s[22:23], s[22:23], s[20:21]
	v_cvt_f32_u32_e32 v3, s22
	v_cvt_f32_u32_e32 v5, s23
	s_sub_u32 s0, 0, s22
	s_subb_u32 s17, 0, s23
	s_delay_alu instid0(VALU_DEP_1) | instskip(NEXT) | instid1(VALU_DEP_1)
	v_fmac_f32_e32 v3, 0x4f800000, v5
	v_rcp_f32_e32 v3, v3
	s_waitcnt_depctr 0xfff
	v_mul_f32_e32 v3, 0x5f7ffffc, v3
	s_delay_alu instid0(VALU_DEP_1) | instskip(NEXT) | instid1(VALU_DEP_1)
	v_mul_f32_e32 v5, 0x2f800000, v3
	v_trunc_f32_e32 v5, v5
	s_delay_alu instid0(VALU_DEP_1) | instskip(SKIP_1) | instid1(VALU_DEP_2)
	v_fmac_f32_e32 v3, 0xcf800000, v5
	v_cvt_u32_f32_e32 v5, v5
	v_cvt_u32_f32_e32 v3, v3
	s_delay_alu instid0(VALU_DEP_2) | instskip(NEXT) | instid1(VALU_DEP_2)
	v_mul_lo_u32 v9, s0, v5
	v_mul_hi_u32 v10, s0, v3
	v_mul_lo_u32 v11, s17, v3
	s_delay_alu instid0(VALU_DEP_2) | instskip(SKIP_1) | instid1(VALU_DEP_2)
	v_add_nc_u32_e32 v9, v10, v9
	v_mul_lo_u32 v10, s0, v3
	v_add_nc_u32_e32 v9, v9, v11
	s_delay_alu instid0(VALU_DEP_2) | instskip(NEXT) | instid1(VALU_DEP_2)
	v_mul_hi_u32 v11, v3, v10
	v_mul_lo_u32 v12, v3, v9
	v_mul_hi_u32 v13, v3, v9
	v_mul_hi_u32 v14, v5, v10
	v_mul_lo_u32 v10, v5, v10
	v_mul_hi_u32 v15, v5, v9
	v_mul_lo_u32 v9, v5, v9
	v_add_co_u32 v11, vcc_lo, v11, v12
	v_add_co_ci_u32_e32 v12, vcc_lo, 0, v13, vcc_lo
	s_delay_alu instid0(VALU_DEP_2) | instskip(NEXT) | instid1(VALU_DEP_2)
	v_add_co_u32 v10, vcc_lo, v11, v10
	v_add_co_ci_u32_e32 v10, vcc_lo, v12, v14, vcc_lo
	v_add_co_ci_u32_e32 v11, vcc_lo, 0, v15, vcc_lo
	v_ashrrev_i32_e32 v14, 31, v8
	s_delay_alu instid0(VALU_DEP_3) | instskip(NEXT) | instid1(VALU_DEP_3)
	v_add_co_u32 v9, vcc_lo, v10, v9
	v_add_co_ci_u32_e32 v10, vcc_lo, 0, v11, vcc_lo
	s_delay_alu instid0(VALU_DEP_2) | instskip(NEXT) | instid1(VALU_DEP_2)
	v_add_co_u32 v3, vcc_lo, v3, v9
	v_add_co_ci_u32_e32 v5, vcc_lo, v5, v10, vcc_lo
	s_delay_alu instid0(VALU_DEP_2) | instskip(SKIP_1) | instid1(VALU_DEP_3)
	v_mul_hi_u32 v9, s0, v3
	v_mul_lo_u32 v11, s17, v3
	v_mul_lo_u32 v10, s0, v5
	s_delay_alu instid0(VALU_DEP_1) | instskip(SKIP_1) | instid1(VALU_DEP_2)
	v_add_nc_u32_e32 v9, v9, v10
	v_mul_lo_u32 v10, s0, v3
	v_add_nc_u32_e32 v9, v9, v11
	s_delay_alu instid0(VALU_DEP_2) | instskip(NEXT) | instid1(VALU_DEP_2)
	v_mul_hi_u32 v11, v3, v10
	v_mul_lo_u32 v12, v3, v9
	v_mul_hi_u32 v13, v3, v9
	v_mul_hi_u32 v15, v5, v10
	v_mul_lo_u32 v10, v5, v10
	v_mul_hi_u32 v16, v5, v9
	v_mul_lo_u32 v9, v5, v9
	v_add_co_u32 v11, vcc_lo, v11, v12
	v_add_co_ci_u32_e32 v12, vcc_lo, 0, v13, vcc_lo
	s_delay_alu instid0(VALU_DEP_2) | instskip(NEXT) | instid1(VALU_DEP_2)
	v_add_co_u32 v10, vcc_lo, v11, v10
	v_add_co_ci_u32_e32 v10, vcc_lo, v12, v15, vcc_lo
	v_add_co_ci_u32_e32 v11, vcc_lo, 0, v16, vcc_lo
	v_add_co_u32 v12, vcc_lo, v7, v14
	v_add_co_ci_u32_e32 v8, vcc_lo, v8, v14, vcc_lo
	s_delay_alu instid0(VALU_DEP_4) | instskip(NEXT) | instid1(VALU_DEP_4)
	v_add_co_u32 v9, vcc_lo, v10, v9
	v_add_co_ci_u32_e32 v10, vcc_lo, 0, v11, vcc_lo
	s_delay_alu instid0(VALU_DEP_4) | instskip(NEXT) | instid1(VALU_DEP_3)
	v_xor_b32_e32 v15, v12, v14
	v_add_co_u32 v3, vcc_lo, v3, v9
	s_delay_alu instid0(VALU_DEP_3) | instskip(SKIP_1) | instid1(VALU_DEP_3)
	v_add_co_ci_u32_e32 v5, vcc_lo, v5, v10, vcc_lo
	v_xor_b32_e32 v16, v8, v14
	v_mul_hi_u32 v17, v15, v3
	s_delay_alu instid0(VALU_DEP_3) | instskip(NEXT) | instid1(VALU_DEP_3)
	v_mad_u64_u32 v[8:9], null, v15, v5, 0
	v_mad_u64_u32 v[10:11], null, v16, v3, 0
	;; [unrolled: 1-line block ×3, first 2 shown]
	s_delay_alu instid0(VALU_DEP_3) | instskip(NEXT) | instid1(VALU_DEP_4)
	v_add_co_u32 v3, vcc_lo, v17, v8
	v_add_co_ci_u32_e32 v5, vcc_lo, 0, v9, vcc_lo
	s_delay_alu instid0(VALU_DEP_2) | instskip(NEXT) | instid1(VALU_DEP_2)
	v_add_co_u32 v3, vcc_lo, v3, v10
	v_add_co_ci_u32_e32 v3, vcc_lo, v5, v11, vcc_lo
	v_add_co_ci_u32_e32 v5, vcc_lo, 0, v13, vcc_lo
	s_delay_alu instid0(VALU_DEP_2) | instskip(NEXT) | instid1(VALU_DEP_2)
	v_add_co_u32 v3, vcc_lo, v3, v12
	v_add_co_ci_u32_e32 v5, vcc_lo, 0, v5, vcc_lo
	s_delay_alu instid0(VALU_DEP_2) | instskip(SKIP_1) | instid1(VALU_DEP_3)
	v_mul_lo_u32 v10, s23, v3
	v_mad_u64_u32 v[8:9], null, s22, v3, 0
	v_mul_lo_u32 v11, s22, v5
	s_delay_alu instid0(VALU_DEP_2) | instskip(NEXT) | instid1(VALU_DEP_2)
	v_sub_co_u32 v8, vcc_lo, v15, v8
	v_add3_u32 v9, v9, v11, v10
	s_delay_alu instid0(VALU_DEP_1) | instskip(NEXT) | instid1(VALU_DEP_1)
	v_sub_nc_u32_e32 v10, v16, v9
	v_subrev_co_ci_u32_e64 v10, s0, s23, v10, vcc_lo
	v_add_co_u32 v11, s0, v3, 2
	s_delay_alu instid0(VALU_DEP_1) | instskip(SKIP_3) | instid1(VALU_DEP_3)
	v_add_co_ci_u32_e64 v12, s0, 0, v5, s0
	v_sub_co_u32 v13, s0, v8, s22
	v_sub_co_ci_u32_e32 v9, vcc_lo, v16, v9, vcc_lo
	v_subrev_co_ci_u32_e64 v10, s0, 0, v10, s0
	v_cmp_le_u32_e32 vcc_lo, s22, v13
	s_delay_alu instid0(VALU_DEP_3) | instskip(SKIP_1) | instid1(VALU_DEP_4)
	v_cmp_eq_u32_e64 s0, s23, v9
	v_cndmask_b32_e64 v13, 0, -1, vcc_lo
	v_cmp_le_u32_e32 vcc_lo, s23, v10
	v_cndmask_b32_e64 v15, 0, -1, vcc_lo
	v_cmp_le_u32_e32 vcc_lo, s22, v8
	;; [unrolled: 2-line block ×3, first 2 shown]
	v_cndmask_b32_e64 v16, 0, -1, vcc_lo
	v_cmp_eq_u32_e32 vcc_lo, s23, v10
	s_delay_alu instid0(VALU_DEP_2) | instskip(SKIP_3) | instid1(VALU_DEP_3)
	v_cndmask_b32_e64 v8, v16, v8, s0
	v_cndmask_b32_e32 v10, v15, v13, vcc_lo
	v_add_co_u32 v13, vcc_lo, v3, 1
	v_add_co_ci_u32_e32 v15, vcc_lo, 0, v5, vcc_lo
	v_cmp_ne_u32_e32 vcc_lo, 0, v10
	s_delay_alu instid0(VALU_DEP_2) | instskip(SKIP_2) | instid1(VALU_DEP_3)
	v_dual_cndmask_b32 v9, v15, v12 :: v_dual_cndmask_b32 v10, v13, v11
	v_cmp_ne_u32_e32 vcc_lo, 0, v8
	v_xor_b32_e32 v8, s20, v14
	v_cndmask_b32_e32 v3, v3, v10, vcc_lo
	s_delay_alu instid0(VALU_DEP_4) | instskip(SKIP_1) | instid1(VALU_DEP_3)
	v_cndmask_b32_e32 v5, v5, v9, vcc_lo
	v_xor_b32_e32 v10, s21, v14
	v_xor_b32_e32 v3, v3, v8
	s_delay_alu instid0(VALU_DEP_2) | instskip(NEXT) | instid1(VALU_DEP_2)
	v_xor_b32_e32 v5, v5, v10
	v_sub_co_u32 v9, vcc_lo, v3, v8
	s_delay_alu instid0(VALU_DEP_2)
	v_sub_co_ci_u32_e32 v10, vcc_lo, v5, v10, vcc_lo
.LBB40_26:                              ;   in Loop: Header=BB40_24 Depth=2
	s_and_not1_saveexec_b32 s0, s14
	s_cbranch_execz .LBB40_28
; %bb.27:                               ;   in Loop: Header=BB40_24 Depth=2
	v_cvt_f32_u32_e32 v3, s41
	s_sub_i32 s14, 0, s41
	v_mov_b32_e32 v10, v2
	s_delay_alu instid0(VALU_DEP_2) | instskip(SKIP_2) | instid1(VALU_DEP_1)
	v_rcp_iflag_f32_e32 v3, v3
	s_waitcnt_depctr 0xfff
	v_mul_f32_e32 v3, 0x4f7ffffe, v3
	v_cvt_u32_f32_e32 v3, v3
	s_delay_alu instid0(VALU_DEP_1) | instskip(NEXT) | instid1(VALU_DEP_1)
	v_mul_lo_u32 v5, s14, v3
	v_mul_hi_u32 v5, v3, v5
	s_delay_alu instid0(VALU_DEP_1) | instskip(NEXT) | instid1(VALU_DEP_1)
	v_add_nc_u32_e32 v3, v3, v5
	v_mul_hi_u32 v3, v7, v3
	s_delay_alu instid0(VALU_DEP_1) | instskip(NEXT) | instid1(VALU_DEP_1)
	v_mul_lo_u32 v5, v3, s41
	v_sub_nc_u32_e32 v5, v7, v5
	s_delay_alu instid0(VALU_DEP_1) | instskip(SKIP_1) | instid1(VALU_DEP_2)
	v_subrev_nc_u32_e32 v9, s41, v5
	v_cmp_le_u32_e32 vcc_lo, s41, v5
	v_dual_cndmask_b32 v5, v5, v9 :: v_dual_add_nc_u32 v8, 1, v3
	s_delay_alu instid0(VALU_DEP_1) | instskip(NEXT) | instid1(VALU_DEP_2)
	v_cndmask_b32_e32 v3, v3, v8, vcc_lo
	v_cmp_le_u32_e32 vcc_lo, s41, v5
	s_delay_alu instid0(VALU_DEP_2) | instskip(NEXT) | instid1(VALU_DEP_1)
	v_add_nc_u32_e32 v8, 1, v3
	v_cndmask_b32_e32 v9, v3, v8, vcc_lo
.LBB40_28:                              ;   in Loop: Header=BB40_24 Depth=2
	s_or_b32 exec_lo, exec_lo, s0
	s_add_u32 s20, s30, s18
	s_addc_u32 s21, s1, s19
	s_add_i32 s14, s16, 6
                                        ; implicit-def: $vgpr11_vgpr12
	s_delay_alu instid0(SALU_CYCLE_1)
	s_lshl_b64 s[18:19], s[14:15], 2
	s_mov_b32 s14, exec_lo
	s_add_u32 s22, s26, s18
	s_addc_u32 s23, s27, s19
	s_clause 0x1
	s_load_b32 s43, s[22:23], 0x0
	s_load_b32 s42, s[20:21], 0x0
	s_waitcnt lgkmcnt(0)
	s_ashr_i32 s0, s43, 31
	s_delay_alu instid0(SALU_CYCLE_1) | instskip(NEXT) | instid1(VALU_DEP_1)
	v_or_b32_e32 v3, s0, v10
	v_cmpx_ne_u64_e32 0, v[2:3]
	s_xor_b32 s14, exec_lo, s14
	s_cbranch_execz .LBB40_30
; %bb.29:                               ;   in Loop: Header=BB40_24 Depth=2
	s_add_u32 s22, s43, s0
	s_mov_b32 s20, s0
	s_mov_b32 s21, s0
	s_addc_u32 s23, s0, s0
	s_delay_alu instid0(SALU_CYCLE_1) | instskip(NEXT) | instid1(SALU_CYCLE_1)
	s_xor_b64 s[22:23], s[22:23], s[20:21]
	v_cvt_f32_u32_e32 v3, s22
	v_cvt_f32_u32_e32 v5, s23
	s_sub_u32 s0, 0, s22
	s_subb_u32 s17, 0, s23
	s_delay_alu instid0(VALU_DEP_1) | instskip(NEXT) | instid1(VALU_DEP_1)
	v_fmac_f32_e32 v3, 0x4f800000, v5
	v_rcp_f32_e32 v3, v3
	s_waitcnt_depctr 0xfff
	v_mul_f32_e32 v3, 0x5f7ffffc, v3
	s_delay_alu instid0(VALU_DEP_1) | instskip(NEXT) | instid1(VALU_DEP_1)
	v_mul_f32_e32 v5, 0x2f800000, v3
	v_trunc_f32_e32 v5, v5
	s_delay_alu instid0(VALU_DEP_1) | instskip(SKIP_1) | instid1(VALU_DEP_2)
	v_fmac_f32_e32 v3, 0xcf800000, v5
	v_cvt_u32_f32_e32 v5, v5
	v_cvt_u32_f32_e32 v3, v3
	s_delay_alu instid0(VALU_DEP_2) | instskip(NEXT) | instid1(VALU_DEP_2)
	v_mul_lo_u32 v8, s0, v5
	v_mul_hi_u32 v11, s0, v3
	v_mul_lo_u32 v12, s17, v3
	s_delay_alu instid0(VALU_DEP_2) | instskip(SKIP_1) | instid1(VALU_DEP_2)
	v_add_nc_u32_e32 v8, v11, v8
	v_mul_lo_u32 v11, s0, v3
	v_add_nc_u32_e32 v8, v8, v12
	s_delay_alu instid0(VALU_DEP_2) | instskip(NEXT) | instid1(VALU_DEP_2)
	v_mul_hi_u32 v12, v3, v11
	v_mul_lo_u32 v13, v3, v8
	v_mul_hi_u32 v14, v3, v8
	v_mul_hi_u32 v15, v5, v11
	v_mul_lo_u32 v11, v5, v11
	v_mul_hi_u32 v16, v5, v8
	v_mul_lo_u32 v8, v5, v8
	v_add_co_u32 v12, vcc_lo, v12, v13
	v_add_co_ci_u32_e32 v13, vcc_lo, 0, v14, vcc_lo
	s_delay_alu instid0(VALU_DEP_2) | instskip(NEXT) | instid1(VALU_DEP_2)
	v_add_co_u32 v11, vcc_lo, v12, v11
	v_add_co_ci_u32_e32 v11, vcc_lo, v13, v15, vcc_lo
	v_add_co_ci_u32_e32 v12, vcc_lo, 0, v16, vcc_lo
	v_ashrrev_i32_e32 v16, 31, v10
	s_delay_alu instid0(VALU_DEP_3) | instskip(NEXT) | instid1(VALU_DEP_3)
	v_add_co_u32 v8, vcc_lo, v11, v8
	v_add_co_ci_u32_e32 v11, vcc_lo, 0, v12, vcc_lo
	s_delay_alu instid0(VALU_DEP_2) | instskip(NEXT) | instid1(VALU_DEP_2)
	v_add_co_u32 v3, vcc_lo, v3, v8
	v_add_co_ci_u32_e32 v5, vcc_lo, v5, v11, vcc_lo
	s_delay_alu instid0(VALU_DEP_2) | instskip(SKIP_1) | instid1(VALU_DEP_3)
	v_mul_hi_u32 v8, s0, v3
	v_mul_lo_u32 v12, s17, v3
	v_mul_lo_u32 v11, s0, v5
	s_delay_alu instid0(VALU_DEP_1) | instskip(SKIP_1) | instid1(VALU_DEP_2)
	v_add_nc_u32_e32 v8, v8, v11
	v_mul_lo_u32 v11, s0, v3
	v_add_nc_u32_e32 v8, v8, v12
	s_delay_alu instid0(VALU_DEP_2) | instskip(NEXT) | instid1(VALU_DEP_2)
	v_mul_hi_u32 v12, v3, v11
	v_mul_lo_u32 v13, v3, v8
	v_mul_hi_u32 v14, v3, v8
	v_mul_hi_u32 v15, v5, v11
	v_mul_lo_u32 v11, v5, v11
	v_mul_hi_u32 v17, v5, v8
	v_mul_lo_u32 v8, v5, v8
	v_add_co_u32 v12, vcc_lo, v12, v13
	v_add_co_ci_u32_e32 v13, vcc_lo, 0, v14, vcc_lo
	s_delay_alu instid0(VALU_DEP_2) | instskip(NEXT) | instid1(VALU_DEP_2)
	v_add_co_u32 v11, vcc_lo, v12, v11
	v_add_co_ci_u32_e32 v11, vcc_lo, v13, v15, vcc_lo
	v_add_co_ci_u32_e32 v12, vcc_lo, 0, v17, vcc_lo
	v_add_co_u32 v13, vcc_lo, v9, v16
	v_add_co_ci_u32_e32 v10, vcc_lo, v10, v16, vcc_lo
	s_delay_alu instid0(VALU_DEP_4) | instskip(NEXT) | instid1(VALU_DEP_4)
	v_add_co_u32 v8, vcc_lo, v11, v8
	v_add_co_ci_u32_e32 v11, vcc_lo, 0, v12, vcc_lo
	s_delay_alu instid0(VALU_DEP_4) | instskip(NEXT) | instid1(VALU_DEP_3)
	v_xor_b32_e32 v17, v13, v16
	v_add_co_u32 v3, vcc_lo, v3, v8
	s_delay_alu instid0(VALU_DEP_3) | instskip(SKIP_1) | instid1(VALU_DEP_3)
	v_add_co_ci_u32_e32 v5, vcc_lo, v5, v11, vcc_lo
	v_xor_b32_e32 v8, v10, v16
	v_mul_hi_u32 v18, v17, v3
	s_delay_alu instid0(VALU_DEP_3) | instskip(NEXT) | instid1(VALU_DEP_3)
	v_mad_u64_u32 v[10:11], null, v17, v5, 0
	v_mad_u64_u32 v[12:13], null, v8, v3, 0
	;; [unrolled: 1-line block ×3, first 2 shown]
	s_delay_alu instid0(VALU_DEP_3) | instskip(NEXT) | instid1(VALU_DEP_4)
	v_add_co_u32 v3, vcc_lo, v18, v10
	v_add_co_ci_u32_e32 v5, vcc_lo, 0, v11, vcc_lo
	s_delay_alu instid0(VALU_DEP_2) | instskip(NEXT) | instid1(VALU_DEP_2)
	v_add_co_u32 v3, vcc_lo, v3, v12
	v_add_co_ci_u32_e32 v3, vcc_lo, v5, v13, vcc_lo
	v_add_co_ci_u32_e32 v5, vcc_lo, 0, v15, vcc_lo
	s_delay_alu instid0(VALU_DEP_2) | instskip(NEXT) | instid1(VALU_DEP_2)
	v_add_co_u32 v3, vcc_lo, v3, v14
	v_add_co_ci_u32_e32 v5, vcc_lo, 0, v5, vcc_lo
	s_delay_alu instid0(VALU_DEP_2) | instskip(SKIP_1) | instid1(VALU_DEP_3)
	v_mul_lo_u32 v12, s23, v3
	v_mad_u64_u32 v[10:11], null, s22, v3, 0
	v_mul_lo_u32 v13, s22, v5
	s_delay_alu instid0(VALU_DEP_2) | instskip(NEXT) | instid1(VALU_DEP_2)
	v_sub_co_u32 v10, vcc_lo, v17, v10
	v_add3_u32 v11, v11, v13, v12
	s_delay_alu instid0(VALU_DEP_1) | instskip(NEXT) | instid1(VALU_DEP_1)
	v_sub_nc_u32_e32 v12, v8, v11
	v_subrev_co_ci_u32_e64 v12, s0, s23, v12, vcc_lo
	v_add_co_u32 v13, s0, v3, 2
	s_delay_alu instid0(VALU_DEP_1) | instskip(SKIP_3) | instid1(VALU_DEP_3)
	v_add_co_ci_u32_e64 v14, s0, 0, v5, s0
	v_sub_co_u32 v15, s0, v10, s22
	v_sub_co_ci_u32_e32 v8, vcc_lo, v8, v11, vcc_lo
	v_subrev_co_ci_u32_e64 v12, s0, 0, v12, s0
	v_cmp_le_u32_e32 vcc_lo, s22, v15
	s_delay_alu instid0(VALU_DEP_3) | instskip(SKIP_1) | instid1(VALU_DEP_4)
	v_cmp_eq_u32_e64 s0, s23, v8
	v_cndmask_b32_e64 v11, 0, -1, vcc_lo
	v_cmp_le_u32_e32 vcc_lo, s23, v12
	v_cndmask_b32_e64 v15, 0, -1, vcc_lo
	v_cmp_le_u32_e32 vcc_lo, s22, v10
	;; [unrolled: 2-line block ×3, first 2 shown]
	v_cndmask_b32_e64 v17, 0, -1, vcc_lo
	v_cmp_eq_u32_e32 vcc_lo, s23, v12
	s_delay_alu instid0(VALU_DEP_2) | instskip(SKIP_3) | instid1(VALU_DEP_3)
	v_cndmask_b32_e64 v8, v17, v10, s0
	v_cndmask_b32_e32 v11, v15, v11, vcc_lo
	v_add_co_u32 v12, vcc_lo, v3, 1
	v_add_co_ci_u32_e32 v15, vcc_lo, 0, v5, vcc_lo
	v_cmp_ne_u32_e32 vcc_lo, 0, v11
	s_delay_alu instid0(VALU_DEP_2) | instskip(SKIP_2) | instid1(VALU_DEP_3)
	v_dual_cndmask_b32 v10, v15, v14 :: v_dual_cndmask_b32 v11, v12, v13
	v_cmp_ne_u32_e32 vcc_lo, 0, v8
	v_xor_b32_e32 v8, s20, v16
	v_cndmask_b32_e32 v3, v3, v11, vcc_lo
	s_delay_alu instid0(VALU_DEP_4) | instskip(SKIP_1) | instid1(VALU_DEP_3)
	v_cndmask_b32_e32 v5, v5, v10, vcc_lo
	v_xor_b32_e32 v10, s21, v16
	v_xor_b32_e32 v3, v3, v8
	s_delay_alu instid0(VALU_DEP_2) | instskip(NEXT) | instid1(VALU_DEP_2)
	v_xor_b32_e32 v5, v5, v10
	v_sub_co_u32 v11, vcc_lo, v3, v8
	s_delay_alu instid0(VALU_DEP_2)
	v_sub_co_ci_u32_e32 v12, vcc_lo, v5, v10, vcc_lo
.LBB40_30:                              ;   in Loop: Header=BB40_24 Depth=2
	s_and_not1_saveexec_b32 s0, s14
	s_cbranch_execz .LBB40_32
; %bb.31:                               ;   in Loop: Header=BB40_24 Depth=2
	v_cvt_f32_u32_e32 v3, s43
	s_sub_i32 s14, 0, s43
	v_mov_b32_e32 v12, v2
	s_delay_alu instid0(VALU_DEP_2) | instskip(SKIP_2) | instid1(VALU_DEP_1)
	v_rcp_iflag_f32_e32 v3, v3
	s_waitcnt_depctr 0xfff
	v_mul_f32_e32 v3, 0x4f7ffffe, v3
	v_cvt_u32_f32_e32 v3, v3
	s_delay_alu instid0(VALU_DEP_1) | instskip(NEXT) | instid1(VALU_DEP_1)
	v_mul_lo_u32 v5, s14, v3
	v_mul_hi_u32 v5, v3, v5
	s_delay_alu instid0(VALU_DEP_1) | instskip(NEXT) | instid1(VALU_DEP_1)
	v_add_nc_u32_e32 v3, v3, v5
	v_mul_hi_u32 v3, v9, v3
	s_delay_alu instid0(VALU_DEP_1) | instskip(NEXT) | instid1(VALU_DEP_1)
	v_mul_lo_u32 v5, v3, s43
	v_sub_nc_u32_e32 v5, v9, v5
	s_delay_alu instid0(VALU_DEP_1) | instskip(SKIP_1) | instid1(VALU_DEP_2)
	v_subrev_nc_u32_e32 v10, s43, v5
	v_cmp_le_u32_e32 vcc_lo, s43, v5
	v_dual_cndmask_b32 v5, v5, v10 :: v_dual_add_nc_u32 v8, 1, v3
	s_delay_alu instid0(VALU_DEP_1) | instskip(NEXT) | instid1(VALU_DEP_2)
	v_cndmask_b32_e32 v3, v3, v8, vcc_lo
	v_cmp_le_u32_e32 vcc_lo, s43, v5
	s_delay_alu instid0(VALU_DEP_2) | instskip(NEXT) | instid1(VALU_DEP_1)
	v_add_nc_u32_e32 v8, 1, v3
	v_cndmask_b32_e32 v11, v3, v8, vcc_lo
.LBB40_32:                              ;   in Loop: Header=BB40_24 Depth=2
	s_or_b32 exec_lo, exec_lo, s0
	s_add_u32 s20, s30, s18
	s_addc_u32 s21, s1, s19
	s_add_i32 s14, s16, 5
                                        ; implicit-def: $vgpr13_vgpr14
	s_delay_alu instid0(SALU_CYCLE_1)
	s_lshl_b64 s[18:19], s[14:15], 2
	s_mov_b32 s14, exec_lo
	s_add_u32 s22, s26, s18
	s_addc_u32 s23, s27, s19
	s_clause 0x1
	s_load_b32 s45, s[22:23], 0x0
	s_load_b32 s44, s[20:21], 0x0
	s_waitcnt lgkmcnt(0)
	s_ashr_i32 s0, s45, 31
	s_delay_alu instid0(SALU_CYCLE_1) | instskip(NEXT) | instid1(VALU_DEP_1)
	v_or_b32_e32 v3, s0, v12
	v_cmpx_ne_u64_e32 0, v[2:3]
	s_xor_b32 s14, exec_lo, s14
	s_cbranch_execz .LBB40_34
; %bb.33:                               ;   in Loop: Header=BB40_24 Depth=2
	s_add_u32 s22, s45, s0
	s_mov_b32 s20, s0
	s_mov_b32 s21, s0
	s_addc_u32 s23, s0, s0
	v_ashrrev_i32_e32 v18, 31, v12
	s_xor_b64 s[22:23], s[22:23], s[20:21]
	s_delay_alu instid0(SALU_CYCLE_1) | instskip(SKIP_3) | instid1(VALU_DEP_1)
	v_cvt_f32_u32_e32 v3, s22
	v_cvt_f32_u32_e32 v5, s23
	s_sub_u32 s0, 0, s22
	s_subb_u32 s17, 0, s23
	v_fmac_f32_e32 v3, 0x4f800000, v5
	s_delay_alu instid0(VALU_DEP_1) | instskip(SKIP_2) | instid1(VALU_DEP_1)
	v_rcp_f32_e32 v3, v3
	s_waitcnt_depctr 0xfff
	v_mul_f32_e32 v3, 0x5f7ffffc, v3
	v_mul_f32_e32 v5, 0x2f800000, v3
	s_delay_alu instid0(VALU_DEP_1) | instskip(NEXT) | instid1(VALU_DEP_1)
	v_trunc_f32_e32 v5, v5
	v_fmac_f32_e32 v3, 0xcf800000, v5
	v_cvt_u32_f32_e32 v5, v5
	s_delay_alu instid0(VALU_DEP_2) | instskip(NEXT) | instid1(VALU_DEP_2)
	v_cvt_u32_f32_e32 v3, v3
	v_mul_lo_u32 v8, s0, v5
	s_delay_alu instid0(VALU_DEP_2) | instskip(SKIP_1) | instid1(VALU_DEP_2)
	v_mul_hi_u32 v10, s0, v3
	v_mul_lo_u32 v13, s17, v3
	v_add_nc_u32_e32 v8, v10, v8
	v_mul_lo_u32 v10, s0, v3
	s_delay_alu instid0(VALU_DEP_2) | instskip(NEXT) | instid1(VALU_DEP_2)
	v_add_nc_u32_e32 v8, v8, v13
	v_mul_hi_u32 v13, v3, v10
	s_delay_alu instid0(VALU_DEP_2)
	v_mul_lo_u32 v14, v3, v8
	v_mul_hi_u32 v15, v3, v8
	v_mul_hi_u32 v16, v5, v10
	v_mul_lo_u32 v10, v5, v10
	v_mul_hi_u32 v17, v5, v8
	v_mul_lo_u32 v8, v5, v8
	v_add_co_u32 v13, vcc_lo, v13, v14
	v_add_co_ci_u32_e32 v14, vcc_lo, 0, v15, vcc_lo
	s_delay_alu instid0(VALU_DEP_2) | instskip(NEXT) | instid1(VALU_DEP_2)
	v_add_co_u32 v10, vcc_lo, v13, v10
	v_add_co_ci_u32_e32 v10, vcc_lo, v14, v16, vcc_lo
	v_add_co_ci_u32_e32 v13, vcc_lo, 0, v17, vcc_lo
	s_delay_alu instid0(VALU_DEP_2) | instskip(NEXT) | instid1(VALU_DEP_2)
	v_add_co_u32 v8, vcc_lo, v10, v8
	v_add_co_ci_u32_e32 v10, vcc_lo, 0, v13, vcc_lo
	s_delay_alu instid0(VALU_DEP_2) | instskip(NEXT) | instid1(VALU_DEP_2)
	v_add_co_u32 v3, vcc_lo, v3, v8
	v_add_co_ci_u32_e32 v5, vcc_lo, v5, v10, vcc_lo
	s_delay_alu instid0(VALU_DEP_2) | instskip(SKIP_1) | instid1(VALU_DEP_3)
	v_mul_hi_u32 v8, s0, v3
	v_mul_lo_u32 v13, s17, v3
	v_mul_lo_u32 v10, s0, v5
	s_delay_alu instid0(VALU_DEP_1) | instskip(SKIP_1) | instid1(VALU_DEP_2)
	v_add_nc_u32_e32 v8, v8, v10
	v_mul_lo_u32 v10, s0, v3
	v_add_nc_u32_e32 v8, v8, v13
	s_delay_alu instid0(VALU_DEP_2) | instskip(NEXT) | instid1(VALU_DEP_2)
	v_mul_hi_u32 v13, v3, v10
	v_mul_lo_u32 v14, v3, v8
	v_mul_hi_u32 v15, v3, v8
	v_mul_hi_u32 v16, v5, v10
	v_mul_lo_u32 v10, v5, v10
	v_mul_hi_u32 v17, v5, v8
	v_mul_lo_u32 v8, v5, v8
	v_add_co_u32 v13, vcc_lo, v13, v14
	v_add_co_ci_u32_e32 v14, vcc_lo, 0, v15, vcc_lo
	s_delay_alu instid0(VALU_DEP_2) | instskip(NEXT) | instid1(VALU_DEP_2)
	v_add_co_u32 v10, vcc_lo, v13, v10
	v_add_co_ci_u32_e32 v10, vcc_lo, v14, v16, vcc_lo
	v_add_co_ci_u32_e32 v13, vcc_lo, 0, v17, vcc_lo
	v_add_co_u32 v14, vcc_lo, v11, v18
	v_add_co_ci_u32_e32 v12, vcc_lo, v12, v18, vcc_lo
	s_delay_alu instid0(VALU_DEP_4) | instskip(NEXT) | instid1(VALU_DEP_4)
	v_add_co_u32 v8, vcc_lo, v10, v8
	v_add_co_ci_u32_e32 v10, vcc_lo, 0, v13, vcc_lo
	s_delay_alu instid0(VALU_DEP_4) | instskip(NEXT) | instid1(VALU_DEP_3)
	v_xor_b32_e32 v19, v14, v18
	v_add_co_u32 v3, vcc_lo, v3, v8
	s_delay_alu instid0(VALU_DEP_3) | instskip(SKIP_1) | instid1(VALU_DEP_3)
	v_add_co_ci_u32_e32 v5, vcc_lo, v5, v10, vcc_lo
	v_xor_b32_e32 v8, v12, v18
	v_mul_hi_u32 v10, v19, v3
	s_delay_alu instid0(VALU_DEP_3) | instskip(NEXT) | instid1(VALU_DEP_3)
	v_mad_u64_u32 v[12:13], null, v19, v5, 0
	v_mad_u64_u32 v[14:15], null, v8, v3, 0
	;; [unrolled: 1-line block ×3, first 2 shown]
	s_delay_alu instid0(VALU_DEP_3) | instskip(NEXT) | instid1(VALU_DEP_4)
	v_add_co_u32 v3, vcc_lo, v10, v12
	v_add_co_ci_u32_e32 v5, vcc_lo, 0, v13, vcc_lo
	s_delay_alu instid0(VALU_DEP_2) | instskip(NEXT) | instid1(VALU_DEP_2)
	v_add_co_u32 v3, vcc_lo, v3, v14
	v_add_co_ci_u32_e32 v3, vcc_lo, v5, v15, vcc_lo
	v_add_co_ci_u32_e32 v5, vcc_lo, 0, v17, vcc_lo
	s_delay_alu instid0(VALU_DEP_2) | instskip(NEXT) | instid1(VALU_DEP_2)
	v_add_co_u32 v3, vcc_lo, v3, v16
	v_add_co_ci_u32_e32 v5, vcc_lo, 0, v5, vcc_lo
	s_delay_alu instid0(VALU_DEP_2) | instskip(SKIP_1) | instid1(VALU_DEP_3)
	v_mul_lo_u32 v10, s23, v3
	v_mad_u64_u32 v[12:13], null, s22, v3, 0
	v_mul_lo_u32 v14, s22, v5
	s_delay_alu instid0(VALU_DEP_2) | instskip(NEXT) | instid1(VALU_DEP_2)
	v_sub_co_u32 v12, vcc_lo, v19, v12
	v_add3_u32 v10, v13, v14, v10
	s_delay_alu instid0(VALU_DEP_1) | instskip(NEXT) | instid1(VALU_DEP_1)
	v_sub_nc_u32_e32 v13, v8, v10
	v_subrev_co_ci_u32_e64 v13, s0, s23, v13, vcc_lo
	v_add_co_u32 v14, s0, v3, 2
	s_delay_alu instid0(VALU_DEP_1) | instskip(SKIP_3) | instid1(VALU_DEP_3)
	v_add_co_ci_u32_e64 v15, s0, 0, v5, s0
	v_sub_co_u32 v16, s0, v12, s22
	v_sub_co_ci_u32_e32 v8, vcc_lo, v8, v10, vcc_lo
	v_subrev_co_ci_u32_e64 v13, s0, 0, v13, s0
	v_cmp_le_u32_e32 vcc_lo, s22, v16
	s_delay_alu instid0(VALU_DEP_3) | instskip(SKIP_1) | instid1(VALU_DEP_4)
	v_cmp_eq_u32_e64 s0, s23, v8
	v_cndmask_b32_e64 v10, 0, -1, vcc_lo
	v_cmp_le_u32_e32 vcc_lo, s23, v13
	v_cndmask_b32_e64 v16, 0, -1, vcc_lo
	v_cmp_le_u32_e32 vcc_lo, s22, v12
	;; [unrolled: 2-line block ×3, first 2 shown]
	v_cndmask_b32_e64 v17, 0, -1, vcc_lo
	v_cmp_eq_u32_e32 vcc_lo, s23, v13
	s_delay_alu instid0(VALU_DEP_2) | instskip(SKIP_3) | instid1(VALU_DEP_3)
	v_cndmask_b32_e64 v8, v17, v12, s0
	v_cndmask_b32_e32 v10, v16, v10, vcc_lo
	v_add_co_u32 v13, vcc_lo, v3, 1
	v_add_co_ci_u32_e32 v16, vcc_lo, 0, v5, vcc_lo
	v_cmp_ne_u32_e32 vcc_lo, 0, v10
	s_delay_alu instid0(VALU_DEP_3) | instskip(NEXT) | instid1(VALU_DEP_3)
	v_cndmask_b32_e32 v12, v13, v14, vcc_lo
	v_cndmask_b32_e32 v10, v16, v15, vcc_lo
	v_cmp_ne_u32_e32 vcc_lo, 0, v8
	v_xor_b32_e32 v8, s20, v18
	s_delay_alu instid0(VALU_DEP_4) | instskip(NEXT) | instid1(VALU_DEP_4)
	v_cndmask_b32_e32 v3, v3, v12, vcc_lo
	v_cndmask_b32_e32 v5, v5, v10, vcc_lo
	v_xor_b32_e32 v10, s21, v18
	s_delay_alu instid0(VALU_DEP_3) | instskip(NEXT) | instid1(VALU_DEP_2)
	v_xor_b32_e32 v3, v3, v8
	v_xor_b32_e32 v5, v5, v10
	s_delay_alu instid0(VALU_DEP_2) | instskip(NEXT) | instid1(VALU_DEP_2)
	v_sub_co_u32 v13, vcc_lo, v3, v8
	v_sub_co_ci_u32_e32 v14, vcc_lo, v5, v10, vcc_lo
.LBB40_34:                              ;   in Loop: Header=BB40_24 Depth=2
	s_and_not1_saveexec_b32 s0, s14
	s_cbranch_execz .LBB40_36
; %bb.35:                               ;   in Loop: Header=BB40_24 Depth=2
	v_cvt_f32_u32_e32 v3, s45
	s_sub_i32 s14, 0, s45
	v_mov_b32_e32 v14, v2
	s_delay_alu instid0(VALU_DEP_2) | instskip(SKIP_2) | instid1(VALU_DEP_1)
	v_rcp_iflag_f32_e32 v3, v3
	s_waitcnt_depctr 0xfff
	v_mul_f32_e32 v3, 0x4f7ffffe, v3
	v_cvt_u32_f32_e32 v3, v3
	s_delay_alu instid0(VALU_DEP_1) | instskip(NEXT) | instid1(VALU_DEP_1)
	v_mul_lo_u32 v5, s14, v3
	v_mul_hi_u32 v5, v3, v5
	s_delay_alu instid0(VALU_DEP_1) | instskip(NEXT) | instid1(VALU_DEP_1)
	v_add_nc_u32_e32 v3, v3, v5
	v_mul_hi_u32 v3, v11, v3
	s_delay_alu instid0(VALU_DEP_1) | instskip(NEXT) | instid1(VALU_DEP_1)
	v_mul_lo_u32 v5, v3, s45
	v_sub_nc_u32_e32 v5, v11, v5
	s_delay_alu instid0(VALU_DEP_1) | instskip(SKIP_1) | instid1(VALU_DEP_2)
	v_subrev_nc_u32_e32 v10, s45, v5
	v_cmp_le_u32_e32 vcc_lo, s45, v5
	v_dual_cndmask_b32 v5, v5, v10 :: v_dual_add_nc_u32 v8, 1, v3
	s_delay_alu instid0(VALU_DEP_1) | instskip(NEXT) | instid1(VALU_DEP_2)
	v_cndmask_b32_e32 v3, v3, v8, vcc_lo
	v_cmp_le_u32_e32 vcc_lo, s45, v5
	s_delay_alu instid0(VALU_DEP_2) | instskip(NEXT) | instid1(VALU_DEP_1)
	v_add_nc_u32_e32 v8, 1, v3
	v_cndmask_b32_e32 v13, v3, v8, vcc_lo
.LBB40_36:                              ;   in Loop: Header=BB40_24 Depth=2
	s_or_b32 exec_lo, exec_lo, s0
	s_add_u32 s20, s30, s18
	s_addc_u32 s21, s1, s19
	s_add_i32 s14, s16, 4
                                        ; implicit-def: $vgpr15_vgpr16
	s_delay_alu instid0(SALU_CYCLE_1)
	s_lshl_b64 s[18:19], s[14:15], 2
	s_mov_b32 s14, exec_lo
	s_add_u32 s22, s26, s18
	s_addc_u32 s23, s27, s19
	s_clause 0x1
	s_load_b32 s47, s[22:23], 0x0
	s_load_b32 s46, s[20:21], 0x0
	s_waitcnt lgkmcnt(0)
	s_ashr_i32 s0, s47, 31
	s_delay_alu instid0(SALU_CYCLE_1) | instskip(NEXT) | instid1(VALU_DEP_1)
	v_or_b32_e32 v3, s0, v14
	v_cmpx_ne_u64_e32 0, v[2:3]
	s_xor_b32 s14, exec_lo, s14
	s_cbranch_execz .LBB40_38
; %bb.37:                               ;   in Loop: Header=BB40_24 Depth=2
	s_add_u32 s22, s47, s0
	s_mov_b32 s20, s0
	s_mov_b32 s21, s0
	s_addc_u32 s23, s0, s0
	v_ashrrev_i32_e32 v20, 31, v14
	s_xor_b64 s[22:23], s[22:23], s[20:21]
	s_delay_alu instid0(SALU_CYCLE_1) | instskip(SKIP_3) | instid1(VALU_DEP_1)
	v_cvt_f32_u32_e32 v3, s22
	v_cvt_f32_u32_e32 v5, s23
	s_sub_u32 s0, 0, s22
	s_subb_u32 s17, 0, s23
	v_fmac_f32_e32 v3, 0x4f800000, v5
	s_delay_alu instid0(VALU_DEP_1) | instskip(SKIP_2) | instid1(VALU_DEP_1)
	v_rcp_f32_e32 v3, v3
	s_waitcnt_depctr 0xfff
	v_mul_f32_e32 v3, 0x5f7ffffc, v3
	v_mul_f32_e32 v5, 0x2f800000, v3
	s_delay_alu instid0(VALU_DEP_1) | instskip(NEXT) | instid1(VALU_DEP_1)
	v_trunc_f32_e32 v5, v5
	v_fmac_f32_e32 v3, 0xcf800000, v5
	v_cvt_u32_f32_e32 v5, v5
	s_delay_alu instid0(VALU_DEP_2) | instskip(NEXT) | instid1(VALU_DEP_2)
	v_cvt_u32_f32_e32 v3, v3
	v_mul_lo_u32 v8, s0, v5
	s_delay_alu instid0(VALU_DEP_2) | instskip(SKIP_1) | instid1(VALU_DEP_2)
	v_mul_hi_u32 v10, s0, v3
	v_mul_lo_u32 v12, s17, v3
	v_add_nc_u32_e32 v8, v10, v8
	v_mul_lo_u32 v10, s0, v3
	s_delay_alu instid0(VALU_DEP_2) | instskip(NEXT) | instid1(VALU_DEP_2)
	v_add_nc_u32_e32 v8, v8, v12
	v_mul_hi_u32 v12, v3, v10
	s_delay_alu instid0(VALU_DEP_2)
	v_mul_lo_u32 v15, v3, v8
	v_mul_hi_u32 v16, v3, v8
	v_mul_hi_u32 v17, v5, v10
	v_mul_lo_u32 v10, v5, v10
	v_mul_hi_u32 v18, v5, v8
	v_mul_lo_u32 v8, v5, v8
	v_add_co_u32 v12, vcc_lo, v12, v15
	v_add_co_ci_u32_e32 v15, vcc_lo, 0, v16, vcc_lo
	s_delay_alu instid0(VALU_DEP_2) | instskip(NEXT) | instid1(VALU_DEP_2)
	v_add_co_u32 v10, vcc_lo, v12, v10
	v_add_co_ci_u32_e32 v10, vcc_lo, v15, v17, vcc_lo
	v_add_co_ci_u32_e32 v12, vcc_lo, 0, v18, vcc_lo
	s_delay_alu instid0(VALU_DEP_2) | instskip(NEXT) | instid1(VALU_DEP_2)
	v_add_co_u32 v8, vcc_lo, v10, v8
	v_add_co_ci_u32_e32 v10, vcc_lo, 0, v12, vcc_lo
	s_delay_alu instid0(VALU_DEP_2) | instskip(NEXT) | instid1(VALU_DEP_2)
	v_add_co_u32 v3, vcc_lo, v3, v8
	v_add_co_ci_u32_e32 v5, vcc_lo, v5, v10, vcc_lo
	s_delay_alu instid0(VALU_DEP_2) | instskip(SKIP_1) | instid1(VALU_DEP_3)
	v_mul_hi_u32 v8, s0, v3
	v_mul_lo_u32 v12, s17, v3
	v_mul_lo_u32 v10, s0, v5
	s_delay_alu instid0(VALU_DEP_1) | instskip(SKIP_1) | instid1(VALU_DEP_2)
	v_add_nc_u32_e32 v8, v8, v10
	v_mul_lo_u32 v10, s0, v3
	v_add_nc_u32_e32 v8, v8, v12
	s_delay_alu instid0(VALU_DEP_2) | instskip(NEXT) | instid1(VALU_DEP_2)
	v_mul_hi_u32 v12, v3, v10
	v_mul_lo_u32 v15, v3, v8
	v_mul_hi_u32 v16, v3, v8
	v_mul_hi_u32 v17, v5, v10
	v_mul_lo_u32 v10, v5, v10
	v_mul_hi_u32 v18, v5, v8
	v_mul_lo_u32 v8, v5, v8
	v_add_co_u32 v12, vcc_lo, v12, v15
	v_add_co_ci_u32_e32 v15, vcc_lo, 0, v16, vcc_lo
	s_delay_alu instid0(VALU_DEP_2) | instskip(NEXT) | instid1(VALU_DEP_2)
	v_add_co_u32 v10, vcc_lo, v12, v10
	v_add_co_ci_u32_e32 v10, vcc_lo, v15, v17, vcc_lo
	v_add_co_ci_u32_e32 v12, vcc_lo, 0, v18, vcc_lo
	v_add_co_u32 v15, vcc_lo, v13, v20
	v_add_co_ci_u32_e32 v14, vcc_lo, v14, v20, vcc_lo
	s_delay_alu instid0(VALU_DEP_4) | instskip(NEXT) | instid1(VALU_DEP_4)
	v_add_co_u32 v8, vcc_lo, v10, v8
	v_add_co_ci_u32_e32 v10, vcc_lo, 0, v12, vcc_lo
	s_delay_alu instid0(VALU_DEP_4) | instskip(NEXT) | instid1(VALU_DEP_3)
	v_xor_b32_e32 v12, v15, v20
	v_add_co_u32 v3, vcc_lo, v3, v8
	s_delay_alu instid0(VALU_DEP_3) | instskip(SKIP_1) | instid1(VALU_DEP_3)
	v_add_co_ci_u32_e32 v5, vcc_lo, v5, v10, vcc_lo
	v_xor_b32_e32 v8, v14, v20
	v_mul_hi_u32 v10, v12, v3
	s_delay_alu instid0(VALU_DEP_3) | instskip(NEXT) | instid1(VALU_DEP_3)
	v_mad_u64_u32 v[14:15], null, v12, v5, 0
	v_mad_u64_u32 v[16:17], null, v8, v3, 0
	;; [unrolled: 1-line block ×3, first 2 shown]
	s_delay_alu instid0(VALU_DEP_3) | instskip(NEXT) | instid1(VALU_DEP_4)
	v_add_co_u32 v3, vcc_lo, v10, v14
	v_add_co_ci_u32_e32 v5, vcc_lo, 0, v15, vcc_lo
	s_delay_alu instid0(VALU_DEP_2) | instskip(NEXT) | instid1(VALU_DEP_2)
	v_add_co_u32 v3, vcc_lo, v3, v16
	v_add_co_ci_u32_e32 v3, vcc_lo, v5, v17, vcc_lo
	v_add_co_ci_u32_e32 v5, vcc_lo, 0, v19, vcc_lo
	s_delay_alu instid0(VALU_DEP_2) | instskip(NEXT) | instid1(VALU_DEP_2)
	v_add_co_u32 v3, vcc_lo, v3, v18
	v_add_co_ci_u32_e32 v5, vcc_lo, 0, v5, vcc_lo
	s_delay_alu instid0(VALU_DEP_2) | instskip(SKIP_1) | instid1(VALU_DEP_3)
	v_mul_lo_u32 v10, s23, v3
	v_mad_u64_u32 v[14:15], null, s22, v3, 0
	v_mul_lo_u32 v16, s22, v5
	s_delay_alu instid0(VALU_DEP_2) | instskip(NEXT) | instid1(VALU_DEP_2)
	v_sub_co_u32 v12, vcc_lo, v12, v14
	v_add3_u32 v10, v15, v16, v10
	s_delay_alu instid0(VALU_DEP_1) | instskip(NEXT) | instid1(VALU_DEP_1)
	v_sub_nc_u32_e32 v15, v8, v10
	v_subrev_co_ci_u32_e64 v14, s0, s23, v15, vcc_lo
	v_add_co_u32 v15, s0, v3, 2
	s_delay_alu instid0(VALU_DEP_1) | instskip(SKIP_3) | instid1(VALU_DEP_3)
	v_add_co_ci_u32_e64 v16, s0, 0, v5, s0
	v_sub_co_u32 v17, s0, v12, s22
	v_sub_co_ci_u32_e32 v8, vcc_lo, v8, v10, vcc_lo
	v_subrev_co_ci_u32_e64 v14, s0, 0, v14, s0
	v_cmp_le_u32_e32 vcc_lo, s22, v17
	s_delay_alu instid0(VALU_DEP_3) | instskip(SKIP_1) | instid1(VALU_DEP_4)
	v_cmp_eq_u32_e64 s0, s23, v8
	v_cndmask_b32_e64 v10, 0, -1, vcc_lo
	v_cmp_le_u32_e32 vcc_lo, s23, v14
	v_cndmask_b32_e64 v17, 0, -1, vcc_lo
	v_cmp_le_u32_e32 vcc_lo, s22, v12
	;; [unrolled: 2-line block ×3, first 2 shown]
	v_cndmask_b32_e64 v18, 0, -1, vcc_lo
	v_cmp_eq_u32_e32 vcc_lo, s23, v14
	s_delay_alu instid0(VALU_DEP_2) | instskip(SKIP_3) | instid1(VALU_DEP_3)
	v_cndmask_b32_e64 v8, v18, v12, s0
	v_cndmask_b32_e32 v10, v17, v10, vcc_lo
	v_add_co_u32 v14, vcc_lo, v3, 1
	v_add_co_ci_u32_e32 v17, vcc_lo, 0, v5, vcc_lo
	v_cmp_ne_u32_e32 vcc_lo, 0, v10
	s_delay_alu instid0(VALU_DEP_2) | instskip(NEXT) | instid1(VALU_DEP_4)
	v_cndmask_b32_e32 v10, v17, v16, vcc_lo
	v_cndmask_b32_e32 v12, v14, v15, vcc_lo
	v_cmp_ne_u32_e32 vcc_lo, 0, v8
	v_xor_b32_e32 v8, s20, v20
	s_delay_alu instid0(VALU_DEP_4) | instskip(NEXT) | instid1(VALU_DEP_4)
	v_cndmask_b32_e32 v5, v5, v10, vcc_lo
	v_cndmask_b32_e32 v3, v3, v12, vcc_lo
	v_xor_b32_e32 v10, s21, v20
	s_delay_alu instid0(VALU_DEP_2) | instskip(NEXT) | instid1(VALU_DEP_2)
	v_xor_b32_e32 v3, v3, v8
	v_xor_b32_e32 v5, v5, v10
	s_delay_alu instid0(VALU_DEP_2) | instskip(NEXT) | instid1(VALU_DEP_2)
	v_sub_co_u32 v15, vcc_lo, v3, v8
	v_sub_co_ci_u32_e32 v16, vcc_lo, v5, v10, vcc_lo
.LBB40_38:                              ;   in Loop: Header=BB40_24 Depth=2
	s_and_not1_saveexec_b32 s0, s14
	s_cbranch_execz .LBB40_40
; %bb.39:                               ;   in Loop: Header=BB40_24 Depth=2
	v_cvt_f32_u32_e32 v3, s47
	s_sub_i32 s14, 0, s47
	v_mov_b32_e32 v16, v2
	s_delay_alu instid0(VALU_DEP_2) | instskip(SKIP_2) | instid1(VALU_DEP_1)
	v_rcp_iflag_f32_e32 v3, v3
	s_waitcnt_depctr 0xfff
	v_mul_f32_e32 v3, 0x4f7ffffe, v3
	v_cvt_u32_f32_e32 v3, v3
	s_delay_alu instid0(VALU_DEP_1) | instskip(NEXT) | instid1(VALU_DEP_1)
	v_mul_lo_u32 v5, s14, v3
	v_mul_hi_u32 v5, v3, v5
	s_delay_alu instid0(VALU_DEP_1) | instskip(NEXT) | instid1(VALU_DEP_1)
	v_add_nc_u32_e32 v3, v3, v5
	v_mul_hi_u32 v3, v13, v3
	s_delay_alu instid0(VALU_DEP_1) | instskip(NEXT) | instid1(VALU_DEP_1)
	v_mul_lo_u32 v5, v3, s47
	v_sub_nc_u32_e32 v5, v13, v5
	s_delay_alu instid0(VALU_DEP_1) | instskip(SKIP_1) | instid1(VALU_DEP_2)
	v_subrev_nc_u32_e32 v10, s47, v5
	v_cmp_le_u32_e32 vcc_lo, s47, v5
	v_dual_cndmask_b32 v5, v5, v10 :: v_dual_add_nc_u32 v8, 1, v3
	s_delay_alu instid0(VALU_DEP_1) | instskip(NEXT) | instid1(VALU_DEP_2)
	v_cndmask_b32_e32 v3, v3, v8, vcc_lo
	v_cmp_le_u32_e32 vcc_lo, s47, v5
	s_delay_alu instid0(VALU_DEP_2) | instskip(NEXT) | instid1(VALU_DEP_1)
	v_add_nc_u32_e32 v8, 1, v3
	v_cndmask_b32_e32 v15, v3, v8, vcc_lo
.LBB40_40:                              ;   in Loop: Header=BB40_24 Depth=2
	s_or_b32 exec_lo, exec_lo, s0
	s_add_u32 s20, s30, s18
	s_addc_u32 s21, s1, s19
	s_add_i32 s14, s16, 3
                                        ; implicit-def: $vgpr17_vgpr18
	s_delay_alu instid0(SALU_CYCLE_1)
	s_lshl_b64 s[18:19], s[14:15], 2
	s_mov_b32 s14, exec_lo
	s_add_u32 s22, s26, s18
	s_addc_u32 s23, s27, s19
	s_clause 0x1
	s_load_b32 s49, s[22:23], 0x0
	s_load_b32 s48, s[20:21], 0x0
	s_waitcnt lgkmcnt(0)
	s_ashr_i32 s0, s49, 31
	s_delay_alu instid0(SALU_CYCLE_1) | instskip(NEXT) | instid1(VALU_DEP_1)
	v_or_b32_e32 v3, s0, v16
	v_cmpx_ne_u64_e32 0, v[2:3]
	s_xor_b32 s14, exec_lo, s14
	s_cbranch_execz .LBB40_42
; %bb.41:                               ;   in Loop: Header=BB40_24 Depth=2
	s_add_u32 s22, s49, s0
	s_mov_b32 s20, s0
	s_mov_b32 s21, s0
	s_addc_u32 s23, s0, s0
	v_ashrrev_i32_e32 v22, 31, v16
	s_xor_b64 s[22:23], s[22:23], s[20:21]
	s_delay_alu instid0(SALU_CYCLE_1) | instskip(SKIP_3) | instid1(VALU_DEP_1)
	v_cvt_f32_u32_e32 v3, s22
	v_cvt_f32_u32_e32 v5, s23
	s_sub_u32 s0, 0, s22
	s_subb_u32 s17, 0, s23
	v_fmac_f32_e32 v3, 0x4f800000, v5
	s_delay_alu instid0(VALU_DEP_1) | instskip(SKIP_2) | instid1(VALU_DEP_1)
	v_rcp_f32_e32 v3, v3
	s_waitcnt_depctr 0xfff
	v_mul_f32_e32 v3, 0x5f7ffffc, v3
	v_mul_f32_e32 v5, 0x2f800000, v3
	s_delay_alu instid0(VALU_DEP_1) | instskip(NEXT) | instid1(VALU_DEP_1)
	v_trunc_f32_e32 v5, v5
	v_fmac_f32_e32 v3, 0xcf800000, v5
	v_cvt_u32_f32_e32 v5, v5
	s_delay_alu instid0(VALU_DEP_2) | instskip(NEXT) | instid1(VALU_DEP_2)
	v_cvt_u32_f32_e32 v3, v3
	v_mul_lo_u32 v8, s0, v5
	s_delay_alu instid0(VALU_DEP_2) | instskip(SKIP_1) | instid1(VALU_DEP_2)
	v_mul_hi_u32 v10, s0, v3
	v_mul_lo_u32 v12, s17, v3
	v_add_nc_u32_e32 v8, v10, v8
	v_mul_lo_u32 v10, s0, v3
	s_delay_alu instid0(VALU_DEP_2) | instskip(NEXT) | instid1(VALU_DEP_2)
	v_add_nc_u32_e32 v8, v8, v12
	v_mul_hi_u32 v12, v3, v10
	s_delay_alu instid0(VALU_DEP_2)
	v_mul_lo_u32 v14, v3, v8
	v_mul_hi_u32 v17, v3, v8
	v_mul_hi_u32 v18, v5, v10
	v_mul_lo_u32 v10, v5, v10
	v_mul_hi_u32 v19, v5, v8
	v_mul_lo_u32 v8, v5, v8
	v_add_co_u32 v12, vcc_lo, v12, v14
	v_add_co_ci_u32_e32 v14, vcc_lo, 0, v17, vcc_lo
	s_delay_alu instid0(VALU_DEP_2) | instskip(NEXT) | instid1(VALU_DEP_2)
	v_add_co_u32 v10, vcc_lo, v12, v10
	v_add_co_ci_u32_e32 v10, vcc_lo, v14, v18, vcc_lo
	v_add_co_ci_u32_e32 v12, vcc_lo, 0, v19, vcc_lo
	s_delay_alu instid0(VALU_DEP_2) | instskip(NEXT) | instid1(VALU_DEP_2)
	v_add_co_u32 v8, vcc_lo, v10, v8
	v_add_co_ci_u32_e32 v10, vcc_lo, 0, v12, vcc_lo
	s_delay_alu instid0(VALU_DEP_2) | instskip(NEXT) | instid1(VALU_DEP_2)
	v_add_co_u32 v3, vcc_lo, v3, v8
	v_add_co_ci_u32_e32 v5, vcc_lo, v5, v10, vcc_lo
	s_delay_alu instid0(VALU_DEP_2) | instskip(SKIP_1) | instid1(VALU_DEP_3)
	v_mul_hi_u32 v8, s0, v3
	v_mul_lo_u32 v12, s17, v3
	v_mul_lo_u32 v10, s0, v5
	s_delay_alu instid0(VALU_DEP_1) | instskip(SKIP_1) | instid1(VALU_DEP_2)
	v_add_nc_u32_e32 v8, v8, v10
	v_mul_lo_u32 v10, s0, v3
	v_add_nc_u32_e32 v8, v8, v12
	s_delay_alu instid0(VALU_DEP_2) | instskip(NEXT) | instid1(VALU_DEP_2)
	v_mul_hi_u32 v12, v3, v10
	v_mul_lo_u32 v14, v3, v8
	v_mul_hi_u32 v17, v3, v8
	v_mul_hi_u32 v18, v5, v10
	v_mul_lo_u32 v10, v5, v10
	v_mul_hi_u32 v19, v5, v8
	v_mul_lo_u32 v8, v5, v8
	v_add_co_u32 v12, vcc_lo, v12, v14
	v_add_co_ci_u32_e32 v14, vcc_lo, 0, v17, vcc_lo
	s_delay_alu instid0(VALU_DEP_2) | instskip(NEXT) | instid1(VALU_DEP_2)
	v_add_co_u32 v10, vcc_lo, v12, v10
	v_add_co_ci_u32_e32 v10, vcc_lo, v14, v18, vcc_lo
	v_add_co_ci_u32_e32 v12, vcc_lo, 0, v19, vcc_lo
	v_add_co_u32 v14, vcc_lo, v15, v22
	v_add_co_ci_u32_e32 v16, vcc_lo, v16, v22, vcc_lo
	s_delay_alu instid0(VALU_DEP_4) | instskip(NEXT) | instid1(VALU_DEP_4)
	v_add_co_u32 v8, vcc_lo, v10, v8
	v_add_co_ci_u32_e32 v10, vcc_lo, 0, v12, vcc_lo
	s_delay_alu instid0(VALU_DEP_4) | instskip(NEXT) | instid1(VALU_DEP_3)
	v_xor_b32_e32 v12, v14, v22
	v_add_co_u32 v3, vcc_lo, v3, v8
	s_delay_alu instid0(VALU_DEP_3) | instskip(SKIP_1) | instid1(VALU_DEP_3)
	v_add_co_ci_u32_e32 v5, vcc_lo, v5, v10, vcc_lo
	v_xor_b32_e32 v8, v16, v22
	v_mul_hi_u32 v10, v12, v3
	s_delay_alu instid0(VALU_DEP_3) | instskip(NEXT) | instid1(VALU_DEP_3)
	v_mad_u64_u32 v[16:17], null, v12, v5, 0
	v_mad_u64_u32 v[18:19], null, v8, v3, 0
	;; [unrolled: 1-line block ×3, first 2 shown]
	s_delay_alu instid0(VALU_DEP_3) | instskip(NEXT) | instid1(VALU_DEP_4)
	v_add_co_u32 v3, vcc_lo, v10, v16
	v_add_co_ci_u32_e32 v5, vcc_lo, 0, v17, vcc_lo
	s_delay_alu instid0(VALU_DEP_2) | instskip(NEXT) | instid1(VALU_DEP_2)
	v_add_co_u32 v3, vcc_lo, v3, v18
	v_add_co_ci_u32_e32 v3, vcc_lo, v5, v19, vcc_lo
	v_add_co_ci_u32_e32 v5, vcc_lo, 0, v21, vcc_lo
	s_delay_alu instid0(VALU_DEP_2) | instskip(NEXT) | instid1(VALU_DEP_2)
	v_add_co_u32 v3, vcc_lo, v3, v20
	v_add_co_ci_u32_e32 v5, vcc_lo, 0, v5, vcc_lo
	s_delay_alu instid0(VALU_DEP_2) | instskip(SKIP_1) | instid1(VALU_DEP_3)
	v_mul_lo_u32 v10, s23, v3
	v_mad_u64_u32 v[16:17], null, s22, v3, 0
	v_mul_lo_u32 v14, s22, v5
	s_delay_alu instid0(VALU_DEP_2) | instskip(NEXT) | instid1(VALU_DEP_2)
	v_sub_co_u32 v12, vcc_lo, v12, v16
	v_add3_u32 v10, v17, v14, v10
	s_delay_alu instid0(VALU_DEP_1) | instskip(NEXT) | instid1(VALU_DEP_1)
	v_sub_nc_u32_e32 v14, v8, v10
	v_subrev_co_ci_u32_e64 v14, s0, s23, v14, vcc_lo
	v_add_co_u32 v16, s0, v3, 2
	s_delay_alu instid0(VALU_DEP_1) | instskip(SKIP_3) | instid1(VALU_DEP_3)
	v_add_co_ci_u32_e64 v17, s0, 0, v5, s0
	v_sub_co_u32 v18, s0, v12, s22
	v_sub_co_ci_u32_e32 v8, vcc_lo, v8, v10, vcc_lo
	v_subrev_co_ci_u32_e64 v14, s0, 0, v14, s0
	v_cmp_le_u32_e32 vcc_lo, s22, v18
	s_delay_alu instid0(VALU_DEP_3) | instskip(SKIP_1) | instid1(VALU_DEP_4)
	v_cmp_eq_u32_e64 s0, s23, v8
	v_cndmask_b32_e64 v10, 0, -1, vcc_lo
	v_cmp_le_u32_e32 vcc_lo, s23, v14
	v_cndmask_b32_e64 v18, 0, -1, vcc_lo
	v_cmp_le_u32_e32 vcc_lo, s22, v12
	;; [unrolled: 2-line block ×3, first 2 shown]
	v_cndmask_b32_e64 v19, 0, -1, vcc_lo
	v_cmp_eq_u32_e32 vcc_lo, s23, v14
	s_delay_alu instid0(VALU_DEP_2) | instskip(SKIP_3) | instid1(VALU_DEP_3)
	v_cndmask_b32_e64 v8, v19, v12, s0
	v_cndmask_b32_e32 v10, v18, v10, vcc_lo
	v_add_co_u32 v14, vcc_lo, v3, 1
	v_add_co_ci_u32_e32 v18, vcc_lo, 0, v5, vcc_lo
	v_cmp_ne_u32_e32 vcc_lo, 0, v10
	s_delay_alu instid0(VALU_DEP_2) | instskip(NEXT) | instid1(VALU_DEP_4)
	v_cndmask_b32_e32 v10, v18, v17, vcc_lo
	v_cndmask_b32_e32 v12, v14, v16, vcc_lo
	v_cmp_ne_u32_e32 vcc_lo, 0, v8
	v_xor_b32_e32 v8, s20, v22
	s_delay_alu instid0(VALU_DEP_4) | instskip(NEXT) | instid1(VALU_DEP_4)
	v_cndmask_b32_e32 v5, v5, v10, vcc_lo
	v_cndmask_b32_e32 v3, v3, v12, vcc_lo
	v_xor_b32_e32 v10, s21, v22
	s_delay_alu instid0(VALU_DEP_2) | instskip(NEXT) | instid1(VALU_DEP_2)
	v_xor_b32_e32 v3, v3, v8
	v_xor_b32_e32 v5, v5, v10
	s_delay_alu instid0(VALU_DEP_2) | instskip(NEXT) | instid1(VALU_DEP_2)
	v_sub_co_u32 v17, vcc_lo, v3, v8
	v_sub_co_ci_u32_e32 v18, vcc_lo, v5, v10, vcc_lo
.LBB40_42:                              ;   in Loop: Header=BB40_24 Depth=2
	s_and_not1_saveexec_b32 s0, s14
	s_cbranch_execz .LBB40_44
; %bb.43:                               ;   in Loop: Header=BB40_24 Depth=2
	v_cvt_f32_u32_e32 v3, s49
	s_sub_i32 s14, 0, s49
	v_mov_b32_e32 v18, v2
	s_delay_alu instid0(VALU_DEP_2) | instskip(SKIP_2) | instid1(VALU_DEP_1)
	v_rcp_iflag_f32_e32 v3, v3
	s_waitcnt_depctr 0xfff
	v_mul_f32_e32 v3, 0x4f7ffffe, v3
	v_cvt_u32_f32_e32 v3, v3
	s_delay_alu instid0(VALU_DEP_1) | instskip(NEXT) | instid1(VALU_DEP_1)
	v_mul_lo_u32 v5, s14, v3
	v_mul_hi_u32 v5, v3, v5
	s_delay_alu instid0(VALU_DEP_1) | instskip(NEXT) | instid1(VALU_DEP_1)
	v_add_nc_u32_e32 v3, v3, v5
	v_mul_hi_u32 v3, v15, v3
	s_delay_alu instid0(VALU_DEP_1) | instskip(NEXT) | instid1(VALU_DEP_1)
	v_mul_lo_u32 v5, v3, s49
	v_sub_nc_u32_e32 v5, v15, v5
	s_delay_alu instid0(VALU_DEP_1) | instskip(SKIP_1) | instid1(VALU_DEP_2)
	v_subrev_nc_u32_e32 v10, s49, v5
	v_cmp_le_u32_e32 vcc_lo, s49, v5
	v_dual_cndmask_b32 v5, v5, v10 :: v_dual_add_nc_u32 v8, 1, v3
	s_delay_alu instid0(VALU_DEP_1) | instskip(NEXT) | instid1(VALU_DEP_2)
	v_cndmask_b32_e32 v3, v3, v8, vcc_lo
	v_cmp_le_u32_e32 vcc_lo, s49, v5
	s_delay_alu instid0(VALU_DEP_2) | instskip(NEXT) | instid1(VALU_DEP_1)
	v_add_nc_u32_e32 v8, 1, v3
	v_cndmask_b32_e32 v17, v3, v8, vcc_lo
.LBB40_44:                              ;   in Loop: Header=BB40_24 Depth=2
	s_or_b32 exec_lo, exec_lo, s0
	s_add_u32 s20, s30, s18
	s_addc_u32 s21, s1, s19
	s_add_i32 s14, s16, 2
                                        ; implicit-def: $vgpr19_vgpr20
	s_delay_alu instid0(SALU_CYCLE_1)
	s_lshl_b64 s[18:19], s[14:15], 2
	s_mov_b32 s14, exec_lo
	s_add_u32 s22, s26, s18
	s_addc_u32 s23, s27, s19
	s_clause 0x1
	s_load_b32 s51, s[22:23], 0x0
	s_load_b32 s50, s[20:21], 0x0
	s_waitcnt lgkmcnt(0)
	s_ashr_i32 s0, s51, 31
	s_delay_alu instid0(SALU_CYCLE_1) | instskip(NEXT) | instid1(VALU_DEP_1)
	v_or_b32_e32 v3, s0, v18
	v_cmpx_ne_u64_e32 0, v[2:3]
	s_xor_b32 s14, exec_lo, s14
	s_cbranch_execz .LBB40_46
; %bb.45:                               ;   in Loop: Header=BB40_24 Depth=2
	s_add_u32 s22, s51, s0
	s_mov_b32 s20, s0
	s_mov_b32 s21, s0
	s_addc_u32 s23, s0, s0
	v_ashrrev_i32_e32 v24, 31, v18
	s_xor_b64 s[22:23], s[22:23], s[20:21]
	s_delay_alu instid0(SALU_CYCLE_1) | instskip(SKIP_3) | instid1(VALU_DEP_1)
	v_cvt_f32_u32_e32 v3, s22
	v_cvt_f32_u32_e32 v5, s23
	s_sub_u32 s0, 0, s22
	s_subb_u32 s17, 0, s23
	v_fmac_f32_e32 v3, 0x4f800000, v5
	s_delay_alu instid0(VALU_DEP_1) | instskip(SKIP_2) | instid1(VALU_DEP_1)
	v_rcp_f32_e32 v3, v3
	s_waitcnt_depctr 0xfff
	v_mul_f32_e32 v3, 0x5f7ffffc, v3
	v_mul_f32_e32 v5, 0x2f800000, v3
	s_delay_alu instid0(VALU_DEP_1) | instskip(NEXT) | instid1(VALU_DEP_1)
	v_trunc_f32_e32 v5, v5
	v_fmac_f32_e32 v3, 0xcf800000, v5
	v_cvt_u32_f32_e32 v5, v5
	s_delay_alu instid0(VALU_DEP_2) | instskip(NEXT) | instid1(VALU_DEP_2)
	v_cvt_u32_f32_e32 v3, v3
	v_mul_lo_u32 v8, s0, v5
	s_delay_alu instid0(VALU_DEP_2) | instskip(SKIP_1) | instid1(VALU_DEP_2)
	v_mul_hi_u32 v10, s0, v3
	v_mul_lo_u32 v12, s17, v3
	v_add_nc_u32_e32 v8, v10, v8
	v_mul_lo_u32 v10, s0, v3
	s_delay_alu instid0(VALU_DEP_2) | instskip(NEXT) | instid1(VALU_DEP_2)
	v_add_nc_u32_e32 v8, v8, v12
	v_mul_hi_u32 v12, v3, v10
	s_delay_alu instid0(VALU_DEP_2)
	v_mul_lo_u32 v14, v3, v8
	v_mul_hi_u32 v16, v3, v8
	v_mul_hi_u32 v19, v5, v10
	v_mul_lo_u32 v10, v5, v10
	v_mul_hi_u32 v20, v5, v8
	v_mul_lo_u32 v8, v5, v8
	v_add_co_u32 v12, vcc_lo, v12, v14
	v_add_co_ci_u32_e32 v14, vcc_lo, 0, v16, vcc_lo
	s_delay_alu instid0(VALU_DEP_2) | instskip(NEXT) | instid1(VALU_DEP_2)
	v_add_co_u32 v10, vcc_lo, v12, v10
	v_add_co_ci_u32_e32 v10, vcc_lo, v14, v19, vcc_lo
	v_add_co_ci_u32_e32 v12, vcc_lo, 0, v20, vcc_lo
	s_delay_alu instid0(VALU_DEP_2) | instskip(NEXT) | instid1(VALU_DEP_2)
	v_add_co_u32 v8, vcc_lo, v10, v8
	v_add_co_ci_u32_e32 v10, vcc_lo, 0, v12, vcc_lo
	s_delay_alu instid0(VALU_DEP_2) | instskip(NEXT) | instid1(VALU_DEP_2)
	v_add_co_u32 v3, vcc_lo, v3, v8
	v_add_co_ci_u32_e32 v5, vcc_lo, v5, v10, vcc_lo
	s_delay_alu instid0(VALU_DEP_2) | instskip(SKIP_1) | instid1(VALU_DEP_3)
	v_mul_hi_u32 v8, s0, v3
	v_mul_lo_u32 v12, s17, v3
	v_mul_lo_u32 v10, s0, v5
	s_delay_alu instid0(VALU_DEP_1) | instskip(SKIP_1) | instid1(VALU_DEP_2)
	v_add_nc_u32_e32 v8, v8, v10
	v_mul_lo_u32 v10, s0, v3
	v_add_nc_u32_e32 v8, v8, v12
	s_delay_alu instid0(VALU_DEP_2) | instskip(NEXT) | instid1(VALU_DEP_2)
	v_mul_hi_u32 v12, v3, v10
	v_mul_lo_u32 v14, v3, v8
	v_mul_hi_u32 v16, v3, v8
	v_mul_hi_u32 v19, v5, v10
	v_mul_lo_u32 v10, v5, v10
	v_mul_hi_u32 v20, v5, v8
	v_mul_lo_u32 v8, v5, v8
	v_add_co_u32 v12, vcc_lo, v12, v14
	v_add_co_ci_u32_e32 v14, vcc_lo, 0, v16, vcc_lo
	s_delay_alu instid0(VALU_DEP_2) | instskip(NEXT) | instid1(VALU_DEP_2)
	v_add_co_u32 v10, vcc_lo, v12, v10
	v_add_co_ci_u32_e32 v10, vcc_lo, v14, v19, vcc_lo
	v_add_co_ci_u32_e32 v12, vcc_lo, 0, v20, vcc_lo
	v_add_co_u32 v14, vcc_lo, v17, v24
	v_add_co_ci_u32_e32 v16, vcc_lo, v18, v24, vcc_lo
	s_delay_alu instid0(VALU_DEP_4) | instskip(NEXT) | instid1(VALU_DEP_4)
	v_add_co_u32 v8, vcc_lo, v10, v8
	v_add_co_ci_u32_e32 v10, vcc_lo, 0, v12, vcc_lo
	s_delay_alu instid0(VALU_DEP_4) | instskip(NEXT) | instid1(VALU_DEP_3)
	v_xor_b32_e32 v12, v14, v24
	v_add_co_u32 v3, vcc_lo, v3, v8
	s_delay_alu instid0(VALU_DEP_3) | instskip(SKIP_1) | instid1(VALU_DEP_3)
	v_add_co_ci_u32_e32 v5, vcc_lo, v5, v10, vcc_lo
	v_xor_b32_e32 v8, v16, v24
	v_mul_hi_u32 v10, v12, v3
	s_delay_alu instid0(VALU_DEP_3) | instskip(NEXT) | instid1(VALU_DEP_3)
	v_mad_u64_u32 v[18:19], null, v12, v5, 0
	v_mad_u64_u32 v[20:21], null, v8, v3, 0
	;; [unrolled: 1-line block ×3, first 2 shown]
	s_delay_alu instid0(VALU_DEP_3) | instskip(NEXT) | instid1(VALU_DEP_4)
	v_add_co_u32 v3, vcc_lo, v10, v18
	v_add_co_ci_u32_e32 v5, vcc_lo, 0, v19, vcc_lo
	s_delay_alu instid0(VALU_DEP_2) | instskip(NEXT) | instid1(VALU_DEP_2)
	v_add_co_u32 v3, vcc_lo, v3, v20
	v_add_co_ci_u32_e32 v3, vcc_lo, v5, v21, vcc_lo
	v_add_co_ci_u32_e32 v5, vcc_lo, 0, v23, vcc_lo
	s_delay_alu instid0(VALU_DEP_2) | instskip(NEXT) | instid1(VALU_DEP_2)
	v_add_co_u32 v3, vcc_lo, v3, v22
	v_add_co_ci_u32_e32 v5, vcc_lo, 0, v5, vcc_lo
	s_delay_alu instid0(VALU_DEP_2) | instskip(SKIP_1) | instid1(VALU_DEP_3)
	v_mul_lo_u32 v10, s23, v3
	v_mad_u64_u32 v[18:19], null, s22, v3, 0
	v_mul_lo_u32 v14, s22, v5
	s_delay_alu instid0(VALU_DEP_2) | instskip(NEXT) | instid1(VALU_DEP_2)
	v_sub_co_u32 v12, vcc_lo, v12, v18
	v_add3_u32 v10, v19, v14, v10
	s_delay_alu instid0(VALU_DEP_1) | instskip(NEXT) | instid1(VALU_DEP_1)
	v_sub_nc_u32_e32 v14, v8, v10
	v_subrev_co_ci_u32_e64 v14, s0, s23, v14, vcc_lo
	v_add_co_u32 v16, s0, v3, 2
	s_delay_alu instid0(VALU_DEP_1) | instskip(SKIP_3) | instid1(VALU_DEP_3)
	v_add_co_ci_u32_e64 v18, s0, 0, v5, s0
	v_sub_co_u32 v19, s0, v12, s22
	v_sub_co_ci_u32_e32 v8, vcc_lo, v8, v10, vcc_lo
	v_subrev_co_ci_u32_e64 v14, s0, 0, v14, s0
	v_cmp_le_u32_e32 vcc_lo, s22, v19
	s_delay_alu instid0(VALU_DEP_3) | instskip(SKIP_1) | instid1(VALU_DEP_4)
	v_cmp_eq_u32_e64 s0, s23, v8
	v_cndmask_b32_e64 v10, 0, -1, vcc_lo
	v_cmp_le_u32_e32 vcc_lo, s23, v14
	v_cndmask_b32_e64 v19, 0, -1, vcc_lo
	v_cmp_le_u32_e32 vcc_lo, s22, v12
	;; [unrolled: 2-line block ×3, first 2 shown]
	v_cndmask_b32_e64 v20, 0, -1, vcc_lo
	v_cmp_eq_u32_e32 vcc_lo, s23, v14
	s_delay_alu instid0(VALU_DEP_2) | instskip(SKIP_3) | instid1(VALU_DEP_3)
	v_cndmask_b32_e64 v8, v20, v12, s0
	v_cndmask_b32_e32 v10, v19, v10, vcc_lo
	v_add_co_u32 v14, vcc_lo, v3, 1
	v_add_co_ci_u32_e32 v19, vcc_lo, 0, v5, vcc_lo
	v_cmp_ne_u32_e32 vcc_lo, 0, v10
	s_delay_alu instid0(VALU_DEP_2) | instskip(NEXT) | instid1(VALU_DEP_4)
	v_cndmask_b32_e32 v10, v19, v18, vcc_lo
	v_cndmask_b32_e32 v12, v14, v16, vcc_lo
	v_cmp_ne_u32_e32 vcc_lo, 0, v8
	v_xor_b32_e32 v8, s20, v24
	s_delay_alu instid0(VALU_DEP_4) | instskip(NEXT) | instid1(VALU_DEP_4)
	v_cndmask_b32_e32 v5, v5, v10, vcc_lo
	v_cndmask_b32_e32 v3, v3, v12, vcc_lo
	v_xor_b32_e32 v10, s21, v24
	s_delay_alu instid0(VALU_DEP_2) | instskip(NEXT) | instid1(VALU_DEP_2)
	v_xor_b32_e32 v3, v3, v8
	v_xor_b32_e32 v5, v5, v10
	s_delay_alu instid0(VALU_DEP_2) | instskip(NEXT) | instid1(VALU_DEP_2)
	v_sub_co_u32 v19, vcc_lo, v3, v8
	v_sub_co_ci_u32_e32 v20, vcc_lo, v5, v10, vcc_lo
.LBB40_46:                              ;   in Loop: Header=BB40_24 Depth=2
	s_and_not1_saveexec_b32 s0, s14
	s_cbranch_execz .LBB40_48
; %bb.47:                               ;   in Loop: Header=BB40_24 Depth=2
	v_cvt_f32_u32_e32 v3, s51
	s_sub_i32 s14, 0, s51
	v_mov_b32_e32 v20, v2
	s_delay_alu instid0(VALU_DEP_2) | instskip(SKIP_2) | instid1(VALU_DEP_1)
	v_rcp_iflag_f32_e32 v3, v3
	s_waitcnt_depctr 0xfff
	v_mul_f32_e32 v3, 0x4f7ffffe, v3
	v_cvt_u32_f32_e32 v3, v3
	s_delay_alu instid0(VALU_DEP_1) | instskip(NEXT) | instid1(VALU_DEP_1)
	v_mul_lo_u32 v5, s14, v3
	v_mul_hi_u32 v5, v3, v5
	s_delay_alu instid0(VALU_DEP_1) | instskip(NEXT) | instid1(VALU_DEP_1)
	v_add_nc_u32_e32 v3, v3, v5
	v_mul_hi_u32 v3, v17, v3
	s_delay_alu instid0(VALU_DEP_1) | instskip(NEXT) | instid1(VALU_DEP_1)
	v_mul_lo_u32 v5, v3, s51
	v_sub_nc_u32_e32 v5, v17, v5
	s_delay_alu instid0(VALU_DEP_1) | instskip(SKIP_1) | instid1(VALU_DEP_2)
	v_subrev_nc_u32_e32 v10, s51, v5
	v_cmp_le_u32_e32 vcc_lo, s51, v5
	v_dual_cndmask_b32 v5, v5, v10 :: v_dual_add_nc_u32 v8, 1, v3
	s_delay_alu instid0(VALU_DEP_1) | instskip(NEXT) | instid1(VALU_DEP_2)
	v_cndmask_b32_e32 v3, v3, v8, vcc_lo
	v_cmp_le_u32_e32 vcc_lo, s51, v5
	s_delay_alu instid0(VALU_DEP_2) | instskip(NEXT) | instid1(VALU_DEP_1)
	v_add_nc_u32_e32 v8, 1, v3
	v_cndmask_b32_e32 v19, v3, v8, vcc_lo
.LBB40_48:                              ;   in Loop: Header=BB40_24 Depth=2
	s_or_b32 exec_lo, exec_lo, s0
	s_add_u32 s20, s30, s18
	s_addc_u32 s21, s1, s19
	s_add_i32 s14, s16, 1
	s_mov_b32 s17, exec_lo
	s_lshl_b64 s[18:19], s[14:15], 2
                                        ; implicit-def: $vgpr21_vgpr22
	s_delay_alu instid0(SALU_CYCLE_1)
	s_add_u32 s22, s26, s18
	s_addc_u32 s23, s27, s19
	s_clause 0x1
	s_load_b32 s52, s[22:23], 0x0
	s_load_b32 s14, s[20:21], 0x0
	s_waitcnt lgkmcnt(0)
	s_ashr_i32 s0, s52, 31
	s_delay_alu instid0(SALU_CYCLE_1) | instskip(NEXT) | instid1(VALU_DEP_1)
	v_or_b32_e32 v3, s0, v20
	v_cmpx_ne_u64_e32 0, v[2:3]
	s_xor_b32 s17, exec_lo, s17
	s_cbranch_execz .LBB40_50
; %bb.49:                               ;   in Loop: Header=BB40_24 Depth=2
	s_add_u32 s22, s52, s0
	s_mov_b32 s20, s0
	s_mov_b32 s21, s0
	s_addc_u32 s23, s0, s0
	s_delay_alu instid0(SALU_CYCLE_1) | instskip(NEXT) | instid1(SALU_CYCLE_1)
	s_xor_b64 s[22:23], s[22:23], s[20:21]
	v_cvt_f32_u32_e32 v3, s22
	v_cvt_f32_u32_e32 v5, s23
	s_sub_u32 s0, 0, s22
	s_subb_u32 s53, 0, s23
	s_delay_alu instid0(VALU_DEP_1) | instskip(NEXT) | instid1(VALU_DEP_1)
	v_fmac_f32_e32 v3, 0x4f800000, v5
	v_rcp_f32_e32 v3, v3
	s_waitcnt_depctr 0xfff
	v_mul_f32_e32 v3, 0x5f7ffffc, v3
	s_delay_alu instid0(VALU_DEP_1) | instskip(NEXT) | instid1(VALU_DEP_1)
	v_mul_f32_e32 v5, 0x2f800000, v3
	v_trunc_f32_e32 v5, v5
	s_delay_alu instid0(VALU_DEP_1) | instskip(SKIP_1) | instid1(VALU_DEP_2)
	v_fmac_f32_e32 v3, 0xcf800000, v5
	v_cvt_u32_f32_e32 v5, v5
	v_cvt_u32_f32_e32 v3, v3
	s_delay_alu instid0(VALU_DEP_2) | instskip(NEXT) | instid1(VALU_DEP_2)
	v_mul_lo_u32 v8, s0, v5
	v_mul_hi_u32 v10, s0, v3
	v_mul_lo_u32 v12, s53, v3
	s_delay_alu instid0(VALU_DEP_2) | instskip(SKIP_1) | instid1(VALU_DEP_2)
	v_add_nc_u32_e32 v8, v10, v8
	v_mul_lo_u32 v10, s0, v3
	v_add_nc_u32_e32 v8, v8, v12
	s_delay_alu instid0(VALU_DEP_2) | instskip(NEXT) | instid1(VALU_DEP_2)
	v_mul_hi_u32 v12, v3, v10
	v_mul_lo_u32 v14, v3, v8
	v_mul_hi_u32 v16, v3, v8
	v_mul_hi_u32 v18, v5, v10
	v_mul_lo_u32 v10, v5, v10
	v_mul_hi_u32 v21, v5, v8
	v_mul_lo_u32 v8, v5, v8
	v_add_co_u32 v12, vcc_lo, v12, v14
	v_add_co_ci_u32_e32 v14, vcc_lo, 0, v16, vcc_lo
	s_delay_alu instid0(VALU_DEP_2) | instskip(NEXT) | instid1(VALU_DEP_2)
	v_add_co_u32 v10, vcc_lo, v12, v10
	v_add_co_ci_u32_e32 v10, vcc_lo, v14, v18, vcc_lo
	v_add_co_ci_u32_e32 v12, vcc_lo, 0, v21, vcc_lo
	v_ashrrev_i32_e32 v18, 31, v20
	s_delay_alu instid0(VALU_DEP_3) | instskip(NEXT) | instid1(VALU_DEP_3)
	v_add_co_u32 v8, vcc_lo, v10, v8
	v_add_co_ci_u32_e32 v10, vcc_lo, 0, v12, vcc_lo
	s_delay_alu instid0(VALU_DEP_2) | instskip(NEXT) | instid1(VALU_DEP_2)
	v_add_co_u32 v3, vcc_lo, v3, v8
	v_add_co_ci_u32_e32 v5, vcc_lo, v5, v10, vcc_lo
	s_delay_alu instid0(VALU_DEP_2) | instskip(SKIP_1) | instid1(VALU_DEP_3)
	v_mul_hi_u32 v8, s0, v3
	v_mul_lo_u32 v12, s53, v3
	v_mul_lo_u32 v10, s0, v5
	s_delay_alu instid0(VALU_DEP_1) | instskip(SKIP_1) | instid1(VALU_DEP_2)
	v_add_nc_u32_e32 v8, v8, v10
	v_mul_lo_u32 v10, s0, v3
	v_add_nc_u32_e32 v8, v8, v12
	s_delay_alu instid0(VALU_DEP_2) | instskip(NEXT) | instid1(VALU_DEP_2)
	v_mul_hi_u32 v12, v3, v10
	v_mul_lo_u32 v14, v3, v8
	v_mul_hi_u32 v16, v3, v8
	v_mul_hi_u32 v21, v5, v10
	v_mul_lo_u32 v10, v5, v10
	v_mul_hi_u32 v22, v5, v8
	v_mul_lo_u32 v8, v5, v8
	v_add_co_u32 v12, vcc_lo, v12, v14
	v_add_co_ci_u32_e32 v14, vcc_lo, 0, v16, vcc_lo
	s_delay_alu instid0(VALU_DEP_2) | instskip(NEXT) | instid1(VALU_DEP_2)
	v_add_co_u32 v10, vcc_lo, v12, v10
	v_add_co_ci_u32_e32 v10, vcc_lo, v14, v21, vcc_lo
	v_add_co_ci_u32_e32 v12, vcc_lo, 0, v22, vcc_lo
	v_add_co_u32 v14, vcc_lo, v19, v18
	v_add_co_ci_u32_e32 v16, vcc_lo, v20, v18, vcc_lo
	s_delay_alu instid0(VALU_DEP_4) | instskip(NEXT) | instid1(VALU_DEP_4)
	v_add_co_u32 v8, vcc_lo, v10, v8
	v_add_co_ci_u32_e32 v10, vcc_lo, 0, v12, vcc_lo
	s_delay_alu instid0(VALU_DEP_4) | instskip(NEXT) | instid1(VALU_DEP_3)
	v_xor_b32_e32 v12, v14, v18
	v_add_co_u32 v3, vcc_lo, v3, v8
	s_delay_alu instid0(VALU_DEP_3) | instskip(SKIP_1) | instid1(VALU_DEP_3)
	v_add_co_ci_u32_e32 v5, vcc_lo, v5, v10, vcc_lo
	v_xor_b32_e32 v8, v16, v18
	v_mul_hi_u32 v10, v12, v3
	s_delay_alu instid0(VALU_DEP_3) | instskip(NEXT) | instid1(VALU_DEP_3)
	v_mad_u64_u32 v[20:21], null, v12, v5, 0
	v_mad_u64_u32 v[22:23], null, v8, v3, 0
	;; [unrolled: 1-line block ×3, first 2 shown]
	s_delay_alu instid0(VALU_DEP_3) | instskip(NEXT) | instid1(VALU_DEP_4)
	v_add_co_u32 v3, vcc_lo, v10, v20
	v_add_co_ci_u32_e32 v5, vcc_lo, 0, v21, vcc_lo
	s_delay_alu instid0(VALU_DEP_2) | instskip(NEXT) | instid1(VALU_DEP_2)
	v_add_co_u32 v3, vcc_lo, v3, v22
	v_add_co_ci_u32_e32 v3, vcc_lo, v5, v23, vcc_lo
	v_add_co_ci_u32_e32 v5, vcc_lo, 0, v29, vcc_lo
	s_delay_alu instid0(VALU_DEP_2) | instskip(NEXT) | instid1(VALU_DEP_2)
	v_add_co_u32 v3, vcc_lo, v3, v28
	v_add_co_ci_u32_e32 v5, vcc_lo, 0, v5, vcc_lo
	s_delay_alu instid0(VALU_DEP_2) | instskip(SKIP_1) | instid1(VALU_DEP_3)
	v_mul_lo_u32 v10, s23, v3
	v_mad_u64_u32 v[20:21], null, s22, v3, 0
	v_mul_lo_u32 v14, s22, v5
	s_delay_alu instid0(VALU_DEP_2) | instskip(NEXT) | instid1(VALU_DEP_2)
	v_sub_co_u32 v12, vcc_lo, v12, v20
	v_add3_u32 v10, v21, v14, v10
	s_delay_alu instid0(VALU_DEP_1) | instskip(NEXT) | instid1(VALU_DEP_1)
	v_sub_nc_u32_e32 v14, v8, v10
	v_subrev_co_ci_u32_e64 v14, s0, s23, v14, vcc_lo
	v_add_co_u32 v16, s0, v3, 2
	s_delay_alu instid0(VALU_DEP_1) | instskip(SKIP_3) | instid1(VALU_DEP_3)
	v_add_co_ci_u32_e64 v20, s0, 0, v5, s0
	v_sub_co_u32 v21, s0, v12, s22
	v_sub_co_ci_u32_e32 v8, vcc_lo, v8, v10, vcc_lo
	v_subrev_co_ci_u32_e64 v14, s0, 0, v14, s0
	v_cmp_le_u32_e32 vcc_lo, s22, v21
	s_delay_alu instid0(VALU_DEP_3) | instskip(SKIP_1) | instid1(VALU_DEP_4)
	v_cmp_eq_u32_e64 s0, s23, v8
	v_cndmask_b32_e64 v10, 0, -1, vcc_lo
	v_cmp_le_u32_e32 vcc_lo, s23, v14
	v_cndmask_b32_e64 v21, 0, -1, vcc_lo
	v_cmp_le_u32_e32 vcc_lo, s22, v12
	;; [unrolled: 2-line block ×3, first 2 shown]
	v_cndmask_b32_e64 v22, 0, -1, vcc_lo
	v_cmp_eq_u32_e32 vcc_lo, s23, v14
	s_delay_alu instid0(VALU_DEP_2) | instskip(SKIP_3) | instid1(VALU_DEP_3)
	v_cndmask_b32_e64 v8, v22, v12, s0
	v_cndmask_b32_e32 v10, v21, v10, vcc_lo
	v_add_co_u32 v14, vcc_lo, v3, 1
	v_add_co_ci_u32_e32 v21, vcc_lo, 0, v5, vcc_lo
	v_cmp_ne_u32_e32 vcc_lo, 0, v10
	s_delay_alu instid0(VALU_DEP_2) | instskip(NEXT) | instid1(VALU_DEP_4)
	v_cndmask_b32_e32 v10, v21, v20, vcc_lo
	v_cndmask_b32_e32 v12, v14, v16, vcc_lo
	v_cmp_ne_u32_e32 vcc_lo, 0, v8
	v_xor_b32_e32 v8, s20, v18
	s_delay_alu instid0(VALU_DEP_4) | instskip(NEXT) | instid1(VALU_DEP_4)
	v_cndmask_b32_e32 v5, v5, v10, vcc_lo
	v_cndmask_b32_e32 v3, v3, v12, vcc_lo
	v_xor_b32_e32 v10, s21, v18
	s_delay_alu instid0(VALU_DEP_2) | instskip(NEXT) | instid1(VALU_DEP_2)
	v_xor_b32_e32 v3, v3, v8
	v_xor_b32_e32 v5, v5, v10
	s_delay_alu instid0(VALU_DEP_2) | instskip(NEXT) | instid1(VALU_DEP_2)
	v_sub_co_u32 v21, vcc_lo, v3, v8
	v_sub_co_ci_u32_e32 v22, vcc_lo, v5, v10, vcc_lo
.LBB40_50:                              ;   in Loop: Header=BB40_24 Depth=2
	s_and_not1_saveexec_b32 s0, s17
	s_cbranch_execz .LBB40_52
; %bb.51:                               ;   in Loop: Header=BB40_24 Depth=2
	v_cvt_f32_u32_e32 v3, s52
	s_sub_i32 s17, 0, s52
	v_mov_b32_e32 v22, v2
	s_delay_alu instid0(VALU_DEP_2) | instskip(SKIP_2) | instid1(VALU_DEP_1)
	v_rcp_iflag_f32_e32 v3, v3
	s_waitcnt_depctr 0xfff
	v_mul_f32_e32 v3, 0x4f7ffffe, v3
	v_cvt_u32_f32_e32 v3, v3
	s_delay_alu instid0(VALU_DEP_1) | instskip(NEXT) | instid1(VALU_DEP_1)
	v_mul_lo_u32 v5, s17, v3
	v_mul_hi_u32 v5, v3, v5
	s_delay_alu instid0(VALU_DEP_1) | instskip(NEXT) | instid1(VALU_DEP_1)
	v_add_nc_u32_e32 v3, v3, v5
	v_mul_hi_u32 v3, v19, v3
	s_delay_alu instid0(VALU_DEP_1) | instskip(NEXT) | instid1(VALU_DEP_1)
	v_mul_lo_u32 v5, v3, s52
	v_sub_nc_u32_e32 v5, v19, v5
	s_delay_alu instid0(VALU_DEP_1) | instskip(SKIP_1) | instid1(VALU_DEP_2)
	v_subrev_nc_u32_e32 v10, s52, v5
	v_cmp_le_u32_e32 vcc_lo, s52, v5
	v_dual_cndmask_b32 v5, v5, v10 :: v_dual_add_nc_u32 v8, 1, v3
	s_delay_alu instid0(VALU_DEP_1) | instskip(NEXT) | instid1(VALU_DEP_2)
	v_cndmask_b32_e32 v3, v3, v8, vcc_lo
	v_cmp_le_u32_e32 vcc_lo, s52, v5
	s_delay_alu instid0(VALU_DEP_2) | instskip(NEXT) | instid1(VALU_DEP_1)
	v_add_nc_u32_e32 v8, 1, v3
	v_cndmask_b32_e32 v21, v3, v8, vcc_lo
.LBB40_52:                              ;   in Loop: Header=BB40_24 Depth=2
	s_or_b32 exec_lo, exec_lo, s0
	s_mov_b32 s17, s15
	s_add_u32 s20, s30, s18
	s_addc_u32 s21, s1, s19
	s_lshl_b64 s[18:19], s[16:17], 2
                                        ; implicit-def: $vgpr23_vgpr24
	s_delay_alu instid0(SALU_CYCLE_1)
	s_add_u32 s22, s26, s18
	s_addc_u32 s23, s27, s19
	s_clause 0x1
	s_load_b32 s53, s[22:23], 0x0
	s_load_b32 s17, s[20:21], 0x0
	s_mov_b32 s20, exec_lo
	s_waitcnt lgkmcnt(0)
	s_ashr_i32 s0, s53, 31
	s_delay_alu instid0(SALU_CYCLE_1) | instskip(NEXT) | instid1(VALU_DEP_1)
	v_or_b32_e32 v3, s0, v22
	v_cmpx_ne_u64_e32 0, v[2:3]
	s_xor_b32 s54, exec_lo, s20
	s_cbranch_execz .LBB40_54
; %bb.53:                               ;   in Loop: Header=BB40_24 Depth=2
	s_add_u32 s22, s53, s0
	s_mov_b32 s20, s0
	s_mov_b32 s21, s0
	s_addc_u32 s23, s0, s0
	s_delay_alu instid0(SALU_CYCLE_1) | instskip(NEXT) | instid1(SALU_CYCLE_1)
	s_xor_b64 s[22:23], s[22:23], s[20:21]
	v_cvt_f32_u32_e32 v3, s22
	v_cvt_f32_u32_e32 v5, s23
	s_sub_u32 s0, 0, s22
	s_subb_u32 s55, 0, s23
	s_delay_alu instid0(VALU_DEP_1) | instskip(NEXT) | instid1(VALU_DEP_1)
	v_fmac_f32_e32 v3, 0x4f800000, v5
	v_rcp_f32_e32 v3, v3
	s_waitcnt_depctr 0xfff
	v_mul_f32_e32 v3, 0x5f7ffffc, v3
	s_delay_alu instid0(VALU_DEP_1) | instskip(NEXT) | instid1(VALU_DEP_1)
	v_mul_f32_e32 v5, 0x2f800000, v3
	v_trunc_f32_e32 v5, v5
	s_delay_alu instid0(VALU_DEP_1) | instskip(SKIP_1) | instid1(VALU_DEP_2)
	v_fmac_f32_e32 v3, 0xcf800000, v5
	v_cvt_u32_f32_e32 v5, v5
	v_cvt_u32_f32_e32 v3, v3
	s_delay_alu instid0(VALU_DEP_2) | instskip(NEXT) | instid1(VALU_DEP_2)
	v_mul_lo_u32 v8, s0, v5
	v_mul_hi_u32 v10, s0, v3
	v_mul_lo_u32 v12, s55, v3
	s_delay_alu instid0(VALU_DEP_2) | instskip(SKIP_1) | instid1(VALU_DEP_2)
	v_add_nc_u32_e32 v8, v10, v8
	v_mul_lo_u32 v10, s0, v3
	v_add_nc_u32_e32 v8, v8, v12
	s_delay_alu instid0(VALU_DEP_2) | instskip(NEXT) | instid1(VALU_DEP_2)
	v_mul_hi_u32 v12, v3, v10
	v_mul_lo_u32 v14, v3, v8
	v_mul_hi_u32 v16, v3, v8
	v_mul_hi_u32 v18, v5, v10
	v_mul_lo_u32 v10, v5, v10
	v_mul_hi_u32 v20, v5, v8
	v_mul_lo_u32 v8, v5, v8
	v_add_co_u32 v12, vcc_lo, v12, v14
	v_add_co_ci_u32_e32 v14, vcc_lo, 0, v16, vcc_lo
	s_delay_alu instid0(VALU_DEP_2) | instskip(NEXT) | instid1(VALU_DEP_2)
	v_add_co_u32 v10, vcc_lo, v12, v10
	v_add_co_ci_u32_e32 v10, vcc_lo, v14, v18, vcc_lo
	v_add_co_ci_u32_e32 v12, vcc_lo, 0, v20, vcc_lo
	v_ashrrev_i32_e32 v18, 31, v22
	s_delay_alu instid0(VALU_DEP_3) | instskip(NEXT) | instid1(VALU_DEP_3)
	v_add_co_u32 v8, vcc_lo, v10, v8
	v_add_co_ci_u32_e32 v10, vcc_lo, 0, v12, vcc_lo
	s_delay_alu instid0(VALU_DEP_2) | instskip(NEXT) | instid1(VALU_DEP_2)
	v_add_co_u32 v3, vcc_lo, v3, v8
	v_add_co_ci_u32_e32 v5, vcc_lo, v5, v10, vcc_lo
	s_delay_alu instid0(VALU_DEP_2) | instskip(SKIP_1) | instid1(VALU_DEP_3)
	v_mul_hi_u32 v8, s0, v3
	v_mul_lo_u32 v12, s55, v3
	v_mul_lo_u32 v10, s0, v5
	s_delay_alu instid0(VALU_DEP_1) | instskip(SKIP_1) | instid1(VALU_DEP_2)
	v_add_nc_u32_e32 v8, v8, v10
	v_mul_lo_u32 v10, s0, v3
	v_add_nc_u32_e32 v8, v8, v12
	s_delay_alu instid0(VALU_DEP_2) | instskip(NEXT) | instid1(VALU_DEP_2)
	v_mul_hi_u32 v12, v3, v10
	v_mul_lo_u32 v14, v3, v8
	v_mul_hi_u32 v16, v3, v8
	v_mul_hi_u32 v20, v5, v10
	v_mul_lo_u32 v10, v5, v10
	v_mul_hi_u32 v23, v5, v8
	v_mul_lo_u32 v8, v5, v8
	v_add_co_u32 v12, vcc_lo, v12, v14
	v_add_co_ci_u32_e32 v14, vcc_lo, 0, v16, vcc_lo
	s_delay_alu instid0(VALU_DEP_2) | instskip(NEXT) | instid1(VALU_DEP_2)
	v_add_co_u32 v10, vcc_lo, v12, v10
	v_add_co_ci_u32_e32 v10, vcc_lo, v14, v20, vcc_lo
	v_add_co_ci_u32_e32 v12, vcc_lo, 0, v23, vcc_lo
	v_add_co_u32 v14, vcc_lo, v21, v18
	v_add_co_ci_u32_e32 v16, vcc_lo, v22, v18, vcc_lo
	s_delay_alu instid0(VALU_DEP_4) | instskip(NEXT) | instid1(VALU_DEP_4)
	v_add_co_u32 v8, vcc_lo, v10, v8
	v_add_co_ci_u32_e32 v10, vcc_lo, 0, v12, vcc_lo
	s_delay_alu instid0(VALU_DEP_4) | instskip(NEXT) | instid1(VALU_DEP_3)
	v_xor_b32_e32 v12, v14, v18
	v_add_co_u32 v3, vcc_lo, v3, v8
	s_delay_alu instid0(VALU_DEP_3) | instskip(SKIP_1) | instid1(VALU_DEP_3)
	v_add_co_ci_u32_e32 v5, vcc_lo, v5, v10, vcc_lo
	v_xor_b32_e32 v8, v16, v18
	v_mul_hi_u32 v10, v12, v3
	s_delay_alu instid0(VALU_DEP_3) | instskip(NEXT) | instid1(VALU_DEP_3)
	v_mad_u64_u32 v[22:23], null, v12, v5, 0
	v_mad_u64_u32 v[28:29], null, v8, v3, 0
	;; [unrolled: 1-line block ×3, first 2 shown]
	s_delay_alu instid0(VALU_DEP_3) | instskip(NEXT) | instid1(VALU_DEP_4)
	v_add_co_u32 v3, vcc_lo, v10, v22
	v_add_co_ci_u32_e32 v5, vcc_lo, 0, v23, vcc_lo
	s_delay_alu instid0(VALU_DEP_2) | instskip(NEXT) | instid1(VALU_DEP_2)
	v_add_co_u32 v3, vcc_lo, v3, v28
	v_add_co_ci_u32_e32 v3, vcc_lo, v5, v29, vcc_lo
	v_add_co_ci_u32_e32 v5, vcc_lo, 0, v31, vcc_lo
	s_delay_alu instid0(VALU_DEP_2) | instskip(NEXT) | instid1(VALU_DEP_2)
	v_add_co_u32 v3, vcc_lo, v3, v30
	v_add_co_ci_u32_e32 v5, vcc_lo, 0, v5, vcc_lo
	s_delay_alu instid0(VALU_DEP_2) | instskip(SKIP_1) | instid1(VALU_DEP_3)
	v_mul_lo_u32 v10, s23, v3
	v_mad_u64_u32 v[22:23], null, s22, v3, 0
	v_mul_lo_u32 v14, s22, v5
	s_delay_alu instid0(VALU_DEP_2) | instskip(NEXT) | instid1(VALU_DEP_2)
	v_sub_co_u32 v12, vcc_lo, v12, v22
	v_add3_u32 v10, v23, v14, v10
	s_delay_alu instid0(VALU_DEP_1) | instskip(NEXT) | instid1(VALU_DEP_1)
	v_sub_nc_u32_e32 v14, v8, v10
	v_subrev_co_ci_u32_e64 v14, s0, s23, v14, vcc_lo
	v_add_co_u32 v16, s0, v3, 2
	s_delay_alu instid0(VALU_DEP_1) | instskip(SKIP_3) | instid1(VALU_DEP_3)
	v_add_co_ci_u32_e64 v20, s0, 0, v5, s0
	v_sub_co_u32 v22, s0, v12, s22
	v_sub_co_ci_u32_e32 v8, vcc_lo, v8, v10, vcc_lo
	v_subrev_co_ci_u32_e64 v14, s0, 0, v14, s0
	v_cmp_le_u32_e32 vcc_lo, s22, v22
	s_delay_alu instid0(VALU_DEP_3) | instskip(SKIP_1) | instid1(VALU_DEP_4)
	v_cmp_eq_u32_e64 s0, s23, v8
	v_cndmask_b32_e64 v10, 0, -1, vcc_lo
	v_cmp_le_u32_e32 vcc_lo, s23, v14
	v_cndmask_b32_e64 v22, 0, -1, vcc_lo
	v_cmp_le_u32_e32 vcc_lo, s22, v12
	;; [unrolled: 2-line block ×3, first 2 shown]
	v_cndmask_b32_e64 v23, 0, -1, vcc_lo
	v_cmp_eq_u32_e32 vcc_lo, s23, v14
	s_delay_alu instid0(VALU_DEP_2) | instskip(SKIP_3) | instid1(VALU_DEP_3)
	v_cndmask_b32_e64 v8, v23, v12, s0
	v_cndmask_b32_e32 v10, v22, v10, vcc_lo
	v_add_co_u32 v14, vcc_lo, v3, 1
	v_add_co_ci_u32_e32 v22, vcc_lo, 0, v5, vcc_lo
	v_cmp_ne_u32_e32 vcc_lo, 0, v10
	s_delay_alu instid0(VALU_DEP_2) | instskip(NEXT) | instid1(VALU_DEP_4)
	v_cndmask_b32_e32 v10, v22, v20, vcc_lo
	v_cndmask_b32_e32 v12, v14, v16, vcc_lo
	v_cmp_ne_u32_e32 vcc_lo, 0, v8
	v_xor_b32_e32 v8, s20, v18
	s_delay_alu instid0(VALU_DEP_4) | instskip(NEXT) | instid1(VALU_DEP_4)
	v_cndmask_b32_e32 v5, v5, v10, vcc_lo
	v_cndmask_b32_e32 v3, v3, v12, vcc_lo
	v_xor_b32_e32 v10, s21, v18
	s_delay_alu instid0(VALU_DEP_2) | instskip(NEXT) | instid1(VALU_DEP_2)
	v_xor_b32_e32 v3, v3, v8
	v_xor_b32_e32 v5, v5, v10
	s_delay_alu instid0(VALU_DEP_2) | instskip(NEXT) | instid1(VALU_DEP_2)
	v_sub_co_u32 v23, vcc_lo, v3, v8
	v_sub_co_ci_u32_e32 v24, vcc_lo, v5, v10, vcc_lo
.LBB40_54:                              ;   in Loop: Header=BB40_24 Depth=2
	s_and_not1_saveexec_b32 s0, s54
	s_cbranch_execz .LBB40_56
; %bb.55:                               ;   in Loop: Header=BB40_24 Depth=2
	v_cvt_f32_u32_e32 v3, s53
	s_sub_i32 s20, 0, s53
	v_mov_b32_e32 v24, v2
	s_delay_alu instid0(VALU_DEP_2) | instskip(SKIP_2) | instid1(VALU_DEP_1)
	v_rcp_iflag_f32_e32 v3, v3
	s_waitcnt_depctr 0xfff
	v_mul_f32_e32 v3, 0x4f7ffffe, v3
	v_cvt_u32_f32_e32 v3, v3
	s_delay_alu instid0(VALU_DEP_1) | instskip(NEXT) | instid1(VALU_DEP_1)
	v_mul_lo_u32 v5, s20, v3
	v_mul_hi_u32 v5, v3, v5
	s_delay_alu instid0(VALU_DEP_1) | instskip(NEXT) | instid1(VALU_DEP_1)
	v_add_nc_u32_e32 v3, v3, v5
	v_mul_hi_u32 v3, v21, v3
	s_delay_alu instid0(VALU_DEP_1) | instskip(NEXT) | instid1(VALU_DEP_1)
	v_mul_lo_u32 v5, v3, s53
	v_sub_nc_u32_e32 v5, v21, v5
	s_delay_alu instid0(VALU_DEP_1) | instskip(SKIP_1) | instid1(VALU_DEP_2)
	v_subrev_nc_u32_e32 v10, s53, v5
	v_cmp_le_u32_e32 vcc_lo, s53, v5
	v_dual_cndmask_b32 v5, v5, v10 :: v_dual_add_nc_u32 v8, 1, v3
	s_delay_alu instid0(VALU_DEP_1) | instskip(NEXT) | instid1(VALU_DEP_2)
	v_cndmask_b32_e32 v3, v3, v8, vcc_lo
	v_cmp_le_u32_e32 vcc_lo, s53, v5
	s_delay_alu instid0(VALU_DEP_2) | instskip(NEXT) | instid1(VALU_DEP_1)
	v_add_nc_u32_e32 v8, 1, v3
	v_cndmask_b32_e32 v23, v3, v8, vcc_lo
.LBB40_56:                              ;   in Loop: Header=BB40_24 Depth=2
	s_or_b32 exec_lo, exec_lo, s0
	v_mul_lo_u32 v3, v9, s41
	v_mul_lo_u32 v5, v11, s43
	;; [unrolled: 1-line block ×4, first 2 shown]
	s_add_u32 s18, s30, s18
	s_addc_u32 s19, s1, s19
	v_mul_lo_u32 v12, v17, s49
	s_load_b32 s0, s[18:19], 0x0
	v_sub_nc_u32_e32 v3, v7, v3
	v_sub_nc_u32_e32 v5, v9, v5
	v_mul_lo_u32 v7, v19, s51
	v_sub_nc_u32_e32 v8, v11, v8
	v_sub_nc_u32_e32 v10, v13, v10
	v_mul_lo_u32 v3, s42, v3
	v_mul_lo_u32 v5, s44, v5
	;; [unrolled: 1-line block ×4, first 2 shown]
	v_sub_nc_u32_e32 v12, v15, v12
	v_sub_nc_u32_e32 v7, v17, v7
	v_mul_lo_u32 v8, s46, v8
	v_mul_lo_u32 v10, s48, v10
	s_add_i32 s16, s16, -8
	v_add3_u32 v3, v3, v4, v5
	v_mul_lo_u32 v4, s50, v12
	v_sub_nc_u32_e32 v5, v19, v9
	v_sub_nc_u32_e32 v9, v21, v11
	v_mul_lo_u32 v7, s14, v7
	s_cmp_eq_u32 s16, -8
	v_add3_u32 v3, v8, v3, v10
	v_mul_lo_u32 v5, s17, v5
	s_waitcnt lgkmcnt(0)
	v_mul_lo_u32 v8, s0, v9
	s_delay_alu instid0(VALU_DEP_3) | instskip(NEXT) | instid1(VALU_DEP_1)
	v_add3_u32 v3, v4, v3, v7
	v_add3_u32 v4, v5, v3, v8
	s_cbranch_scc1 .LBB40_58
; %bb.57:                               ;   in Loop: Header=BB40_24 Depth=2
	v_dual_mov_b32 v7, v23 :: v_dual_mov_b32 v8, v24
	s_branch .LBB40_24
.LBB40_58:                              ;   in Loop: Header=BB40_3 Depth=1
	s_load_b32 s0, s[12:13], 0x0
	s_waitcnt lgkmcnt(0)
	v_cmp_gt_i32_e32 vcc_lo, s0, v27
	s_and_b32 exec_lo, exec_lo, vcc_lo
	s_cbranch_execz .LBB40_2
; %bb.59:                               ;   in Loop: Header=BB40_3 Depth=1
	v_ashrrev_i32_e32 v7, 31, v6
	s_mov_b32 s14, exec_lo
	s_delay_alu instid0(VALU_DEP_1)
	v_cmpx_lt_i64_e64 s[4:5], v[6:7]
	s_cbranch_execz .LBB40_61
; %bb.60:                               ;   in Loop: Header=BB40_3 Depth=1
	v_ashrrev_i32_e32 v5, 31, v4
	s_delay_alu instid0(VALU_DEP_1) | instskip(NEXT) | instid1(VALU_DEP_1)
	v_lshlrev_b64 v[5:6], 1, v[4:5]
	v_add_co_u32 v5, vcc_lo, s2, v5
	s_delay_alu instid0(VALU_DEP_2)
	v_add_co_ci_u32_e32 v6, vcc_lo, s3, v6, vcc_lo
	global_store_b16 v[5:6], v2, off
.LBB40_61:                              ;   in Loop: Header=BB40_3 Depth=1
	s_or_b32 exec_lo, exec_lo, s14
	v_add_nc_u32_e32 v3, 1, v27
	s_delay_alu instid0(VALU_DEP_1)
	v_cmp_gt_i32_e32 vcc_lo, s0, v3
	s_and_b32 exec_lo, exec_lo, vcc_lo
	s_cbranch_execz .LBB40_2
; %bb.62:                               ;   in Loop: Header=BB40_3 Depth=1
	v_sub_nc_u32_e32 v5, v3, v26
	s_mov_b32 s14, exec_lo
	s_delay_alu instid0(VALU_DEP_1) | instskip(NEXT) | instid1(VALU_DEP_1)
	v_ashrrev_i32_e32 v6, 31, v5
	v_cmpx_lt_i64_e64 s[4:5], v[5:6]
	s_cbranch_execz .LBB40_64
; %bb.63:                               ;   in Loop: Header=BB40_3 Depth=1
	v_add_nc_u32_e32 v5, s40, v4
	s_delay_alu instid0(VALU_DEP_1) | instskip(NEXT) | instid1(VALU_DEP_1)
	v_ashrrev_i32_e32 v6, 31, v5
	v_lshlrev_b64 v[5:6], 1, v[5:6]
	s_delay_alu instid0(VALU_DEP_1) | instskip(NEXT) | instid1(VALU_DEP_2)
	v_add_co_u32 v5, vcc_lo, s2, v5
	v_add_co_ci_u32_e32 v6, vcc_lo, s3, v6, vcc_lo
	global_store_b16 v[5:6], v2, off
.LBB40_64:                              ;   in Loop: Header=BB40_3 Depth=1
	s_or_b32 exec_lo, exec_lo, s14
	v_add_nc_u32_e32 v3, 2, v27
	s_delay_alu instid0(VALU_DEP_1)
	v_cmp_gt_i32_e32 vcc_lo, s0, v3
	s_and_b32 exec_lo, exec_lo, vcc_lo
	s_cbranch_execz .LBB40_2
; %bb.65:                               ;   in Loop: Header=BB40_3 Depth=1
	v_sub_nc_u32_e32 v5, v3, v26
	s_mov_b32 s14, exec_lo
	s_delay_alu instid0(VALU_DEP_1) | instskip(NEXT) | instid1(VALU_DEP_1)
	v_ashrrev_i32_e32 v6, 31, v5
	v_cmpx_lt_i64_e64 s[4:5], v[5:6]
	s_cbranch_execz .LBB40_67
; %bb.66:                               ;   in Loop: Header=BB40_3 Depth=1
	v_lshl_add_u32 v5, s40, 1, v4
	s_delay_alu instid0(VALU_DEP_1) | instskip(NEXT) | instid1(VALU_DEP_1)
	v_ashrrev_i32_e32 v6, 31, v5
	v_lshlrev_b64 v[5:6], 1, v[5:6]
	s_delay_alu instid0(VALU_DEP_1) | instskip(NEXT) | instid1(VALU_DEP_2)
	v_add_co_u32 v5, vcc_lo, s2, v5
	v_add_co_ci_u32_e32 v6, vcc_lo, s3, v6, vcc_lo
	global_store_b16 v[5:6], v2, off
.LBB40_67:                              ;   in Loop: Header=BB40_3 Depth=1
	s_or_b32 exec_lo, exec_lo, s14
	v_add_nc_u32_e32 v3, 3, v27
	s_delay_alu instid0(VALU_DEP_1)
	v_cmp_gt_i32_e32 vcc_lo, s0, v3
	s_and_b32 exec_lo, exec_lo, vcc_lo
	s_cbranch_execz .LBB40_2
; %bb.68:                               ;   in Loop: Header=BB40_3 Depth=1
	v_sub_nc_u32_e32 v5, v3, v26
	s_delay_alu instid0(VALU_DEP_1) | instskip(NEXT) | instid1(VALU_DEP_1)
	v_ashrrev_i32_e32 v6, 31, v5
	v_cmp_lt_i64_e32 vcc_lo, s[4:5], v[5:6]
	s_and_b32 exec_lo, exec_lo, vcc_lo
	s_cbranch_execz .LBB40_2
; %bb.69:                               ;   in Loop: Header=BB40_3 Depth=1
	v_mad_u64_u32 v[5:6], null, s40, 3, v[4:5]
	s_delay_alu instid0(VALU_DEP_1) | instskip(NEXT) | instid1(VALU_DEP_1)
	v_ashrrev_i32_e32 v6, 31, v5
	v_lshlrev_b64 v[3:4], 1, v[5:6]
	s_delay_alu instid0(VALU_DEP_1) | instskip(NEXT) | instid1(VALU_DEP_2)
	v_add_co_u32 v3, vcc_lo, s2, v3
	v_add_co_ci_u32_e32 v4, vcc_lo, s3, v4, vcc_lo
	global_store_b16 v[3:4], v2, off
	s_branch .LBB40_2
.LBB40_70:
	s_nop 0
	s_sendmsg sendmsg(MSG_DEALLOC_VGPRS)
	s_endpgm
	.section	.rodata,"a",@progbits
	.p2align	6, 0x0
	.amdhsa_kernel _ZN2at6native16triu_tril_kernelIN3c104HalfEiLb0ELi4ELb1EEEvNS_4cuda6detail10TensorInfoIT_T0_EENS6_IKS7_S8_EEllS8_
		.amdhsa_group_segment_fixed_size 0
		.amdhsa_private_segment_fixed_size 0
		.amdhsa_kernarg_size 712
		.amdhsa_user_sgpr_count 15
		.amdhsa_user_sgpr_dispatch_ptr 0
		.amdhsa_user_sgpr_queue_ptr 0
		.amdhsa_user_sgpr_kernarg_segment_ptr 1
		.amdhsa_user_sgpr_dispatch_id 0
		.amdhsa_user_sgpr_private_segment_size 0
		.amdhsa_wavefront_size32 1
		.amdhsa_uses_dynamic_stack 0
		.amdhsa_enable_private_segment 0
		.amdhsa_system_sgpr_workgroup_id_x 1
		.amdhsa_system_sgpr_workgroup_id_y 0
		.amdhsa_system_sgpr_workgroup_id_z 0
		.amdhsa_system_sgpr_workgroup_info 0
		.amdhsa_system_vgpr_workitem_id 0
		.amdhsa_next_free_vgpr 32
		.amdhsa_next_free_sgpr 56
		.amdhsa_reserve_vcc 1
		.amdhsa_float_round_mode_32 0
		.amdhsa_float_round_mode_16_64 0
		.amdhsa_float_denorm_mode_32 3
		.amdhsa_float_denorm_mode_16_64 3
		.amdhsa_dx10_clamp 1
		.amdhsa_ieee_mode 1
		.amdhsa_fp16_overflow 0
		.amdhsa_workgroup_processor_mode 1
		.amdhsa_memory_ordered 1
		.amdhsa_forward_progress 0
		.amdhsa_shared_vgpr_count 0
		.amdhsa_exception_fp_ieee_invalid_op 0
		.amdhsa_exception_fp_denorm_src 0
		.amdhsa_exception_fp_ieee_div_zero 0
		.amdhsa_exception_fp_ieee_overflow 0
		.amdhsa_exception_fp_ieee_underflow 0
		.amdhsa_exception_fp_ieee_inexact 0
		.amdhsa_exception_int_div_zero 0
	.end_amdhsa_kernel
	.section	.text._ZN2at6native16triu_tril_kernelIN3c104HalfEiLb0ELi4ELb1EEEvNS_4cuda6detail10TensorInfoIT_T0_EENS6_IKS7_S8_EEllS8_,"axG",@progbits,_ZN2at6native16triu_tril_kernelIN3c104HalfEiLb0ELi4ELb1EEEvNS_4cuda6detail10TensorInfoIT_T0_EENS6_IKS7_S8_EEllS8_,comdat
.Lfunc_end40:
	.size	_ZN2at6native16triu_tril_kernelIN3c104HalfEiLb0ELi4ELb1EEEvNS_4cuda6detail10TensorInfoIT_T0_EENS6_IKS7_S8_EEllS8_, .Lfunc_end40-_ZN2at6native16triu_tril_kernelIN3c104HalfEiLb0ELi4ELb1EEEvNS_4cuda6detail10TensorInfoIT_T0_EENS6_IKS7_S8_EEllS8_
                                        ; -- End function
	.section	.AMDGPU.csdata,"",@progbits
; Kernel info:
; codeLenInByte = 12616
; NumSgprs: 58
; NumVgprs: 32
; ScratchSize: 0
; MemoryBound: 0
; FloatMode: 240
; IeeeMode: 1
; LDSByteSize: 0 bytes/workgroup (compile time only)
; SGPRBlocks: 7
; VGPRBlocks: 3
; NumSGPRsForWavesPerEU: 58
; NumVGPRsForWavesPerEU: 32
; Occupancy: 16
; WaveLimiterHint : 0
; COMPUTE_PGM_RSRC2:SCRATCH_EN: 0
; COMPUTE_PGM_RSRC2:USER_SGPR: 15
; COMPUTE_PGM_RSRC2:TRAP_HANDLER: 0
; COMPUTE_PGM_RSRC2:TGID_X_EN: 1
; COMPUTE_PGM_RSRC2:TGID_Y_EN: 0
; COMPUTE_PGM_RSRC2:TGID_Z_EN: 0
; COMPUTE_PGM_RSRC2:TIDIG_COMP_CNT: 0
	.section	.text._ZN2at6native16triu_tril_kernelIN3c104HalfEiLb0ELi4ELb0EEEvNS_4cuda6detail10TensorInfoIT_T0_EENS6_IKS7_S8_EEllS8_,"axG",@progbits,_ZN2at6native16triu_tril_kernelIN3c104HalfEiLb0ELi4ELb0EEEvNS_4cuda6detail10TensorInfoIT_T0_EENS6_IKS7_S8_EEllS8_,comdat
	.protected	_ZN2at6native16triu_tril_kernelIN3c104HalfEiLb0ELi4ELb0EEEvNS_4cuda6detail10TensorInfoIT_T0_EENS6_IKS7_S8_EEllS8_ ; -- Begin function _ZN2at6native16triu_tril_kernelIN3c104HalfEiLb0ELi4ELb0EEEvNS_4cuda6detail10TensorInfoIT_T0_EENS6_IKS7_S8_EEllS8_
	.globl	_ZN2at6native16triu_tril_kernelIN3c104HalfEiLb0ELi4ELb0EEEvNS_4cuda6detail10TensorInfoIT_T0_EENS6_IKS7_S8_EEllS8_
	.p2align	8
	.type	_ZN2at6native16triu_tril_kernelIN3c104HalfEiLb0ELi4ELb0EEEvNS_4cuda6detail10TensorInfoIT_T0_EENS6_IKS7_S8_EEllS8_,@function
_ZN2at6native16triu_tril_kernelIN3c104HalfEiLb0ELi4ELb0EEEvNS_4cuda6detail10TensorInfoIT_T0_EENS6_IKS7_S8_EEllS8_: ; @_ZN2at6native16triu_tril_kernelIN3c104HalfEiLb0ELi4ELb0EEEvNS_4cuda6detail10TensorInfoIT_T0_EENS6_IKS7_S8_EEllS8_
; %bb.0:
	s_clause 0x1
	s_load_b32 s2, s[0:1], 0x1d4
	s_load_b128 s[4:7], s[0:1], 0x1b0
	v_mov_b32_e32 v2, 0
	s_add_u32 s8, s0, 0x1c8
	s_addc_u32 s9, s1, 0
	s_delay_alu instid0(VALU_DEP_1) | instskip(SKIP_3) | instid1(VALU_DEP_1)
	v_mov_b32_e32 v1, v2
	s_waitcnt lgkmcnt(0)
	s_and_b32 s10, s2, 0xffff
	s_mov_b32 s2, exec_lo
	v_mad_u64_u32 v[3:4], null, s10, s15, v[0:1]
	s_delay_alu instid0(VALU_DEP_1) | instskip(NEXT) | instid1(VALU_DEP_1)
	v_lshlrev_b64 v[0:1], 2, v[3:4]
	v_cmpx_gt_i64_e64 s[6:7], v[0:1]
	s_cbranch_execz .LBB41_55
; %bb.1:
	s_clause 0x1
	s_load_b32 s16, s[0:1], 0x1a8
	s_load_b32 s30, s[0:1], 0x1c0
	s_add_u32 s31, s0, 0xd8
	s_addc_u32 s33, s1, 0
	s_load_b32 s11, s[8:9], 0x0
	s_load_b64 s[2:3], s[0:1], 0xd8
	s_waitcnt lgkmcnt(0)
	s_ashr_i32 s17, s16, 31
	s_ashr_i32 s34, s30, 31
	s_lshl_b64 s[8:9], s[16:17], 2
	v_cvt_f32_u32_e32 v3, s30
	s_add_u32 s14, s8, -8
	s_addc_u32 s15, s9, -1
	s_add_u32 s12, s31, s14
	s_addc_u32 s13, s33, s15
	v_rcp_iflag_f32_e32 v3, v3
	s_load_b64 s[8:9], s[12:13], 0x8
	s_mul_i32 s18, s11, s10
	s_load_b64 s[10:11], s[12:13], 0x6c
	s_waitcnt_depctr 0xfff
	v_mul_f32_e32 v3, 0x4f7ffffe, v3
	s_delay_alu instid0(VALU_DEP_1)
	v_cvt_u32_f32_e32 v3, v3
	s_waitcnt lgkmcnt(0)
	s_ashr_i32 s35, s8, 31
	s_add_u32 s36, s0, 0x6c
	s_addc_u32 s37, s1, 0
	s_add_u32 s12, s36, s14
	s_addc_u32 s13, s37, s15
	s_and_b32 s39, s16, 3
	s_add_i32 s38, s16, -3
	s_lshl_b32 s40, s18, 2
	s_cmp_lg_u32 s39, 2
	s_load_b64 s[12:13], s[12:13], 0x0
	s_cselect_b32 s41, -1, 0
	s_cmp_gt_u32 s38, 2
	s_mov_b32 s18, s11
	s_cselect_b32 s42, -1, 0
	s_sub_i32 s14, 0, s30
	s_ashr_i32 s19, s11, 31
	v_mul_lo_u32 v4, s14, v3
	s_load_b64 s[14:15], s[0:1], 0x0
	v_cmp_gt_i64_e64 s1, s[16:17], 2
	s_mov_b32 s17, 0
	s_mov_b32 s11, 0
	s_delay_alu instid0(VALU_DEP_2) | instskip(SKIP_3) | instid1(VALU_DEP_1)
	v_mul_hi_u32 v4, v3, v4
	s_waitcnt lgkmcnt(0)
	s_ashr_i32 s21, s13, 31
	s_mov_b32 s20, s13
	v_add_nc_u32_e32 v18, v3, v4
	s_branch .LBB41_3
.LBB41_2:                               ;   in Loop: Header=BB41_3 Depth=1
	s_or_b32 exec_lo, exec_lo, s0
	v_add_co_u32 v0, vcc_lo, v0, s40
	v_add_co_ci_u32_e32 v1, vcc_lo, 0, v1, vcc_lo
	s_delay_alu instid0(VALU_DEP_1) | instskip(SKIP_1) | instid1(SALU_CYCLE_1)
	v_cmp_le_i64_e32 vcc_lo, s[6:7], v[0:1]
	s_or_b32 s11, vcc_lo, s11
	s_and_not1_b32 exec_lo, exec_lo, s11
	s_cbranch_execz .LBB41_55
.LBB41_3:                               ; =>This Loop Header: Depth=1
                                        ;     Child Loop BB41_14 Depth 2
                                        ;     Child Loop BB41_22 Depth 2
	v_or_b32_e32 v3, s34, v1
                                        ; implicit-def: $vgpr4_vgpr5
	s_mov_b32 s0, exec_lo
	s_delay_alu instid0(VALU_DEP_1)
	v_cmpx_ne_u64_e32 0, v[2:3]
	s_xor_b32 s13, exec_lo, s0
	s_cbranch_execz .LBB41_5
; %bb.4:                                ;   in Loop: Header=BB41_3 Depth=1
	s_add_u32 s24, s30, s34
	s_mov_b32 s22, s34
	s_mov_b32 s23, s34
	s_addc_u32 s25, s34, s34
	s_delay_alu instid0(SALU_CYCLE_1) | instskip(NEXT) | instid1(SALU_CYCLE_1)
	s_xor_b64 s[24:25], s[24:25], s[22:23]
	v_cvt_f32_u32_e32 v3, s24
	v_cvt_f32_u32_e32 v4, s25
	s_sub_u32 s0, 0, s24
	s_subb_u32 s16, 0, s25
	s_delay_alu instid0(VALU_DEP_1) | instskip(NEXT) | instid1(VALU_DEP_1)
	v_fmac_f32_e32 v3, 0x4f800000, v4
	v_rcp_f32_e32 v3, v3
	s_waitcnt_depctr 0xfff
	v_mul_f32_e32 v3, 0x5f7ffffc, v3
	s_delay_alu instid0(VALU_DEP_1) | instskip(NEXT) | instid1(VALU_DEP_1)
	v_mul_f32_e32 v4, 0x2f800000, v3
	v_trunc_f32_e32 v4, v4
	s_delay_alu instid0(VALU_DEP_1) | instskip(SKIP_1) | instid1(VALU_DEP_2)
	v_fmac_f32_e32 v3, 0xcf800000, v4
	v_cvt_u32_f32_e32 v4, v4
	v_cvt_u32_f32_e32 v3, v3
	s_delay_alu instid0(VALU_DEP_2) | instskip(NEXT) | instid1(VALU_DEP_2)
	v_mul_lo_u32 v5, s0, v4
	v_mul_hi_u32 v6, s0, v3
	v_mul_lo_u32 v7, s16, v3
	s_delay_alu instid0(VALU_DEP_2) | instskip(SKIP_1) | instid1(VALU_DEP_2)
	v_add_nc_u32_e32 v5, v6, v5
	v_mul_lo_u32 v6, s0, v3
	v_add_nc_u32_e32 v5, v5, v7
	s_delay_alu instid0(VALU_DEP_2) | instskip(NEXT) | instid1(VALU_DEP_2)
	v_mul_hi_u32 v7, v3, v6
	v_mul_lo_u32 v8, v3, v5
	v_mul_hi_u32 v9, v3, v5
	v_mul_hi_u32 v10, v4, v6
	v_mul_lo_u32 v6, v4, v6
	v_mul_hi_u32 v11, v4, v5
	v_mul_lo_u32 v5, v4, v5
	v_add_co_u32 v7, vcc_lo, v7, v8
	v_add_co_ci_u32_e32 v8, vcc_lo, 0, v9, vcc_lo
	s_delay_alu instid0(VALU_DEP_2) | instskip(NEXT) | instid1(VALU_DEP_2)
	v_add_co_u32 v6, vcc_lo, v7, v6
	v_add_co_ci_u32_e32 v6, vcc_lo, v8, v10, vcc_lo
	v_add_co_ci_u32_e32 v7, vcc_lo, 0, v11, vcc_lo
	v_ashrrev_i32_e32 v10, 31, v1
	s_delay_alu instid0(VALU_DEP_3) | instskip(NEXT) | instid1(VALU_DEP_3)
	v_add_co_u32 v5, vcc_lo, v6, v5
	v_add_co_ci_u32_e32 v6, vcc_lo, 0, v7, vcc_lo
	s_delay_alu instid0(VALU_DEP_2) | instskip(NEXT) | instid1(VALU_DEP_2)
	v_add_co_u32 v3, vcc_lo, v3, v5
	v_add_co_ci_u32_e32 v4, vcc_lo, v4, v6, vcc_lo
	s_delay_alu instid0(VALU_DEP_2) | instskip(SKIP_1) | instid1(VALU_DEP_3)
	v_mul_hi_u32 v5, s0, v3
	v_mul_lo_u32 v7, s16, v3
	v_mul_lo_u32 v6, s0, v4
	s_delay_alu instid0(VALU_DEP_1) | instskip(SKIP_1) | instid1(VALU_DEP_2)
	v_add_nc_u32_e32 v5, v5, v6
	v_mul_lo_u32 v6, s0, v3
	v_add_nc_u32_e32 v5, v5, v7
	s_delay_alu instid0(VALU_DEP_2) | instskip(NEXT) | instid1(VALU_DEP_2)
	v_mul_hi_u32 v7, v3, v6
	v_mul_lo_u32 v8, v3, v5
	v_mul_hi_u32 v9, v3, v5
	v_mul_hi_u32 v11, v4, v6
	v_mul_lo_u32 v6, v4, v6
	v_mul_hi_u32 v12, v4, v5
	v_mul_lo_u32 v5, v4, v5
	v_add_co_u32 v7, vcc_lo, v7, v8
	v_add_co_ci_u32_e32 v8, vcc_lo, 0, v9, vcc_lo
	s_delay_alu instid0(VALU_DEP_2) | instskip(NEXT) | instid1(VALU_DEP_2)
	v_add_co_u32 v6, vcc_lo, v7, v6
	v_add_co_ci_u32_e32 v6, vcc_lo, v8, v11, vcc_lo
	v_add_co_ci_u32_e32 v7, vcc_lo, 0, v12, vcc_lo
	v_add_co_u32 v8, vcc_lo, v0, v10
	v_add_co_ci_u32_e32 v9, vcc_lo, v1, v10, vcc_lo
	s_delay_alu instid0(VALU_DEP_4) | instskip(NEXT) | instid1(VALU_DEP_4)
	v_add_co_u32 v5, vcc_lo, v6, v5
	v_add_co_ci_u32_e32 v6, vcc_lo, 0, v7, vcc_lo
	s_delay_alu instid0(VALU_DEP_4) | instskip(NEXT) | instid1(VALU_DEP_3)
	v_xor_b32_e32 v11, v8, v10
	v_add_co_u32 v7, vcc_lo, v3, v5
	s_delay_alu instid0(VALU_DEP_3) | instskip(SKIP_1) | instid1(VALU_DEP_3)
	v_add_co_ci_u32_e32 v12, vcc_lo, v4, v6, vcc_lo
	v_xor_b32_e32 v9, v9, v10
	v_mul_hi_u32 v13, v11, v7
	s_delay_alu instid0(VALU_DEP_3) | instskip(NEXT) | instid1(VALU_DEP_3)
	v_mad_u64_u32 v[3:4], null, v11, v12, 0
	v_mad_u64_u32 v[5:6], null, v9, v7, 0
	;; [unrolled: 1-line block ×3, first 2 shown]
	s_delay_alu instid0(VALU_DEP_3) | instskip(NEXT) | instid1(VALU_DEP_4)
	v_add_co_u32 v3, vcc_lo, v13, v3
	v_add_co_ci_u32_e32 v4, vcc_lo, 0, v4, vcc_lo
	s_delay_alu instid0(VALU_DEP_2) | instskip(NEXT) | instid1(VALU_DEP_2)
	v_add_co_u32 v3, vcc_lo, v3, v5
	v_add_co_ci_u32_e32 v3, vcc_lo, v4, v6, vcc_lo
	v_add_co_ci_u32_e32 v4, vcc_lo, 0, v8, vcc_lo
	s_delay_alu instid0(VALU_DEP_2) | instskip(NEXT) | instid1(VALU_DEP_2)
	v_add_co_u32 v5, vcc_lo, v3, v7
	v_add_co_ci_u32_e32 v6, vcc_lo, 0, v4, vcc_lo
	s_delay_alu instid0(VALU_DEP_2) | instskip(SKIP_1) | instid1(VALU_DEP_3)
	v_mul_lo_u32 v7, s25, v5
	v_mad_u64_u32 v[3:4], null, s24, v5, 0
	v_mul_lo_u32 v8, s24, v6
	s_delay_alu instid0(VALU_DEP_2) | instskip(NEXT) | instid1(VALU_DEP_2)
	v_sub_co_u32 v3, vcc_lo, v11, v3
	v_add3_u32 v4, v4, v8, v7
	s_delay_alu instid0(VALU_DEP_1) | instskip(NEXT) | instid1(VALU_DEP_1)
	v_sub_nc_u32_e32 v7, v9, v4
	v_subrev_co_ci_u32_e64 v7, s0, s25, v7, vcc_lo
	v_add_co_u32 v8, s0, v5, 2
	s_delay_alu instid0(VALU_DEP_1) | instskip(SKIP_3) | instid1(VALU_DEP_3)
	v_add_co_ci_u32_e64 v11, s0, 0, v6, s0
	v_sub_co_u32 v12, s0, v3, s24
	v_sub_co_ci_u32_e32 v4, vcc_lo, v9, v4, vcc_lo
	v_subrev_co_ci_u32_e64 v7, s0, 0, v7, s0
	v_cmp_le_u32_e32 vcc_lo, s24, v12
	s_delay_alu instid0(VALU_DEP_3) | instskip(SKIP_1) | instid1(VALU_DEP_4)
	v_cmp_eq_u32_e64 s0, s25, v4
	v_cndmask_b32_e64 v9, 0, -1, vcc_lo
	v_cmp_le_u32_e32 vcc_lo, s25, v7
	v_cndmask_b32_e64 v12, 0, -1, vcc_lo
	v_cmp_le_u32_e32 vcc_lo, s24, v3
	;; [unrolled: 2-line block ×3, first 2 shown]
	v_cndmask_b32_e64 v13, 0, -1, vcc_lo
	v_cmp_eq_u32_e32 vcc_lo, s25, v7
	s_delay_alu instid0(VALU_DEP_2) | instskip(SKIP_3) | instid1(VALU_DEP_3)
	v_cndmask_b32_e64 v3, v13, v3, s0
	v_cndmask_b32_e32 v7, v12, v9, vcc_lo
	v_add_co_u32 v9, vcc_lo, v5, 1
	v_add_co_ci_u32_e32 v12, vcc_lo, 0, v6, vcc_lo
	v_cmp_ne_u32_e32 vcc_lo, 0, v7
	s_delay_alu instid0(VALU_DEP_2) | instskip(SKIP_2) | instid1(VALU_DEP_3)
	v_dual_cndmask_b32 v4, v12, v11 :: v_dual_cndmask_b32 v7, v9, v8
	v_cmp_ne_u32_e32 vcc_lo, 0, v3
	v_xor_b32_e32 v3, s22, v10
	v_dual_cndmask_b32 v5, v5, v7 :: v_dual_cndmask_b32 v4, v6, v4
	v_xor_b32_e32 v6, s23, v10
	s_delay_alu instid0(VALU_DEP_2) | instskip(NEXT) | instid1(VALU_DEP_2)
	v_xor_b32_e32 v5, v5, v3
	v_xor_b32_e32 v7, v4, v6
	s_delay_alu instid0(VALU_DEP_2) | instskip(NEXT) | instid1(VALU_DEP_2)
	v_sub_co_u32 v4, vcc_lo, v5, v3
	v_sub_co_ci_u32_e32 v5, vcc_lo, v7, v6, vcc_lo
.LBB41_5:                               ;   in Loop: Header=BB41_3 Depth=1
	s_and_not1_saveexec_b32 s0, s13
; %bb.6:                                ;   in Loop: Header=BB41_3 Depth=1
	v_mul_hi_u32 v3, v0, v18
	s_delay_alu instid0(VALU_DEP_1) | instskip(NEXT) | instid1(VALU_DEP_1)
	v_mul_lo_u32 v4, v3, s30
	v_sub_nc_u32_e32 v4, v0, v4
	s_delay_alu instid0(VALU_DEP_1) | instskip(SKIP_1) | instid1(VALU_DEP_2)
	v_subrev_nc_u32_e32 v6, s30, v4
	v_cmp_le_u32_e32 vcc_lo, s30, v4
	v_dual_cndmask_b32 v4, v4, v6 :: v_dual_add_nc_u32 v5, 1, v3
	s_delay_alu instid0(VALU_DEP_1) | instskip(NEXT) | instid1(VALU_DEP_2)
	v_cndmask_b32_e32 v3, v3, v5, vcc_lo
	v_cmp_le_u32_e32 vcc_lo, s30, v4
	s_delay_alu instid0(VALU_DEP_2) | instskip(NEXT) | instid1(VALU_DEP_1)
	v_add_nc_u32_e32 v5, 1, v3
	v_dual_cndmask_b32 v4, v3, v5 :: v_dual_mov_b32 v5, v2
; %bb.7:                                ;   in Loop: Header=BB41_3 Depth=1
	s_or_b32 exec_lo, exec_lo, s0
	s_delay_alu instid0(VALU_DEP_1) | instskip(SKIP_1) | instid1(VALU_DEP_1)
	v_or_b32_e32 v3, s35, v5
                                        ; implicit-def: $vgpr8_vgpr9
	s_mov_b32 s0, exec_lo
	v_cmpx_ne_u64_e32 0, v[2:3]
	s_xor_b32 s13, exec_lo, s0
	s_cbranch_execz .LBB41_9
; %bb.8:                                ;   in Loop: Header=BB41_3 Depth=1
	s_add_u32 s24, s8, s35
	s_mov_b32 s22, s35
	s_mov_b32 s23, s35
	s_addc_u32 s25, s35, s35
	s_delay_alu instid0(SALU_CYCLE_1) | instskip(NEXT) | instid1(SALU_CYCLE_1)
	s_xor_b64 s[24:25], s[24:25], s[22:23]
	v_cvt_f32_u32_e32 v3, s24
	v_cvt_f32_u32_e32 v6, s25
	s_sub_u32 s0, 0, s24
	s_subb_u32 s16, 0, s25
	s_delay_alu instid0(VALU_DEP_1) | instskip(NEXT) | instid1(VALU_DEP_1)
	v_fmac_f32_e32 v3, 0x4f800000, v6
	v_rcp_f32_e32 v3, v3
	s_waitcnt_depctr 0xfff
	v_mul_f32_e32 v3, 0x5f7ffffc, v3
	s_delay_alu instid0(VALU_DEP_1) | instskip(NEXT) | instid1(VALU_DEP_1)
	v_mul_f32_e32 v6, 0x2f800000, v3
	v_trunc_f32_e32 v6, v6
	s_delay_alu instid0(VALU_DEP_1) | instskip(SKIP_1) | instid1(VALU_DEP_2)
	v_fmac_f32_e32 v3, 0xcf800000, v6
	v_cvt_u32_f32_e32 v6, v6
	v_cvt_u32_f32_e32 v3, v3
	s_delay_alu instid0(VALU_DEP_2) | instskip(NEXT) | instid1(VALU_DEP_2)
	v_mul_lo_u32 v7, s0, v6
	v_mul_hi_u32 v8, s0, v3
	v_mul_lo_u32 v9, s16, v3
	s_delay_alu instid0(VALU_DEP_2) | instskip(SKIP_1) | instid1(VALU_DEP_2)
	v_add_nc_u32_e32 v7, v8, v7
	v_mul_lo_u32 v8, s0, v3
	v_add_nc_u32_e32 v7, v7, v9
	s_delay_alu instid0(VALU_DEP_2) | instskip(NEXT) | instid1(VALU_DEP_2)
	v_mul_hi_u32 v9, v3, v8
	v_mul_lo_u32 v10, v3, v7
	v_mul_hi_u32 v11, v3, v7
	v_mul_hi_u32 v12, v6, v8
	v_mul_lo_u32 v8, v6, v8
	v_mul_hi_u32 v13, v6, v7
	v_mul_lo_u32 v7, v6, v7
	v_add_co_u32 v9, vcc_lo, v9, v10
	v_add_co_ci_u32_e32 v10, vcc_lo, 0, v11, vcc_lo
	s_delay_alu instid0(VALU_DEP_2) | instskip(NEXT) | instid1(VALU_DEP_2)
	v_add_co_u32 v8, vcc_lo, v9, v8
	v_add_co_ci_u32_e32 v8, vcc_lo, v10, v12, vcc_lo
	v_add_co_ci_u32_e32 v9, vcc_lo, 0, v13, vcc_lo
	v_ashrrev_i32_e32 v12, 31, v5
	s_delay_alu instid0(VALU_DEP_3) | instskip(NEXT) | instid1(VALU_DEP_3)
	v_add_co_u32 v7, vcc_lo, v8, v7
	v_add_co_ci_u32_e32 v8, vcc_lo, 0, v9, vcc_lo
	s_delay_alu instid0(VALU_DEP_2) | instskip(NEXT) | instid1(VALU_DEP_2)
	v_add_co_u32 v3, vcc_lo, v3, v7
	v_add_co_ci_u32_e32 v6, vcc_lo, v6, v8, vcc_lo
	s_delay_alu instid0(VALU_DEP_2) | instskip(SKIP_1) | instid1(VALU_DEP_3)
	v_mul_hi_u32 v7, s0, v3
	v_mul_lo_u32 v9, s16, v3
	v_mul_lo_u32 v8, s0, v6
	s_delay_alu instid0(VALU_DEP_1) | instskip(SKIP_1) | instid1(VALU_DEP_2)
	v_add_nc_u32_e32 v7, v7, v8
	v_mul_lo_u32 v8, s0, v3
	v_add_nc_u32_e32 v7, v7, v9
	s_delay_alu instid0(VALU_DEP_2) | instskip(NEXT) | instid1(VALU_DEP_2)
	v_mul_hi_u32 v9, v3, v8
	v_mul_lo_u32 v10, v3, v7
	v_mul_hi_u32 v11, v3, v7
	v_mul_hi_u32 v13, v6, v8
	v_mul_lo_u32 v8, v6, v8
	v_mul_hi_u32 v14, v6, v7
	v_mul_lo_u32 v7, v6, v7
	v_add_co_u32 v9, vcc_lo, v9, v10
	v_add_co_ci_u32_e32 v10, vcc_lo, 0, v11, vcc_lo
	s_delay_alu instid0(VALU_DEP_2) | instskip(NEXT) | instid1(VALU_DEP_2)
	v_add_co_u32 v8, vcc_lo, v9, v8
	v_add_co_ci_u32_e32 v8, vcc_lo, v10, v13, vcc_lo
	v_add_co_ci_u32_e32 v9, vcc_lo, 0, v14, vcc_lo
	v_add_co_u32 v10, vcc_lo, v4, v12
	v_add_co_ci_u32_e32 v5, vcc_lo, v5, v12, vcc_lo
	s_delay_alu instid0(VALU_DEP_4) | instskip(NEXT) | instid1(VALU_DEP_4)
	v_add_co_u32 v7, vcc_lo, v8, v7
	v_add_co_ci_u32_e32 v8, vcc_lo, 0, v9, vcc_lo
	s_delay_alu instid0(VALU_DEP_4) | instskip(NEXT) | instid1(VALU_DEP_3)
	v_xor_b32_e32 v11, v10, v12
	v_add_co_u32 v3, vcc_lo, v3, v7
	s_delay_alu instid0(VALU_DEP_3) | instskip(SKIP_1) | instid1(VALU_DEP_3)
	v_add_co_ci_u32_e32 v13, vcc_lo, v6, v8, vcc_lo
	v_xor_b32_e32 v14, v5, v12
	v_mul_hi_u32 v15, v11, v3
	s_delay_alu instid0(VALU_DEP_3) | instskip(NEXT) | instid1(VALU_DEP_3)
	v_mad_u64_u32 v[5:6], null, v11, v13, 0
	v_mad_u64_u32 v[7:8], null, v14, v3, 0
	;; [unrolled: 1-line block ×3, first 2 shown]
	s_delay_alu instid0(VALU_DEP_3) | instskip(NEXT) | instid1(VALU_DEP_4)
	v_add_co_u32 v3, vcc_lo, v15, v5
	v_add_co_ci_u32_e32 v5, vcc_lo, 0, v6, vcc_lo
	s_delay_alu instid0(VALU_DEP_2) | instskip(NEXT) | instid1(VALU_DEP_2)
	v_add_co_u32 v3, vcc_lo, v3, v7
	v_add_co_ci_u32_e32 v3, vcc_lo, v5, v8, vcc_lo
	v_add_co_ci_u32_e32 v5, vcc_lo, 0, v10, vcc_lo
	s_delay_alu instid0(VALU_DEP_2) | instskip(NEXT) | instid1(VALU_DEP_2)
	v_add_co_u32 v3, vcc_lo, v3, v9
	v_add_co_ci_u32_e32 v7, vcc_lo, 0, v5, vcc_lo
	s_delay_alu instid0(VALU_DEP_2) | instskip(SKIP_1) | instid1(VALU_DEP_3)
	v_mul_lo_u32 v8, s25, v3
	v_mad_u64_u32 v[5:6], null, s24, v3, 0
	v_mul_lo_u32 v9, s24, v7
	s_delay_alu instid0(VALU_DEP_2) | instskip(NEXT) | instid1(VALU_DEP_2)
	v_sub_co_u32 v5, vcc_lo, v11, v5
	v_add3_u32 v6, v6, v9, v8
	s_delay_alu instid0(VALU_DEP_1) | instskip(NEXT) | instid1(VALU_DEP_1)
	v_sub_nc_u32_e32 v8, v14, v6
	v_subrev_co_ci_u32_e64 v8, s0, s25, v8, vcc_lo
	v_add_co_u32 v9, s0, v3, 2
	s_delay_alu instid0(VALU_DEP_1) | instskip(SKIP_3) | instid1(VALU_DEP_3)
	v_add_co_ci_u32_e64 v10, s0, 0, v7, s0
	v_sub_co_u32 v11, s0, v5, s24
	v_sub_co_ci_u32_e32 v6, vcc_lo, v14, v6, vcc_lo
	v_subrev_co_ci_u32_e64 v8, s0, 0, v8, s0
	v_cmp_le_u32_e32 vcc_lo, s24, v11
	s_delay_alu instid0(VALU_DEP_3) | instskip(SKIP_1) | instid1(VALU_DEP_4)
	v_cmp_eq_u32_e64 s0, s25, v6
	v_cndmask_b32_e64 v11, 0, -1, vcc_lo
	v_cmp_le_u32_e32 vcc_lo, s25, v8
	v_cndmask_b32_e64 v13, 0, -1, vcc_lo
	v_cmp_le_u32_e32 vcc_lo, s24, v5
	;; [unrolled: 2-line block ×3, first 2 shown]
	v_cndmask_b32_e64 v14, 0, -1, vcc_lo
	v_cmp_eq_u32_e32 vcc_lo, s25, v8
	s_delay_alu instid0(VALU_DEP_2) | instskip(SKIP_3) | instid1(VALU_DEP_3)
	v_cndmask_b32_e64 v5, v14, v5, s0
	v_cndmask_b32_e32 v8, v13, v11, vcc_lo
	v_add_co_u32 v11, vcc_lo, v3, 1
	v_add_co_ci_u32_e32 v13, vcc_lo, 0, v7, vcc_lo
	v_cmp_ne_u32_e32 vcc_lo, 0, v8
	s_delay_alu instid0(VALU_DEP_3) | instskip(NEXT) | instid1(VALU_DEP_3)
	v_cndmask_b32_e32 v8, v11, v9, vcc_lo
	v_cndmask_b32_e32 v6, v13, v10, vcc_lo
	v_cmp_ne_u32_e32 vcc_lo, 0, v5
	v_xor_b32_e32 v5, s22, v12
	s_delay_alu instid0(VALU_DEP_4) | instskip(NEXT) | instid1(VALU_DEP_4)
	v_cndmask_b32_e32 v3, v3, v8, vcc_lo
	v_cndmask_b32_e32 v6, v7, v6, vcc_lo
	v_xor_b32_e32 v7, s23, v12
	s_delay_alu instid0(VALU_DEP_3) | instskip(NEXT) | instid1(VALU_DEP_2)
	v_xor_b32_e32 v3, v3, v5
	v_xor_b32_e32 v6, v6, v7
	s_delay_alu instid0(VALU_DEP_2) | instskip(NEXT) | instid1(VALU_DEP_2)
	v_sub_co_u32 v8, vcc_lo, v3, v5
	v_sub_co_ci_u32_e32 v9, vcc_lo, v6, v7, vcc_lo
.LBB41_9:                               ;   in Loop: Header=BB41_3 Depth=1
	s_and_not1_saveexec_b32 s0, s13
	s_cbranch_execz .LBB41_11
; %bb.10:                               ;   in Loop: Header=BB41_3 Depth=1
	v_cvt_f32_u32_e32 v3, s8
	s_sub_i32 s13, 0, s8
	v_mov_b32_e32 v9, v2
	s_delay_alu instid0(VALU_DEP_2) | instskip(SKIP_2) | instid1(VALU_DEP_1)
	v_rcp_iflag_f32_e32 v3, v3
	s_waitcnt_depctr 0xfff
	v_mul_f32_e32 v3, 0x4f7ffffe, v3
	v_cvt_u32_f32_e32 v3, v3
	s_delay_alu instid0(VALU_DEP_1) | instskip(NEXT) | instid1(VALU_DEP_1)
	v_mul_lo_u32 v5, s13, v3
	v_mul_hi_u32 v5, v3, v5
	s_delay_alu instid0(VALU_DEP_1) | instskip(NEXT) | instid1(VALU_DEP_1)
	v_add_nc_u32_e32 v3, v3, v5
	v_mul_hi_u32 v3, v4, v3
	s_delay_alu instid0(VALU_DEP_1) | instskip(SKIP_1) | instid1(VALU_DEP_2)
	v_mul_lo_u32 v5, v3, s8
	v_add_nc_u32_e32 v6, 1, v3
	v_sub_nc_u32_e32 v5, v4, v5
	s_delay_alu instid0(VALU_DEP_1) | instskip(SKIP_1) | instid1(VALU_DEP_4)
	v_cmp_le_u32_e32 vcc_lo, s8, v5
	v_subrev_nc_u32_e32 v7, s8, v5
	v_cndmask_b32_e32 v3, v3, v6, vcc_lo
	s_delay_alu instid0(VALU_DEP_1) | instskip(NEXT) | instid1(VALU_DEP_3)
	v_add_nc_u32_e32 v6, 1, v3
	v_cndmask_b32_e32 v5, v5, v7, vcc_lo
	s_delay_alu instid0(VALU_DEP_1) | instskip(NEXT) | instid1(VALU_DEP_3)
	v_cmp_le_u32_e32 vcc_lo, s8, v5
	v_cndmask_b32_e32 v8, v3, v6, vcc_lo
.LBB41_11:                              ;   in Loop: Header=BB41_3 Depth=1
	s_or_b32 exec_lo, exec_lo, s0
	v_mad_u64_u32 v[5:6], null, v4, s30, 0
	s_delay_alu instid0(VALU_DEP_2) | instskip(SKIP_1) | instid1(VALU_DEP_2)
	v_mad_u64_u32 v[6:7], null, v8, s8, 0
	s_and_not1_b32 vcc_lo, exec_lo, s1
	v_sub_co_u32 v19, null, v0, v5
	s_delay_alu instid0(VALU_DEP_2) | instskip(NEXT) | instid1(VALU_DEP_2)
	v_sub_co_u32 v20, null, v4, v6
	v_mul_lo_u32 v3, s18, v19
	v_mul_lo_u32 v10, s20, v19
	s_delay_alu instid0(VALU_DEP_2) | instskip(NEXT) | instid1(VALU_DEP_2)
	v_mad_u64_u32 v[6:7], null, s10, v20, v[3:4]
	v_mad_u64_u32 v[4:5], null, s12, v20, v[10:11]
	s_cbranch_vccnz .LBB41_40
; %bb.12:                               ;   in Loop: Header=BB41_3 Depth=1
	s_and_not1_b32 vcc_lo, exec_lo, s41
	s_mov_b32 s13, 1
	s_cbranch_vccnz .LBB41_20
; %bb.13:                               ;   in Loop: Header=BB41_3 Depth=1
	v_dual_mov_b32 v11, v9 :: v_dual_mov_b32 v10, v8
	s_mov_b32 s16, s38
.LBB41_14:                              ;   Parent Loop BB41_3 Depth=1
                                        ; =>  This Inner Loop Header: Depth=2
	s_delay_alu instid0(SALU_CYCLE_1)
	s_lshl_b64 s[24:25], s[16:17], 2
                                        ; implicit-def: $vgpr8_vgpr9
	s_mov_b32 s26, exec_lo
	s_add_u32 s22, s31, s24
	s_addc_u32 s23, s33, s25
	s_load_b32 s43, s[22:23], 0x8
	s_waitcnt lgkmcnt(0)
	s_ashr_i32 s0, s43, 31
	s_delay_alu instid0(SALU_CYCLE_1) | instskip(NEXT) | instid1(VALU_DEP_1)
	v_or_b32_e32 v3, s0, v11
	v_cmpx_ne_u64_e32 0, v[2:3]
	s_xor_b32 s44, exec_lo, s26
	s_cbranch_execz .LBB41_16
; %bb.15:                               ;   in Loop: Header=BB41_14 Depth=2
	s_add_u32 s28, s43, s0
	s_mov_b32 s26, s0
	s_mov_b32 s27, s0
	s_addc_u32 s29, s0, s0
	s_delay_alu instid0(SALU_CYCLE_1) | instskip(NEXT) | instid1(SALU_CYCLE_1)
	s_xor_b64 s[28:29], s[28:29], s[26:27]
	v_cvt_f32_u32_e32 v3, s28
	v_cvt_f32_u32_e32 v5, s29
	s_sub_u32 s0, 0, s28
	s_subb_u32 s45, 0, s29
	s_delay_alu instid0(VALU_DEP_1) | instskip(NEXT) | instid1(VALU_DEP_1)
	v_fmac_f32_e32 v3, 0x4f800000, v5
	v_rcp_f32_e32 v3, v3
	s_waitcnt_depctr 0xfff
	v_mul_f32_e32 v3, 0x5f7ffffc, v3
	s_delay_alu instid0(VALU_DEP_1) | instskip(NEXT) | instid1(VALU_DEP_1)
	v_mul_f32_e32 v5, 0x2f800000, v3
	v_trunc_f32_e32 v5, v5
	s_delay_alu instid0(VALU_DEP_1) | instskip(SKIP_1) | instid1(VALU_DEP_2)
	v_fmac_f32_e32 v3, 0xcf800000, v5
	v_cvt_u32_f32_e32 v5, v5
	v_cvt_u32_f32_e32 v3, v3
	s_delay_alu instid0(VALU_DEP_2) | instskip(NEXT) | instid1(VALU_DEP_2)
	v_mul_lo_u32 v7, s0, v5
	v_mul_hi_u32 v8, s0, v3
	v_mul_lo_u32 v9, s45, v3
	s_delay_alu instid0(VALU_DEP_2) | instskip(SKIP_1) | instid1(VALU_DEP_2)
	v_add_nc_u32_e32 v7, v8, v7
	v_mul_lo_u32 v8, s0, v3
	v_add_nc_u32_e32 v7, v7, v9
	s_delay_alu instid0(VALU_DEP_2) | instskip(NEXT) | instid1(VALU_DEP_2)
	v_mul_hi_u32 v9, v3, v8
	v_mul_lo_u32 v12, v3, v7
	v_mul_hi_u32 v13, v3, v7
	v_mul_hi_u32 v14, v5, v8
	v_mul_lo_u32 v8, v5, v8
	v_mul_hi_u32 v15, v5, v7
	v_mul_lo_u32 v7, v5, v7
	v_add_co_u32 v9, vcc_lo, v9, v12
	v_add_co_ci_u32_e32 v12, vcc_lo, 0, v13, vcc_lo
	s_delay_alu instid0(VALU_DEP_2) | instskip(NEXT) | instid1(VALU_DEP_2)
	v_add_co_u32 v8, vcc_lo, v9, v8
	v_add_co_ci_u32_e32 v8, vcc_lo, v12, v14, vcc_lo
	v_add_co_ci_u32_e32 v9, vcc_lo, 0, v15, vcc_lo
	v_ashrrev_i32_e32 v15, 31, v11
	s_delay_alu instid0(VALU_DEP_3) | instskip(NEXT) | instid1(VALU_DEP_3)
	v_add_co_u32 v7, vcc_lo, v8, v7
	v_add_co_ci_u32_e32 v8, vcc_lo, 0, v9, vcc_lo
	s_delay_alu instid0(VALU_DEP_2) | instskip(NEXT) | instid1(VALU_DEP_2)
	v_add_co_u32 v3, vcc_lo, v3, v7
	v_add_co_ci_u32_e32 v5, vcc_lo, v5, v8, vcc_lo
	s_delay_alu instid0(VALU_DEP_2) | instskip(SKIP_1) | instid1(VALU_DEP_3)
	v_mul_hi_u32 v7, s0, v3
	v_mul_lo_u32 v9, s45, v3
	v_mul_lo_u32 v8, s0, v5
	s_delay_alu instid0(VALU_DEP_1) | instskip(SKIP_1) | instid1(VALU_DEP_2)
	v_add_nc_u32_e32 v7, v7, v8
	v_mul_lo_u32 v8, s0, v3
	v_add_nc_u32_e32 v7, v7, v9
	s_delay_alu instid0(VALU_DEP_2) | instskip(NEXT) | instid1(VALU_DEP_2)
	v_mul_hi_u32 v9, v3, v8
	v_mul_lo_u32 v12, v3, v7
	v_mul_hi_u32 v13, v3, v7
	v_mul_hi_u32 v14, v5, v8
	v_mul_lo_u32 v8, v5, v8
	v_mul_hi_u32 v16, v5, v7
	v_mul_lo_u32 v7, v5, v7
	v_add_co_u32 v9, vcc_lo, v9, v12
	v_add_co_ci_u32_e32 v12, vcc_lo, 0, v13, vcc_lo
	s_delay_alu instid0(VALU_DEP_2) | instskip(NEXT) | instid1(VALU_DEP_2)
	v_add_co_u32 v8, vcc_lo, v9, v8
	v_add_co_ci_u32_e32 v8, vcc_lo, v12, v14, vcc_lo
	v_add_co_ci_u32_e32 v9, vcc_lo, 0, v16, vcc_lo
	v_add_co_u32 v12, vcc_lo, v10, v15
	v_add_co_ci_u32_e32 v11, vcc_lo, v11, v15, vcc_lo
	s_delay_alu instid0(VALU_DEP_4) | instskip(NEXT) | instid1(VALU_DEP_4)
	v_add_co_u32 v7, vcc_lo, v8, v7
	v_add_co_ci_u32_e32 v8, vcc_lo, 0, v9, vcc_lo
	s_delay_alu instid0(VALU_DEP_4) | instskip(NEXT) | instid1(VALU_DEP_3)
	v_xor_b32_e32 v9, v12, v15
	v_add_co_u32 v3, vcc_lo, v3, v7
	s_delay_alu instid0(VALU_DEP_3) | instskip(SKIP_1) | instid1(VALU_DEP_3)
	v_add_co_ci_u32_e32 v5, vcc_lo, v5, v8, vcc_lo
	v_xor_b32_e32 v16, v11, v15
	v_mul_hi_u32 v17, v9, v3
	s_delay_alu instid0(VALU_DEP_3) | instskip(NEXT) | instid1(VALU_DEP_3)
	v_mad_u64_u32 v[7:8], null, v9, v5, 0
	v_mad_u64_u32 v[11:12], null, v16, v3, 0
	;; [unrolled: 1-line block ×3, first 2 shown]
	s_delay_alu instid0(VALU_DEP_3) | instskip(NEXT) | instid1(VALU_DEP_4)
	v_add_co_u32 v3, vcc_lo, v17, v7
	v_add_co_ci_u32_e32 v5, vcc_lo, 0, v8, vcc_lo
	s_delay_alu instid0(VALU_DEP_2) | instskip(NEXT) | instid1(VALU_DEP_2)
	v_add_co_u32 v3, vcc_lo, v3, v11
	v_add_co_ci_u32_e32 v3, vcc_lo, v5, v12, vcc_lo
	v_add_co_ci_u32_e32 v5, vcc_lo, 0, v14, vcc_lo
	s_delay_alu instid0(VALU_DEP_2) | instskip(NEXT) | instid1(VALU_DEP_2)
	v_add_co_u32 v3, vcc_lo, v3, v13
	v_add_co_ci_u32_e32 v5, vcc_lo, 0, v5, vcc_lo
	s_delay_alu instid0(VALU_DEP_2) | instskip(SKIP_1) | instid1(VALU_DEP_3)
	v_mul_lo_u32 v11, s29, v3
	v_mad_u64_u32 v[7:8], null, s28, v3, 0
	v_mul_lo_u32 v12, s28, v5
	s_delay_alu instid0(VALU_DEP_2) | instskip(NEXT) | instid1(VALU_DEP_2)
	v_sub_co_u32 v7, vcc_lo, v9, v7
	v_add3_u32 v8, v8, v12, v11
	s_delay_alu instid0(VALU_DEP_1) | instskip(NEXT) | instid1(VALU_DEP_1)
	v_sub_nc_u32_e32 v11, v16, v8
	v_subrev_co_ci_u32_e64 v9, s0, s29, v11, vcc_lo
	v_add_co_u32 v11, s0, v3, 2
	s_delay_alu instid0(VALU_DEP_1) | instskip(SKIP_3) | instid1(VALU_DEP_3)
	v_add_co_ci_u32_e64 v12, s0, 0, v5, s0
	v_sub_co_u32 v13, s0, v7, s28
	v_sub_co_ci_u32_e32 v8, vcc_lo, v16, v8, vcc_lo
	v_subrev_co_ci_u32_e64 v9, s0, 0, v9, s0
	v_cmp_le_u32_e32 vcc_lo, s28, v13
	s_delay_alu instid0(VALU_DEP_3) | instskip(SKIP_1) | instid1(VALU_DEP_4)
	v_cmp_eq_u32_e64 s0, s29, v8
	v_cndmask_b32_e64 v13, 0, -1, vcc_lo
	v_cmp_le_u32_e32 vcc_lo, s29, v9
	v_cndmask_b32_e64 v14, 0, -1, vcc_lo
	v_cmp_le_u32_e32 vcc_lo, s28, v7
	;; [unrolled: 2-line block ×3, first 2 shown]
	v_cndmask_b32_e64 v16, 0, -1, vcc_lo
	v_cmp_eq_u32_e32 vcc_lo, s29, v9
	s_delay_alu instid0(VALU_DEP_2) | instskip(SKIP_3) | instid1(VALU_DEP_3)
	v_cndmask_b32_e64 v7, v16, v7, s0
	v_cndmask_b32_e32 v9, v14, v13, vcc_lo
	v_add_co_u32 v13, vcc_lo, v3, 1
	v_add_co_ci_u32_e32 v14, vcc_lo, 0, v5, vcc_lo
	v_cmp_ne_u32_e32 vcc_lo, 0, v9
	s_delay_alu instid0(VALU_DEP_2) | instskip(SKIP_2) | instid1(VALU_DEP_3)
	v_dual_cndmask_b32 v8, v14, v12 :: v_dual_cndmask_b32 v9, v13, v11
	v_cmp_ne_u32_e32 vcc_lo, 0, v7
	v_xor_b32_e32 v7, s26, v15
	v_cndmask_b32_e32 v3, v3, v9, vcc_lo
	s_delay_alu instid0(VALU_DEP_4) | instskip(SKIP_1) | instid1(VALU_DEP_3)
	v_cndmask_b32_e32 v5, v5, v8, vcc_lo
	v_xor_b32_e32 v9, s27, v15
	v_xor_b32_e32 v3, v3, v7
	s_delay_alu instid0(VALU_DEP_2) | instskip(NEXT) | instid1(VALU_DEP_2)
	v_xor_b32_e32 v5, v5, v9
	v_sub_co_u32 v8, vcc_lo, v3, v7
	s_delay_alu instid0(VALU_DEP_2)
	v_sub_co_ci_u32_e32 v9, vcc_lo, v5, v9, vcc_lo
.LBB41_16:                              ;   in Loop: Header=BB41_14 Depth=2
	s_and_not1_saveexec_b32 s0, s44
	s_cbranch_execz .LBB41_18
; %bb.17:                               ;   in Loop: Header=BB41_14 Depth=2
	v_cvt_f32_u32_e32 v3, s43
	s_sub_i32 s26, 0, s43
	v_mov_b32_e32 v9, v2
	s_delay_alu instid0(VALU_DEP_2) | instskip(SKIP_2) | instid1(VALU_DEP_1)
	v_rcp_iflag_f32_e32 v3, v3
	s_waitcnt_depctr 0xfff
	v_mul_f32_e32 v3, 0x4f7ffffe, v3
	v_cvt_u32_f32_e32 v3, v3
	s_delay_alu instid0(VALU_DEP_1) | instskip(NEXT) | instid1(VALU_DEP_1)
	v_mul_lo_u32 v5, s26, v3
	v_mul_hi_u32 v5, v3, v5
	s_delay_alu instid0(VALU_DEP_1) | instskip(NEXT) | instid1(VALU_DEP_1)
	v_add_nc_u32_e32 v3, v3, v5
	v_mul_hi_u32 v3, v10, v3
	s_delay_alu instid0(VALU_DEP_1) | instskip(SKIP_1) | instid1(VALU_DEP_2)
	v_mul_lo_u32 v5, v3, s43
	v_add_nc_u32_e32 v7, 1, v3
	v_sub_nc_u32_e32 v5, v10, v5
	s_delay_alu instid0(VALU_DEP_1) | instskip(SKIP_1) | instid1(VALU_DEP_4)
	v_cmp_le_u32_e32 vcc_lo, s43, v5
	v_subrev_nc_u32_e32 v8, s43, v5
	v_cndmask_b32_e32 v3, v3, v7, vcc_lo
	s_delay_alu instid0(VALU_DEP_1) | instskip(NEXT) | instid1(VALU_DEP_3)
	v_add_nc_u32_e32 v7, 1, v3
	v_cndmask_b32_e32 v5, v5, v8, vcc_lo
	s_delay_alu instid0(VALU_DEP_1) | instskip(NEXT) | instid1(VALU_DEP_3)
	v_cmp_le_u32_e32 vcc_lo, s43, v5
	v_cndmask_b32_e32 v8, v3, v7, vcc_lo
.LBB41_18:                              ;   in Loop: Header=BB41_14 Depth=2
	s_or_b32 exec_lo, exec_lo, s0
	s_add_u32 s24, s36, s24
	s_addc_u32 s25, s37, s25
	s_clause 0x1
	s_load_b32 s0, s[22:23], 0x6c
	s_load_b32 s22, s[24:25], 0x0
	v_mul_lo_u32 v3, v8, s43
	s_add_i32 s16, s16, -1
	s_delay_alu instid0(VALU_DEP_1) | instskip(SKIP_1) | instid1(VALU_DEP_1)
	v_sub_nc_u32_e32 v3, v10, v3
	s_waitcnt lgkmcnt(0)
	v_mad_u64_u32 v[10:11], null, s0, v3, v[6:7]
	v_mad_u64_u32 v[5:6], null, s22, v3, v[4:5]
	s_xor_b32 s0, s39, s13
	s_add_i32 s13, s13, 1
	s_cmp_lg_u32 s0, 2
	s_delay_alu instid0(VALU_DEP_2) | instskip(NEXT) | instid1(VALU_DEP_2)
	v_mov_b32_e32 v6, v10
	v_mov_b32_e32 v4, v5
	s_cbranch_scc0 .LBB41_21
; %bb.19:                               ;   in Loop: Header=BB41_14 Depth=2
	v_dual_mov_b32 v11, v9 :: v_dual_mov_b32 v10, v8
	s_branch .LBB41_14
.LBB41_20:                              ;   in Loop: Header=BB41_3 Depth=1
	s_mov_b32 s16, s38
.LBB41_21:                              ;   in Loop: Header=BB41_3 Depth=1
	s_and_b32 vcc_lo, exec_lo, s42
	s_cbranch_vccz .LBB41_40
.LBB41_22:                              ;   Parent Loop BB41_3 Depth=1
                                        ; =>  This Inner Loop Header: Depth=2
	s_lshl_b64 s[22:23], s[16:17], 2
                                        ; implicit-def: $vgpr10_vgpr11
	s_mov_b32 s26, exec_lo
	s_add_u32 s24, s31, s22
	s_addc_u32 s25, s33, s23
	s_load_b32 s13, s[24:25], 0x8
	s_waitcnt lgkmcnt(0)
	s_ashr_i32 s0, s13, 31
	s_delay_alu instid0(SALU_CYCLE_1) | instskip(NEXT) | instid1(VALU_DEP_1)
	v_or_b32_e32 v3, s0, v9
	v_cmpx_ne_u64_e32 0, v[2:3]
	s_xor_b32 s43, exec_lo, s26
	s_cbranch_execz .LBB41_24
; %bb.23:                               ;   in Loop: Header=BB41_22 Depth=2
	s_add_u32 s28, s13, s0
	s_mov_b32 s26, s0
	s_mov_b32 s27, s0
	s_addc_u32 s29, s0, s0
	s_delay_alu instid0(SALU_CYCLE_1) | instskip(NEXT) | instid1(SALU_CYCLE_1)
	s_xor_b64 s[28:29], s[28:29], s[26:27]
	v_cvt_f32_u32_e32 v3, s28
	v_cvt_f32_u32_e32 v5, s29
	s_sub_u32 s0, 0, s28
	s_subb_u32 s44, 0, s29
	s_delay_alu instid0(VALU_DEP_1) | instskip(NEXT) | instid1(VALU_DEP_1)
	v_fmac_f32_e32 v3, 0x4f800000, v5
	v_rcp_f32_e32 v3, v3
	s_waitcnt_depctr 0xfff
	v_mul_f32_e32 v3, 0x5f7ffffc, v3
	s_delay_alu instid0(VALU_DEP_1) | instskip(NEXT) | instid1(VALU_DEP_1)
	v_mul_f32_e32 v5, 0x2f800000, v3
	v_trunc_f32_e32 v5, v5
	s_delay_alu instid0(VALU_DEP_1) | instskip(SKIP_1) | instid1(VALU_DEP_2)
	v_fmac_f32_e32 v3, 0xcf800000, v5
	v_cvt_u32_f32_e32 v5, v5
	v_cvt_u32_f32_e32 v3, v3
	s_delay_alu instid0(VALU_DEP_2) | instskip(NEXT) | instid1(VALU_DEP_2)
	v_mul_lo_u32 v7, s0, v5
	v_mul_hi_u32 v10, s0, v3
	v_mul_lo_u32 v11, s44, v3
	s_delay_alu instid0(VALU_DEP_2) | instskip(SKIP_1) | instid1(VALU_DEP_2)
	v_add_nc_u32_e32 v7, v10, v7
	v_mul_lo_u32 v10, s0, v3
	v_add_nc_u32_e32 v7, v7, v11
	s_delay_alu instid0(VALU_DEP_2) | instskip(NEXT) | instid1(VALU_DEP_2)
	v_mul_hi_u32 v11, v3, v10
	v_mul_lo_u32 v12, v3, v7
	v_mul_hi_u32 v13, v3, v7
	v_mul_hi_u32 v14, v5, v10
	v_mul_lo_u32 v10, v5, v10
	v_mul_hi_u32 v15, v5, v7
	v_mul_lo_u32 v7, v5, v7
	v_add_co_u32 v11, vcc_lo, v11, v12
	v_add_co_ci_u32_e32 v12, vcc_lo, 0, v13, vcc_lo
	s_delay_alu instid0(VALU_DEP_2) | instskip(NEXT) | instid1(VALU_DEP_2)
	v_add_co_u32 v10, vcc_lo, v11, v10
	v_add_co_ci_u32_e32 v10, vcc_lo, v12, v14, vcc_lo
	v_add_co_ci_u32_e32 v11, vcc_lo, 0, v15, vcc_lo
	v_ashrrev_i32_e32 v15, 31, v9
	s_delay_alu instid0(VALU_DEP_3) | instskip(NEXT) | instid1(VALU_DEP_3)
	v_add_co_u32 v7, vcc_lo, v10, v7
	v_add_co_ci_u32_e32 v10, vcc_lo, 0, v11, vcc_lo
	s_delay_alu instid0(VALU_DEP_2) | instskip(NEXT) | instid1(VALU_DEP_2)
	v_add_co_u32 v3, vcc_lo, v3, v7
	v_add_co_ci_u32_e32 v5, vcc_lo, v5, v10, vcc_lo
	s_delay_alu instid0(VALU_DEP_2) | instskip(SKIP_1) | instid1(VALU_DEP_3)
	v_mul_hi_u32 v7, s0, v3
	v_mul_lo_u32 v11, s44, v3
	v_mul_lo_u32 v10, s0, v5
	s_delay_alu instid0(VALU_DEP_1) | instskip(SKIP_1) | instid1(VALU_DEP_2)
	v_add_nc_u32_e32 v7, v7, v10
	v_mul_lo_u32 v10, s0, v3
	v_add_nc_u32_e32 v7, v7, v11
	s_delay_alu instid0(VALU_DEP_2) | instskip(NEXT) | instid1(VALU_DEP_2)
	v_mul_hi_u32 v11, v3, v10
	v_mul_lo_u32 v12, v3, v7
	v_mul_hi_u32 v13, v3, v7
	v_mul_hi_u32 v14, v5, v10
	v_mul_lo_u32 v10, v5, v10
	v_mul_hi_u32 v16, v5, v7
	v_mul_lo_u32 v7, v5, v7
	v_add_co_u32 v11, vcc_lo, v11, v12
	v_add_co_ci_u32_e32 v12, vcc_lo, 0, v13, vcc_lo
	s_delay_alu instid0(VALU_DEP_2) | instskip(NEXT) | instid1(VALU_DEP_2)
	v_add_co_u32 v10, vcc_lo, v11, v10
	v_add_co_ci_u32_e32 v10, vcc_lo, v12, v14, vcc_lo
	v_add_co_ci_u32_e32 v11, vcc_lo, 0, v16, vcc_lo
	v_add_co_u32 v12, vcc_lo, v8, v15
	v_add_co_ci_u32_e32 v9, vcc_lo, v9, v15, vcc_lo
	s_delay_alu instid0(VALU_DEP_4) | instskip(NEXT) | instid1(VALU_DEP_4)
	v_add_co_u32 v7, vcc_lo, v10, v7
	v_add_co_ci_u32_e32 v10, vcc_lo, 0, v11, vcc_lo
	s_delay_alu instid0(VALU_DEP_4) | instskip(NEXT) | instid1(VALU_DEP_3)
	v_xor_b32_e32 v16, v12, v15
	v_add_co_u32 v3, vcc_lo, v3, v7
	s_delay_alu instid0(VALU_DEP_3) | instskip(SKIP_1) | instid1(VALU_DEP_3)
	v_add_co_ci_u32_e32 v5, vcc_lo, v5, v10, vcc_lo
	v_xor_b32_e32 v7, v9, v15
	v_mul_hi_u32 v17, v16, v3
	s_delay_alu instid0(VALU_DEP_3) | instskip(NEXT) | instid1(VALU_DEP_3)
	v_mad_u64_u32 v[9:10], null, v16, v5, 0
	v_mad_u64_u32 v[11:12], null, v7, v3, 0
	;; [unrolled: 1-line block ×3, first 2 shown]
	s_delay_alu instid0(VALU_DEP_3) | instskip(NEXT) | instid1(VALU_DEP_4)
	v_add_co_u32 v3, vcc_lo, v17, v9
	v_add_co_ci_u32_e32 v5, vcc_lo, 0, v10, vcc_lo
	s_delay_alu instid0(VALU_DEP_2) | instskip(NEXT) | instid1(VALU_DEP_2)
	v_add_co_u32 v3, vcc_lo, v3, v11
	v_add_co_ci_u32_e32 v3, vcc_lo, v5, v12, vcc_lo
	v_add_co_ci_u32_e32 v5, vcc_lo, 0, v14, vcc_lo
	s_delay_alu instid0(VALU_DEP_2) | instskip(NEXT) | instid1(VALU_DEP_2)
	v_add_co_u32 v3, vcc_lo, v3, v13
	v_add_co_ci_u32_e32 v5, vcc_lo, 0, v5, vcc_lo
	s_delay_alu instid0(VALU_DEP_2) | instskip(SKIP_1) | instid1(VALU_DEP_3)
	v_mul_lo_u32 v11, s29, v3
	v_mad_u64_u32 v[9:10], null, s28, v3, 0
	v_mul_lo_u32 v12, s28, v5
	s_delay_alu instid0(VALU_DEP_2) | instskip(NEXT) | instid1(VALU_DEP_2)
	v_sub_co_u32 v9, vcc_lo, v16, v9
	v_add3_u32 v10, v10, v12, v11
	s_delay_alu instid0(VALU_DEP_1) | instskip(NEXT) | instid1(VALU_DEP_1)
	v_sub_nc_u32_e32 v11, v7, v10
	v_subrev_co_ci_u32_e64 v11, s0, s29, v11, vcc_lo
	v_add_co_u32 v12, s0, v3, 2
	s_delay_alu instid0(VALU_DEP_1) | instskip(SKIP_3) | instid1(VALU_DEP_3)
	v_add_co_ci_u32_e64 v13, s0, 0, v5, s0
	v_sub_co_u32 v14, s0, v9, s28
	v_sub_co_ci_u32_e32 v7, vcc_lo, v7, v10, vcc_lo
	v_subrev_co_ci_u32_e64 v11, s0, 0, v11, s0
	v_cmp_le_u32_e32 vcc_lo, s28, v14
	s_delay_alu instid0(VALU_DEP_3) | instskip(SKIP_1) | instid1(VALU_DEP_4)
	v_cmp_eq_u32_e64 s0, s29, v7
	v_cndmask_b32_e64 v10, 0, -1, vcc_lo
	v_cmp_le_u32_e32 vcc_lo, s29, v11
	v_cndmask_b32_e64 v14, 0, -1, vcc_lo
	v_cmp_le_u32_e32 vcc_lo, s28, v9
	;; [unrolled: 2-line block ×3, first 2 shown]
	v_cndmask_b32_e64 v16, 0, -1, vcc_lo
	v_cmp_eq_u32_e32 vcc_lo, s29, v11
	s_delay_alu instid0(VALU_DEP_2) | instskip(SKIP_3) | instid1(VALU_DEP_3)
	v_cndmask_b32_e64 v7, v16, v9, s0
	v_cndmask_b32_e32 v10, v14, v10, vcc_lo
	v_add_co_u32 v11, vcc_lo, v3, 1
	v_add_co_ci_u32_e32 v14, vcc_lo, 0, v5, vcc_lo
	v_cmp_ne_u32_e32 vcc_lo, 0, v10
	s_delay_alu instid0(VALU_DEP_2) | instskip(SKIP_2) | instid1(VALU_DEP_3)
	v_dual_cndmask_b32 v10, v11, v12 :: v_dual_cndmask_b32 v9, v14, v13
	v_cmp_ne_u32_e32 vcc_lo, 0, v7
	v_xor_b32_e32 v7, s26, v15
	v_cndmask_b32_e32 v3, v3, v10, vcc_lo
	s_delay_alu instid0(VALU_DEP_4) | instskip(SKIP_1) | instid1(VALU_DEP_3)
	v_cndmask_b32_e32 v5, v5, v9, vcc_lo
	v_xor_b32_e32 v9, s27, v15
	v_xor_b32_e32 v3, v3, v7
	s_delay_alu instid0(VALU_DEP_2) | instskip(NEXT) | instid1(VALU_DEP_2)
	v_xor_b32_e32 v5, v5, v9
	v_sub_co_u32 v10, vcc_lo, v3, v7
	s_delay_alu instid0(VALU_DEP_2)
	v_sub_co_ci_u32_e32 v11, vcc_lo, v5, v9, vcc_lo
.LBB41_24:                              ;   in Loop: Header=BB41_22 Depth=2
	s_and_not1_saveexec_b32 s0, s43
	s_cbranch_execz .LBB41_26
; %bb.25:                               ;   in Loop: Header=BB41_22 Depth=2
	v_cvt_f32_u32_e32 v3, s13
	s_sub_i32 s26, 0, s13
	v_mov_b32_e32 v11, v2
	s_delay_alu instid0(VALU_DEP_2) | instskip(SKIP_2) | instid1(VALU_DEP_1)
	v_rcp_iflag_f32_e32 v3, v3
	s_waitcnt_depctr 0xfff
	v_mul_f32_e32 v3, 0x4f7ffffe, v3
	v_cvt_u32_f32_e32 v3, v3
	s_delay_alu instid0(VALU_DEP_1) | instskip(NEXT) | instid1(VALU_DEP_1)
	v_mul_lo_u32 v5, s26, v3
	v_mul_hi_u32 v5, v3, v5
	s_delay_alu instid0(VALU_DEP_1) | instskip(NEXT) | instid1(VALU_DEP_1)
	v_add_nc_u32_e32 v3, v3, v5
	v_mul_hi_u32 v3, v8, v3
	s_delay_alu instid0(VALU_DEP_1) | instskip(SKIP_1) | instid1(VALU_DEP_2)
	v_mul_lo_u32 v5, v3, s13
	v_add_nc_u32_e32 v7, 1, v3
	v_sub_nc_u32_e32 v5, v8, v5
	s_delay_alu instid0(VALU_DEP_1) | instskip(SKIP_1) | instid1(VALU_DEP_4)
	v_cmp_le_u32_e32 vcc_lo, s13, v5
	v_subrev_nc_u32_e32 v9, s13, v5
	v_cndmask_b32_e32 v3, v3, v7, vcc_lo
	s_delay_alu instid0(VALU_DEP_1) | instskip(NEXT) | instid1(VALU_DEP_3)
	v_add_nc_u32_e32 v7, 1, v3
	v_cndmask_b32_e32 v5, v5, v9, vcc_lo
	s_delay_alu instid0(VALU_DEP_1) | instskip(NEXT) | instid1(VALU_DEP_3)
	v_cmp_le_u32_e32 vcc_lo, s13, v5
	v_cndmask_b32_e32 v10, v3, v7, vcc_lo
.LBB41_26:                              ;   in Loop: Header=BB41_22 Depth=2
	s_or_b32 exec_lo, exec_lo, s0
	s_add_u32 s28, s36, s22
	s_addc_u32 s29, s37, s23
	s_add_i32 s22, s16, -1
	s_mov_b32 s23, s17
                                        ; implicit-def: $vgpr12_vgpr13
	s_delay_alu instid0(SALU_CYCLE_1) | instskip(NEXT) | instid1(SALU_CYCLE_1)
	s_lshl_b64 s[26:27], s[22:23], 2
	s_add_u32 s22, s31, s26
	s_addc_u32 s23, s33, s27
	s_clause 0x2
	s_load_b32 s45, s[22:23], 0x8
	s_load_b32 s43, s[24:25], 0x6c
	;; [unrolled: 1-line block ×3, first 2 shown]
	s_mov_b32 s24, exec_lo
	s_waitcnt lgkmcnt(0)
	s_ashr_i32 s0, s45, 31
	s_delay_alu instid0(SALU_CYCLE_1) | instskip(NEXT) | instid1(VALU_DEP_1)
	v_or_b32_e32 v3, s0, v11
	v_cmpx_ne_u64_e32 0, v[2:3]
	s_xor_b32 s46, exec_lo, s24
	s_cbranch_execz .LBB41_28
; %bb.27:                               ;   in Loop: Header=BB41_22 Depth=2
	s_add_u32 s28, s45, s0
	s_mov_b32 s24, s0
	s_mov_b32 s25, s0
	s_addc_u32 s29, s0, s0
	v_ashrrev_i32_e32 v17, 31, v11
	s_xor_b64 s[28:29], s[28:29], s[24:25]
	s_delay_alu instid0(SALU_CYCLE_1) | instskip(SKIP_3) | instid1(VALU_DEP_1)
	v_cvt_f32_u32_e32 v3, s28
	v_cvt_f32_u32_e32 v5, s29
	s_sub_u32 s0, 0, s28
	s_subb_u32 s47, 0, s29
	v_fmac_f32_e32 v3, 0x4f800000, v5
	s_delay_alu instid0(VALU_DEP_1) | instskip(SKIP_2) | instid1(VALU_DEP_1)
	v_rcp_f32_e32 v3, v3
	s_waitcnt_depctr 0xfff
	v_mul_f32_e32 v3, 0x5f7ffffc, v3
	v_mul_f32_e32 v5, 0x2f800000, v3
	s_delay_alu instid0(VALU_DEP_1) | instskip(NEXT) | instid1(VALU_DEP_1)
	v_trunc_f32_e32 v5, v5
	v_fmac_f32_e32 v3, 0xcf800000, v5
	v_cvt_u32_f32_e32 v5, v5
	s_delay_alu instid0(VALU_DEP_2) | instskip(NEXT) | instid1(VALU_DEP_2)
	v_cvt_u32_f32_e32 v3, v3
	v_mul_lo_u32 v7, s0, v5
	s_delay_alu instid0(VALU_DEP_2) | instskip(SKIP_1) | instid1(VALU_DEP_2)
	v_mul_hi_u32 v9, s0, v3
	v_mul_lo_u32 v12, s47, v3
	v_add_nc_u32_e32 v7, v9, v7
	v_mul_lo_u32 v9, s0, v3
	s_delay_alu instid0(VALU_DEP_2) | instskip(NEXT) | instid1(VALU_DEP_2)
	v_add_nc_u32_e32 v7, v7, v12
	v_mul_hi_u32 v12, v3, v9
	s_delay_alu instid0(VALU_DEP_2)
	v_mul_lo_u32 v13, v3, v7
	v_mul_hi_u32 v14, v3, v7
	v_mul_hi_u32 v15, v5, v9
	v_mul_lo_u32 v9, v5, v9
	v_mul_hi_u32 v16, v5, v7
	v_mul_lo_u32 v7, v5, v7
	v_add_co_u32 v12, vcc_lo, v12, v13
	v_add_co_ci_u32_e32 v13, vcc_lo, 0, v14, vcc_lo
	s_delay_alu instid0(VALU_DEP_2) | instskip(NEXT) | instid1(VALU_DEP_2)
	v_add_co_u32 v9, vcc_lo, v12, v9
	v_add_co_ci_u32_e32 v9, vcc_lo, v13, v15, vcc_lo
	v_add_co_ci_u32_e32 v12, vcc_lo, 0, v16, vcc_lo
	s_delay_alu instid0(VALU_DEP_2) | instskip(NEXT) | instid1(VALU_DEP_2)
	v_add_co_u32 v7, vcc_lo, v9, v7
	v_add_co_ci_u32_e32 v9, vcc_lo, 0, v12, vcc_lo
	s_delay_alu instid0(VALU_DEP_2) | instskip(NEXT) | instid1(VALU_DEP_2)
	v_add_co_u32 v3, vcc_lo, v3, v7
	v_add_co_ci_u32_e32 v5, vcc_lo, v5, v9, vcc_lo
	s_delay_alu instid0(VALU_DEP_2) | instskip(SKIP_1) | instid1(VALU_DEP_3)
	v_mul_hi_u32 v7, s0, v3
	v_mul_lo_u32 v12, s47, v3
	v_mul_lo_u32 v9, s0, v5
	s_delay_alu instid0(VALU_DEP_1) | instskip(SKIP_1) | instid1(VALU_DEP_2)
	v_add_nc_u32_e32 v7, v7, v9
	v_mul_lo_u32 v9, s0, v3
	v_add_nc_u32_e32 v7, v7, v12
	s_delay_alu instid0(VALU_DEP_2) | instskip(NEXT) | instid1(VALU_DEP_2)
	v_mul_hi_u32 v12, v3, v9
	v_mul_lo_u32 v13, v3, v7
	v_mul_hi_u32 v14, v3, v7
	v_mul_hi_u32 v15, v5, v9
	v_mul_lo_u32 v9, v5, v9
	v_mul_hi_u32 v16, v5, v7
	v_mul_lo_u32 v7, v5, v7
	v_add_co_u32 v12, vcc_lo, v12, v13
	v_add_co_ci_u32_e32 v13, vcc_lo, 0, v14, vcc_lo
	s_delay_alu instid0(VALU_DEP_2) | instskip(NEXT) | instid1(VALU_DEP_2)
	v_add_co_u32 v9, vcc_lo, v12, v9
	v_add_co_ci_u32_e32 v9, vcc_lo, v13, v15, vcc_lo
	v_add_co_ci_u32_e32 v12, vcc_lo, 0, v16, vcc_lo
	v_add_co_u32 v13, vcc_lo, v10, v17
	v_add_co_ci_u32_e32 v11, vcc_lo, v11, v17, vcc_lo
	s_delay_alu instid0(VALU_DEP_4) | instskip(NEXT) | instid1(VALU_DEP_4)
	v_add_co_u32 v7, vcc_lo, v9, v7
	v_add_co_ci_u32_e32 v9, vcc_lo, 0, v12, vcc_lo
	s_delay_alu instid0(VALU_DEP_4) | instskip(NEXT) | instid1(VALU_DEP_3)
	v_xor_b32_e32 v21, v13, v17
	v_add_co_u32 v3, vcc_lo, v3, v7
	s_delay_alu instid0(VALU_DEP_3) | instskip(SKIP_1) | instid1(VALU_DEP_3)
	v_add_co_ci_u32_e32 v5, vcc_lo, v5, v9, vcc_lo
	v_xor_b32_e32 v7, v11, v17
	v_mul_hi_u32 v9, v21, v3
	s_delay_alu instid0(VALU_DEP_3) | instskip(NEXT) | instid1(VALU_DEP_3)
	v_mad_u64_u32 v[11:12], null, v21, v5, 0
	v_mad_u64_u32 v[13:14], null, v7, v3, 0
	v_mad_u64_u32 v[15:16], null, v7, v5, 0
	s_delay_alu instid0(VALU_DEP_3) | instskip(NEXT) | instid1(VALU_DEP_4)
	v_add_co_u32 v3, vcc_lo, v9, v11
	v_add_co_ci_u32_e32 v5, vcc_lo, 0, v12, vcc_lo
	s_delay_alu instid0(VALU_DEP_2) | instskip(NEXT) | instid1(VALU_DEP_2)
	v_add_co_u32 v3, vcc_lo, v3, v13
	v_add_co_ci_u32_e32 v3, vcc_lo, v5, v14, vcc_lo
	v_add_co_ci_u32_e32 v5, vcc_lo, 0, v16, vcc_lo
	s_delay_alu instid0(VALU_DEP_2) | instskip(NEXT) | instid1(VALU_DEP_2)
	v_add_co_u32 v3, vcc_lo, v3, v15
	v_add_co_ci_u32_e32 v5, vcc_lo, 0, v5, vcc_lo
	s_delay_alu instid0(VALU_DEP_2) | instskip(SKIP_1) | instid1(VALU_DEP_3)
	v_mul_lo_u32 v9, s29, v3
	v_mad_u64_u32 v[11:12], null, s28, v3, 0
	v_mul_lo_u32 v13, s28, v5
	s_delay_alu instid0(VALU_DEP_2) | instskip(NEXT) | instid1(VALU_DEP_2)
	v_sub_co_u32 v11, vcc_lo, v21, v11
	v_add3_u32 v9, v12, v13, v9
	s_delay_alu instid0(VALU_DEP_1) | instskip(NEXT) | instid1(VALU_DEP_1)
	v_sub_nc_u32_e32 v12, v7, v9
	v_subrev_co_ci_u32_e64 v12, s0, s29, v12, vcc_lo
	v_add_co_u32 v13, s0, v3, 2
	s_delay_alu instid0(VALU_DEP_1) | instskip(SKIP_3) | instid1(VALU_DEP_3)
	v_add_co_ci_u32_e64 v14, s0, 0, v5, s0
	v_sub_co_u32 v15, s0, v11, s28
	v_sub_co_ci_u32_e32 v7, vcc_lo, v7, v9, vcc_lo
	v_subrev_co_ci_u32_e64 v12, s0, 0, v12, s0
	v_cmp_le_u32_e32 vcc_lo, s28, v15
	s_delay_alu instid0(VALU_DEP_3) | instskip(SKIP_1) | instid1(VALU_DEP_4)
	v_cmp_eq_u32_e64 s0, s29, v7
	v_cndmask_b32_e64 v9, 0, -1, vcc_lo
	v_cmp_le_u32_e32 vcc_lo, s29, v12
	v_cndmask_b32_e64 v15, 0, -1, vcc_lo
	v_cmp_le_u32_e32 vcc_lo, s28, v11
	;; [unrolled: 2-line block ×3, first 2 shown]
	v_cndmask_b32_e64 v16, 0, -1, vcc_lo
	v_cmp_eq_u32_e32 vcc_lo, s29, v12
	s_delay_alu instid0(VALU_DEP_2) | instskip(SKIP_3) | instid1(VALU_DEP_3)
	v_cndmask_b32_e64 v7, v16, v11, s0
	v_cndmask_b32_e32 v9, v15, v9, vcc_lo
	v_add_co_u32 v12, vcc_lo, v3, 1
	v_add_co_ci_u32_e32 v15, vcc_lo, 0, v5, vcc_lo
	v_cmp_ne_u32_e32 vcc_lo, 0, v9
	s_delay_alu instid0(VALU_DEP_2) | instskip(NEXT) | instid1(VALU_DEP_4)
	v_cndmask_b32_e32 v9, v15, v14, vcc_lo
	v_cndmask_b32_e32 v11, v12, v13, vcc_lo
	v_cmp_ne_u32_e32 vcc_lo, 0, v7
	v_xor_b32_e32 v7, s24, v17
	s_delay_alu instid0(VALU_DEP_3) | instskip(SKIP_2) | instid1(VALU_DEP_3)
	v_cndmask_b32_e32 v3, v3, v11, vcc_lo
	v_cndmask_b32_e32 v5, v5, v9, vcc_lo
	v_xor_b32_e32 v9, s25, v17
	v_xor_b32_e32 v3, v3, v7
	s_delay_alu instid0(VALU_DEP_2) | instskip(NEXT) | instid1(VALU_DEP_2)
	v_xor_b32_e32 v5, v5, v9
	v_sub_co_u32 v12, vcc_lo, v3, v7
	s_delay_alu instid0(VALU_DEP_2)
	v_sub_co_ci_u32_e32 v13, vcc_lo, v5, v9, vcc_lo
.LBB41_28:                              ;   in Loop: Header=BB41_22 Depth=2
	s_and_not1_saveexec_b32 s0, s46
	s_cbranch_execz .LBB41_30
; %bb.29:                               ;   in Loop: Header=BB41_22 Depth=2
	v_cvt_f32_u32_e32 v3, s45
	s_sub_i32 s24, 0, s45
	v_mov_b32_e32 v13, v2
	s_delay_alu instid0(VALU_DEP_2) | instskip(SKIP_2) | instid1(VALU_DEP_1)
	v_rcp_iflag_f32_e32 v3, v3
	s_waitcnt_depctr 0xfff
	v_mul_f32_e32 v3, 0x4f7ffffe, v3
	v_cvt_u32_f32_e32 v3, v3
	s_delay_alu instid0(VALU_DEP_1) | instskip(NEXT) | instid1(VALU_DEP_1)
	v_mul_lo_u32 v5, s24, v3
	v_mul_hi_u32 v5, v3, v5
	s_delay_alu instid0(VALU_DEP_1) | instskip(NEXT) | instid1(VALU_DEP_1)
	v_add_nc_u32_e32 v3, v3, v5
	v_mul_hi_u32 v3, v10, v3
	s_delay_alu instid0(VALU_DEP_1) | instskip(SKIP_1) | instid1(VALU_DEP_2)
	v_mul_lo_u32 v5, v3, s45
	v_add_nc_u32_e32 v7, 1, v3
	v_sub_nc_u32_e32 v5, v10, v5
	s_delay_alu instid0(VALU_DEP_1) | instskip(SKIP_1) | instid1(VALU_DEP_4)
	v_cmp_le_u32_e32 vcc_lo, s45, v5
	v_subrev_nc_u32_e32 v9, s45, v5
	v_cndmask_b32_e32 v3, v3, v7, vcc_lo
	s_delay_alu instid0(VALU_DEP_1) | instskip(NEXT) | instid1(VALU_DEP_3)
	v_add_nc_u32_e32 v7, 1, v3
	v_cndmask_b32_e32 v5, v5, v9, vcc_lo
	s_delay_alu instid0(VALU_DEP_1) | instskip(NEXT) | instid1(VALU_DEP_3)
	v_cmp_le_u32_e32 vcc_lo, s45, v5
	v_cndmask_b32_e32 v12, v3, v7, vcc_lo
.LBB41_30:                              ;   in Loop: Header=BB41_22 Depth=2
	s_or_b32 exec_lo, exec_lo, s0
	s_add_u32 s28, s36, s26
	s_addc_u32 s29, s37, s27
	s_add_i32 s24, s16, -2
	s_mov_b32 s25, s17
                                        ; implicit-def: $vgpr14_vgpr15
	s_delay_alu instid0(SALU_CYCLE_1) | instskip(NEXT) | instid1(SALU_CYCLE_1)
	s_lshl_b64 s[24:25], s[24:25], 2
	s_add_u32 s26, s31, s24
	s_addc_u32 s27, s33, s25
	s_clause 0x2
	s_load_b32 s48, s[26:27], 0x8
	s_load_b32 s46, s[22:23], 0x6c
	;; [unrolled: 1-line block ×3, first 2 shown]
	s_mov_b32 s22, exec_lo
	s_waitcnt lgkmcnt(0)
	s_ashr_i32 s0, s48, 31
	s_delay_alu instid0(SALU_CYCLE_1) | instskip(NEXT) | instid1(VALU_DEP_1)
	v_or_b32_e32 v3, s0, v13
	v_cmpx_ne_u64_e32 0, v[2:3]
	s_xor_b32 s49, exec_lo, s22
	s_cbranch_execz .LBB41_32
; %bb.31:                               ;   in Loop: Header=BB41_22 Depth=2
	s_add_u32 s28, s48, s0
	s_mov_b32 s22, s0
	s_mov_b32 s23, s0
	s_addc_u32 s29, s0, s0
	s_delay_alu instid0(SALU_CYCLE_1) | instskip(NEXT) | instid1(SALU_CYCLE_1)
	s_xor_b64 s[28:29], s[28:29], s[22:23]
	v_cvt_f32_u32_e32 v3, s28
	v_cvt_f32_u32_e32 v5, s29
	s_sub_u32 s0, 0, s28
	s_subb_u32 s50, 0, s29
	s_delay_alu instid0(VALU_DEP_1) | instskip(NEXT) | instid1(VALU_DEP_1)
	v_fmac_f32_e32 v3, 0x4f800000, v5
	v_rcp_f32_e32 v3, v3
	s_waitcnt_depctr 0xfff
	v_mul_f32_e32 v3, 0x5f7ffffc, v3
	s_delay_alu instid0(VALU_DEP_1) | instskip(NEXT) | instid1(VALU_DEP_1)
	v_mul_f32_e32 v5, 0x2f800000, v3
	v_trunc_f32_e32 v5, v5
	s_delay_alu instid0(VALU_DEP_1) | instskip(SKIP_1) | instid1(VALU_DEP_2)
	v_fmac_f32_e32 v3, 0xcf800000, v5
	v_cvt_u32_f32_e32 v5, v5
	v_cvt_u32_f32_e32 v3, v3
	s_delay_alu instid0(VALU_DEP_2) | instskip(NEXT) | instid1(VALU_DEP_2)
	v_mul_lo_u32 v7, s0, v5
	v_mul_hi_u32 v9, s0, v3
	v_mul_lo_u32 v11, s50, v3
	s_delay_alu instid0(VALU_DEP_2) | instskip(SKIP_1) | instid1(VALU_DEP_2)
	v_add_nc_u32_e32 v7, v9, v7
	v_mul_lo_u32 v9, s0, v3
	v_add_nc_u32_e32 v7, v7, v11
	s_delay_alu instid0(VALU_DEP_2) | instskip(NEXT) | instid1(VALU_DEP_2)
	v_mul_hi_u32 v11, v3, v9
	v_mul_lo_u32 v14, v3, v7
	v_mul_hi_u32 v15, v3, v7
	v_mul_hi_u32 v16, v5, v9
	v_mul_lo_u32 v9, v5, v9
	v_mul_hi_u32 v17, v5, v7
	v_mul_lo_u32 v7, v5, v7
	v_add_co_u32 v11, vcc_lo, v11, v14
	v_add_co_ci_u32_e32 v14, vcc_lo, 0, v15, vcc_lo
	s_delay_alu instid0(VALU_DEP_2) | instskip(NEXT) | instid1(VALU_DEP_2)
	v_add_co_u32 v9, vcc_lo, v11, v9
	v_add_co_ci_u32_e32 v9, vcc_lo, v14, v16, vcc_lo
	v_add_co_ci_u32_e32 v11, vcc_lo, 0, v17, vcc_lo
	v_ashrrev_i32_e32 v17, 31, v13
	s_delay_alu instid0(VALU_DEP_3) | instskip(NEXT) | instid1(VALU_DEP_3)
	v_add_co_u32 v7, vcc_lo, v9, v7
	v_add_co_ci_u32_e32 v9, vcc_lo, 0, v11, vcc_lo
	s_delay_alu instid0(VALU_DEP_2) | instskip(NEXT) | instid1(VALU_DEP_2)
	v_add_co_u32 v3, vcc_lo, v3, v7
	v_add_co_ci_u32_e32 v5, vcc_lo, v5, v9, vcc_lo
	s_delay_alu instid0(VALU_DEP_2) | instskip(SKIP_1) | instid1(VALU_DEP_3)
	v_mul_hi_u32 v7, s0, v3
	v_mul_lo_u32 v11, s50, v3
	v_mul_lo_u32 v9, s0, v5
	s_delay_alu instid0(VALU_DEP_1) | instskip(SKIP_1) | instid1(VALU_DEP_2)
	v_add_nc_u32_e32 v7, v7, v9
	v_mul_lo_u32 v9, s0, v3
	v_add_nc_u32_e32 v7, v7, v11
	s_delay_alu instid0(VALU_DEP_2) | instskip(NEXT) | instid1(VALU_DEP_2)
	v_mul_hi_u32 v11, v3, v9
	v_mul_lo_u32 v14, v3, v7
	v_mul_hi_u32 v15, v3, v7
	v_mul_hi_u32 v16, v5, v9
	v_mul_lo_u32 v9, v5, v9
	v_mul_hi_u32 v21, v5, v7
	v_mul_lo_u32 v7, v5, v7
	v_add_co_u32 v11, vcc_lo, v11, v14
	v_add_co_ci_u32_e32 v14, vcc_lo, 0, v15, vcc_lo
	s_delay_alu instid0(VALU_DEP_2) | instskip(NEXT) | instid1(VALU_DEP_2)
	v_add_co_u32 v9, vcc_lo, v11, v9
	v_add_co_ci_u32_e32 v9, vcc_lo, v14, v16, vcc_lo
	v_add_co_ci_u32_e32 v11, vcc_lo, 0, v21, vcc_lo
	v_add_co_u32 v14, vcc_lo, v12, v17
	v_add_co_ci_u32_e32 v13, vcc_lo, v13, v17, vcc_lo
	s_delay_alu instid0(VALU_DEP_4) | instskip(NEXT) | instid1(VALU_DEP_4)
	v_add_co_u32 v7, vcc_lo, v9, v7
	v_add_co_ci_u32_e32 v9, vcc_lo, 0, v11, vcc_lo
	s_delay_alu instid0(VALU_DEP_4) | instskip(NEXT) | instid1(VALU_DEP_3)
	v_xor_b32_e32 v11, v14, v17
	v_add_co_u32 v3, vcc_lo, v3, v7
	s_delay_alu instid0(VALU_DEP_3) | instskip(SKIP_1) | instid1(VALU_DEP_3)
	v_add_co_ci_u32_e32 v5, vcc_lo, v5, v9, vcc_lo
	v_xor_b32_e32 v7, v13, v17
	v_mul_hi_u32 v9, v11, v3
	s_delay_alu instid0(VALU_DEP_3) | instskip(NEXT) | instid1(VALU_DEP_3)
	v_mad_u64_u32 v[13:14], null, v11, v5, 0
	v_mad_u64_u32 v[15:16], null, v7, v3, 0
	;; [unrolled: 1-line block ×3, first 2 shown]
	s_delay_alu instid0(VALU_DEP_3) | instskip(NEXT) | instid1(VALU_DEP_4)
	v_add_co_u32 v3, vcc_lo, v9, v13
	v_add_co_ci_u32_e32 v5, vcc_lo, 0, v14, vcc_lo
	s_delay_alu instid0(VALU_DEP_2) | instskip(NEXT) | instid1(VALU_DEP_2)
	v_add_co_u32 v3, vcc_lo, v3, v15
	v_add_co_ci_u32_e32 v3, vcc_lo, v5, v16, vcc_lo
	v_add_co_ci_u32_e32 v5, vcc_lo, 0, v22, vcc_lo
	s_delay_alu instid0(VALU_DEP_2) | instskip(NEXT) | instid1(VALU_DEP_2)
	v_add_co_u32 v3, vcc_lo, v3, v21
	v_add_co_ci_u32_e32 v5, vcc_lo, 0, v5, vcc_lo
	s_delay_alu instid0(VALU_DEP_2) | instskip(SKIP_1) | instid1(VALU_DEP_3)
	v_mul_lo_u32 v9, s29, v3
	v_mad_u64_u32 v[13:14], null, s28, v3, 0
	v_mul_lo_u32 v15, s28, v5
	s_delay_alu instid0(VALU_DEP_2) | instskip(NEXT) | instid1(VALU_DEP_2)
	v_sub_co_u32 v11, vcc_lo, v11, v13
	v_add3_u32 v9, v14, v15, v9
	s_delay_alu instid0(VALU_DEP_1) | instskip(NEXT) | instid1(VALU_DEP_1)
	v_sub_nc_u32_e32 v14, v7, v9
	v_subrev_co_ci_u32_e64 v13, s0, s29, v14, vcc_lo
	v_add_co_u32 v14, s0, v3, 2
	s_delay_alu instid0(VALU_DEP_1) | instskip(SKIP_3) | instid1(VALU_DEP_3)
	v_add_co_ci_u32_e64 v15, s0, 0, v5, s0
	v_sub_co_u32 v16, s0, v11, s28
	v_sub_co_ci_u32_e32 v7, vcc_lo, v7, v9, vcc_lo
	v_subrev_co_ci_u32_e64 v13, s0, 0, v13, s0
	v_cmp_le_u32_e32 vcc_lo, s28, v16
	s_delay_alu instid0(VALU_DEP_3) | instskip(SKIP_1) | instid1(VALU_DEP_4)
	v_cmp_eq_u32_e64 s0, s29, v7
	v_cndmask_b32_e64 v9, 0, -1, vcc_lo
	v_cmp_le_u32_e32 vcc_lo, s29, v13
	v_cndmask_b32_e64 v16, 0, -1, vcc_lo
	v_cmp_le_u32_e32 vcc_lo, s28, v11
	;; [unrolled: 2-line block ×3, first 2 shown]
	v_cndmask_b32_e64 v21, 0, -1, vcc_lo
	v_cmp_eq_u32_e32 vcc_lo, s29, v13
	s_delay_alu instid0(VALU_DEP_2) | instskip(SKIP_3) | instid1(VALU_DEP_3)
	v_cndmask_b32_e64 v7, v21, v11, s0
	v_cndmask_b32_e32 v9, v16, v9, vcc_lo
	v_add_co_u32 v13, vcc_lo, v3, 1
	v_add_co_ci_u32_e32 v16, vcc_lo, 0, v5, vcc_lo
	v_cmp_ne_u32_e32 vcc_lo, 0, v9
	s_delay_alu instid0(VALU_DEP_2) | instskip(NEXT) | instid1(VALU_DEP_4)
	v_cndmask_b32_e32 v9, v16, v15, vcc_lo
	v_cndmask_b32_e32 v11, v13, v14, vcc_lo
	v_cmp_ne_u32_e32 vcc_lo, 0, v7
	v_xor_b32_e32 v7, s22, v17
	s_delay_alu instid0(VALU_DEP_3) | instskip(SKIP_2) | instid1(VALU_DEP_3)
	v_cndmask_b32_e32 v3, v3, v11, vcc_lo
	v_cndmask_b32_e32 v5, v5, v9, vcc_lo
	v_xor_b32_e32 v9, s23, v17
	v_xor_b32_e32 v3, v3, v7
	s_delay_alu instid0(VALU_DEP_2) | instskip(NEXT) | instid1(VALU_DEP_2)
	v_xor_b32_e32 v5, v5, v9
	v_sub_co_u32 v14, vcc_lo, v3, v7
	s_delay_alu instid0(VALU_DEP_2)
	v_sub_co_ci_u32_e32 v15, vcc_lo, v5, v9, vcc_lo
.LBB41_32:                              ;   in Loop: Header=BB41_22 Depth=2
	s_and_not1_saveexec_b32 s0, s49
	s_cbranch_execz .LBB41_34
; %bb.33:                               ;   in Loop: Header=BB41_22 Depth=2
	v_cvt_f32_u32_e32 v3, s48
	s_sub_i32 s22, 0, s48
	v_mov_b32_e32 v15, v2
	s_delay_alu instid0(VALU_DEP_2) | instskip(SKIP_2) | instid1(VALU_DEP_1)
	v_rcp_iflag_f32_e32 v3, v3
	s_waitcnt_depctr 0xfff
	v_mul_f32_e32 v3, 0x4f7ffffe, v3
	v_cvt_u32_f32_e32 v3, v3
	s_delay_alu instid0(VALU_DEP_1) | instskip(NEXT) | instid1(VALU_DEP_1)
	v_mul_lo_u32 v5, s22, v3
	v_mul_hi_u32 v5, v3, v5
	s_delay_alu instid0(VALU_DEP_1) | instskip(NEXT) | instid1(VALU_DEP_1)
	v_add_nc_u32_e32 v3, v3, v5
	v_mul_hi_u32 v3, v12, v3
	s_delay_alu instid0(VALU_DEP_1) | instskip(SKIP_1) | instid1(VALU_DEP_2)
	v_mul_lo_u32 v5, v3, s48
	v_add_nc_u32_e32 v7, 1, v3
	v_sub_nc_u32_e32 v5, v12, v5
	s_delay_alu instid0(VALU_DEP_1) | instskip(SKIP_1) | instid1(VALU_DEP_4)
	v_cmp_le_u32_e32 vcc_lo, s48, v5
	v_subrev_nc_u32_e32 v9, s48, v5
	v_cndmask_b32_e32 v3, v3, v7, vcc_lo
	s_delay_alu instid0(VALU_DEP_1) | instskip(NEXT) | instid1(VALU_DEP_3)
	v_add_nc_u32_e32 v7, 1, v3
	v_cndmask_b32_e32 v5, v5, v9, vcc_lo
	s_delay_alu instid0(VALU_DEP_1) | instskip(NEXT) | instid1(VALU_DEP_3)
	v_cmp_le_u32_e32 vcc_lo, s48, v5
	v_cndmask_b32_e32 v14, v3, v7, vcc_lo
.LBB41_34:                              ;   in Loop: Header=BB41_22 Depth=2
	s_or_b32 exec_lo, exec_lo, s0
	s_add_u32 s28, s36, s24
	s_addc_u32 s29, s37, s25
	s_add_i32 s22, s16, -3
	s_mov_b32 s23, s17
                                        ; implicit-def: $vgpr16_vgpr17
	s_delay_alu instid0(SALU_CYCLE_1) | instskip(NEXT) | instid1(SALU_CYCLE_1)
	s_lshl_b64 s[24:25], s[22:23], 2
	s_add_u32 s22, s31, s24
	s_addc_u32 s23, s33, s25
	s_clause 0x2
	s_load_b32 s51, s[22:23], 0x8
	s_load_b32 s49, s[26:27], 0x6c
	;; [unrolled: 1-line block ×3, first 2 shown]
	s_mov_b32 s26, exec_lo
	s_waitcnt lgkmcnt(0)
	s_ashr_i32 s0, s51, 31
	s_delay_alu instid0(SALU_CYCLE_1) | instskip(NEXT) | instid1(VALU_DEP_1)
	v_or_b32_e32 v3, s0, v15
	v_cmpx_ne_u64_e32 0, v[2:3]
	s_xor_b32 s52, exec_lo, s26
	s_cbranch_execz .LBB41_36
; %bb.35:                               ;   in Loop: Header=BB41_22 Depth=2
	s_add_u32 s28, s51, s0
	s_mov_b32 s26, s0
	s_mov_b32 s27, s0
	s_addc_u32 s29, s0, s0
	s_delay_alu instid0(SALU_CYCLE_1) | instskip(NEXT) | instid1(SALU_CYCLE_1)
	s_xor_b64 s[28:29], s[28:29], s[26:27]
	v_cvt_f32_u32_e32 v3, s28
	v_cvt_f32_u32_e32 v5, s29
	s_sub_u32 s0, 0, s28
	s_subb_u32 s53, 0, s29
	s_delay_alu instid0(VALU_DEP_1) | instskip(NEXT) | instid1(VALU_DEP_1)
	v_fmac_f32_e32 v3, 0x4f800000, v5
	v_rcp_f32_e32 v3, v3
	s_waitcnt_depctr 0xfff
	v_mul_f32_e32 v3, 0x5f7ffffc, v3
	s_delay_alu instid0(VALU_DEP_1) | instskip(NEXT) | instid1(VALU_DEP_1)
	v_mul_f32_e32 v5, 0x2f800000, v3
	v_trunc_f32_e32 v5, v5
	s_delay_alu instid0(VALU_DEP_1) | instskip(SKIP_1) | instid1(VALU_DEP_2)
	v_fmac_f32_e32 v3, 0xcf800000, v5
	v_cvt_u32_f32_e32 v5, v5
	v_cvt_u32_f32_e32 v3, v3
	s_delay_alu instid0(VALU_DEP_2) | instskip(NEXT) | instid1(VALU_DEP_2)
	v_mul_lo_u32 v7, s0, v5
	v_mul_hi_u32 v9, s0, v3
	v_mul_lo_u32 v11, s53, v3
	s_delay_alu instid0(VALU_DEP_2) | instskip(SKIP_1) | instid1(VALU_DEP_2)
	v_add_nc_u32_e32 v7, v9, v7
	v_mul_lo_u32 v9, s0, v3
	v_add_nc_u32_e32 v7, v7, v11
	s_delay_alu instid0(VALU_DEP_2) | instskip(NEXT) | instid1(VALU_DEP_2)
	v_mul_hi_u32 v11, v3, v9
	v_mul_lo_u32 v13, v3, v7
	v_mul_hi_u32 v16, v3, v7
	v_mul_hi_u32 v17, v5, v9
	v_mul_lo_u32 v9, v5, v9
	v_mul_hi_u32 v21, v5, v7
	v_mul_lo_u32 v7, v5, v7
	v_add_co_u32 v11, vcc_lo, v11, v13
	v_add_co_ci_u32_e32 v13, vcc_lo, 0, v16, vcc_lo
	s_delay_alu instid0(VALU_DEP_2) | instskip(NEXT) | instid1(VALU_DEP_2)
	v_add_co_u32 v9, vcc_lo, v11, v9
	v_add_co_ci_u32_e32 v9, vcc_lo, v13, v17, vcc_lo
	v_add_co_ci_u32_e32 v11, vcc_lo, 0, v21, vcc_lo
	v_ashrrev_i32_e32 v17, 31, v15
	s_delay_alu instid0(VALU_DEP_3) | instskip(NEXT) | instid1(VALU_DEP_3)
	v_add_co_u32 v7, vcc_lo, v9, v7
	v_add_co_ci_u32_e32 v9, vcc_lo, 0, v11, vcc_lo
	s_delay_alu instid0(VALU_DEP_2) | instskip(NEXT) | instid1(VALU_DEP_2)
	v_add_co_u32 v3, vcc_lo, v3, v7
	v_add_co_ci_u32_e32 v5, vcc_lo, v5, v9, vcc_lo
	s_delay_alu instid0(VALU_DEP_2) | instskip(SKIP_1) | instid1(VALU_DEP_3)
	v_mul_hi_u32 v7, s0, v3
	v_mul_lo_u32 v11, s53, v3
	v_mul_lo_u32 v9, s0, v5
	s_delay_alu instid0(VALU_DEP_1) | instskip(SKIP_1) | instid1(VALU_DEP_2)
	v_add_nc_u32_e32 v7, v7, v9
	v_mul_lo_u32 v9, s0, v3
	v_add_nc_u32_e32 v7, v7, v11
	s_delay_alu instid0(VALU_DEP_2) | instskip(NEXT) | instid1(VALU_DEP_2)
	v_mul_hi_u32 v11, v3, v9
	v_mul_lo_u32 v13, v3, v7
	v_mul_hi_u32 v16, v3, v7
	v_mul_hi_u32 v21, v5, v9
	v_mul_lo_u32 v9, v5, v9
	v_mul_hi_u32 v22, v5, v7
	v_mul_lo_u32 v7, v5, v7
	v_add_co_u32 v11, vcc_lo, v11, v13
	v_add_co_ci_u32_e32 v13, vcc_lo, 0, v16, vcc_lo
	s_delay_alu instid0(VALU_DEP_2) | instskip(NEXT) | instid1(VALU_DEP_2)
	v_add_co_u32 v9, vcc_lo, v11, v9
	v_add_co_ci_u32_e32 v9, vcc_lo, v13, v21, vcc_lo
	v_add_co_ci_u32_e32 v11, vcc_lo, 0, v22, vcc_lo
	v_add_co_u32 v13, vcc_lo, v14, v17
	v_add_co_ci_u32_e32 v15, vcc_lo, v15, v17, vcc_lo
	s_delay_alu instid0(VALU_DEP_4) | instskip(NEXT) | instid1(VALU_DEP_4)
	v_add_co_u32 v7, vcc_lo, v9, v7
	v_add_co_ci_u32_e32 v9, vcc_lo, 0, v11, vcc_lo
	s_delay_alu instid0(VALU_DEP_4) | instskip(NEXT) | instid1(VALU_DEP_3)
	v_xor_b32_e32 v11, v13, v17
	v_add_co_u32 v3, vcc_lo, v3, v7
	s_delay_alu instid0(VALU_DEP_3) | instskip(SKIP_1) | instid1(VALU_DEP_3)
	v_add_co_ci_u32_e32 v5, vcc_lo, v5, v9, vcc_lo
	v_xor_b32_e32 v7, v15, v17
	v_mul_hi_u32 v9, v11, v3
	s_delay_alu instid0(VALU_DEP_3) | instskip(NEXT) | instid1(VALU_DEP_3)
	v_mad_u64_u32 v[15:16], null, v11, v5, 0
	v_mad_u64_u32 v[21:22], null, v7, v3, 0
	;; [unrolled: 1-line block ×3, first 2 shown]
	s_delay_alu instid0(VALU_DEP_3) | instskip(NEXT) | instid1(VALU_DEP_4)
	v_add_co_u32 v3, vcc_lo, v9, v15
	v_add_co_ci_u32_e32 v5, vcc_lo, 0, v16, vcc_lo
	s_delay_alu instid0(VALU_DEP_2) | instskip(NEXT) | instid1(VALU_DEP_2)
	v_add_co_u32 v3, vcc_lo, v3, v21
	v_add_co_ci_u32_e32 v3, vcc_lo, v5, v22, vcc_lo
	v_add_co_ci_u32_e32 v5, vcc_lo, 0, v24, vcc_lo
	s_delay_alu instid0(VALU_DEP_2) | instskip(NEXT) | instid1(VALU_DEP_2)
	v_add_co_u32 v3, vcc_lo, v3, v23
	v_add_co_ci_u32_e32 v5, vcc_lo, 0, v5, vcc_lo
	s_delay_alu instid0(VALU_DEP_2) | instskip(SKIP_1) | instid1(VALU_DEP_3)
	v_mul_lo_u32 v9, s29, v3
	v_mad_u64_u32 v[15:16], null, s28, v3, 0
	v_mul_lo_u32 v13, s28, v5
	s_delay_alu instid0(VALU_DEP_2) | instskip(NEXT) | instid1(VALU_DEP_2)
	v_sub_co_u32 v11, vcc_lo, v11, v15
	v_add3_u32 v9, v16, v13, v9
	s_delay_alu instid0(VALU_DEP_1) | instskip(NEXT) | instid1(VALU_DEP_1)
	v_sub_nc_u32_e32 v13, v7, v9
	v_subrev_co_ci_u32_e64 v13, s0, s29, v13, vcc_lo
	v_add_co_u32 v15, s0, v3, 2
	s_delay_alu instid0(VALU_DEP_1) | instskip(SKIP_3) | instid1(VALU_DEP_3)
	v_add_co_ci_u32_e64 v16, s0, 0, v5, s0
	v_sub_co_u32 v21, s0, v11, s28
	v_sub_co_ci_u32_e32 v7, vcc_lo, v7, v9, vcc_lo
	v_subrev_co_ci_u32_e64 v13, s0, 0, v13, s0
	v_cmp_le_u32_e32 vcc_lo, s28, v21
	s_delay_alu instid0(VALU_DEP_3) | instskip(SKIP_1) | instid1(VALU_DEP_4)
	v_cmp_eq_u32_e64 s0, s29, v7
	v_cndmask_b32_e64 v9, 0, -1, vcc_lo
	v_cmp_le_u32_e32 vcc_lo, s29, v13
	v_cndmask_b32_e64 v21, 0, -1, vcc_lo
	v_cmp_le_u32_e32 vcc_lo, s28, v11
	;; [unrolled: 2-line block ×3, first 2 shown]
	v_cndmask_b32_e64 v22, 0, -1, vcc_lo
	v_cmp_eq_u32_e32 vcc_lo, s29, v13
	s_delay_alu instid0(VALU_DEP_2) | instskip(SKIP_3) | instid1(VALU_DEP_3)
	v_cndmask_b32_e64 v7, v22, v11, s0
	v_cndmask_b32_e32 v9, v21, v9, vcc_lo
	v_add_co_u32 v13, vcc_lo, v3, 1
	v_add_co_ci_u32_e32 v21, vcc_lo, 0, v5, vcc_lo
	v_cmp_ne_u32_e32 vcc_lo, 0, v9
	s_delay_alu instid0(VALU_DEP_2) | instskip(NEXT) | instid1(VALU_DEP_4)
	v_cndmask_b32_e32 v9, v21, v16, vcc_lo
	v_cndmask_b32_e32 v11, v13, v15, vcc_lo
	v_cmp_ne_u32_e32 vcc_lo, 0, v7
	v_xor_b32_e32 v7, s26, v17
	s_delay_alu instid0(VALU_DEP_3) | instskip(SKIP_2) | instid1(VALU_DEP_3)
	v_cndmask_b32_e32 v3, v3, v11, vcc_lo
	v_cndmask_b32_e32 v5, v5, v9, vcc_lo
	v_xor_b32_e32 v9, s27, v17
	v_xor_b32_e32 v3, v3, v7
	s_delay_alu instid0(VALU_DEP_2) | instskip(NEXT) | instid1(VALU_DEP_2)
	v_xor_b32_e32 v5, v5, v9
	v_sub_co_u32 v16, vcc_lo, v3, v7
	s_delay_alu instid0(VALU_DEP_2)
	v_sub_co_ci_u32_e32 v17, vcc_lo, v5, v9, vcc_lo
.LBB41_36:                              ;   in Loop: Header=BB41_22 Depth=2
	s_and_not1_saveexec_b32 s0, s52
	s_cbranch_execz .LBB41_38
; %bb.37:                               ;   in Loop: Header=BB41_22 Depth=2
	v_cvt_f32_u32_e32 v3, s51
	s_sub_i32 s26, 0, s51
	v_mov_b32_e32 v17, v2
	s_delay_alu instid0(VALU_DEP_2) | instskip(SKIP_2) | instid1(VALU_DEP_1)
	v_rcp_iflag_f32_e32 v3, v3
	s_waitcnt_depctr 0xfff
	v_mul_f32_e32 v3, 0x4f7ffffe, v3
	v_cvt_u32_f32_e32 v3, v3
	s_delay_alu instid0(VALU_DEP_1) | instskip(NEXT) | instid1(VALU_DEP_1)
	v_mul_lo_u32 v5, s26, v3
	v_mul_hi_u32 v5, v3, v5
	s_delay_alu instid0(VALU_DEP_1) | instskip(NEXT) | instid1(VALU_DEP_1)
	v_add_nc_u32_e32 v3, v3, v5
	v_mul_hi_u32 v3, v14, v3
	s_delay_alu instid0(VALU_DEP_1) | instskip(SKIP_1) | instid1(VALU_DEP_2)
	v_mul_lo_u32 v5, v3, s51
	v_add_nc_u32_e32 v7, 1, v3
	v_sub_nc_u32_e32 v5, v14, v5
	s_delay_alu instid0(VALU_DEP_1) | instskip(SKIP_1) | instid1(VALU_DEP_4)
	v_cmp_le_u32_e32 vcc_lo, s51, v5
	v_subrev_nc_u32_e32 v9, s51, v5
	v_cndmask_b32_e32 v3, v3, v7, vcc_lo
	s_delay_alu instid0(VALU_DEP_1) | instskip(NEXT) | instid1(VALU_DEP_3)
	v_add_nc_u32_e32 v7, 1, v3
	v_cndmask_b32_e32 v5, v5, v9, vcc_lo
	s_delay_alu instid0(VALU_DEP_1) | instskip(NEXT) | instid1(VALU_DEP_3)
	v_cmp_le_u32_e32 vcc_lo, s51, v5
	v_cndmask_b32_e32 v16, v3, v7, vcc_lo
.LBB41_38:                              ;   in Loop: Header=BB41_22 Depth=2
	s_or_b32 exec_lo, exec_lo, s0
	s_add_u32 s24, s36, s24
	s_addc_u32 s25, s37, s25
	v_mul_lo_u32 v3, v10, s13
	s_clause 0x1
	s_load_b32 s0, s[22:23], 0x6c
	s_load_b32 s13, s[24:25], 0x0
	v_mul_lo_u32 v5, v12, s45
	v_mul_lo_u32 v7, v14, s48
	;; [unrolled: 1-line block ×3, first 2 shown]
	s_add_i32 s16, s16, -4
	s_delay_alu instid0(SALU_CYCLE_1) | instskip(SKIP_1) | instid1(VALU_DEP_4)
	s_cmp_eq_u32 s16, -1
	v_sub_nc_u32_e32 v3, v8, v3
	v_sub_nc_u32_e32 v5, v10, v5
	s_delay_alu instid0(VALU_DEP_4) | instskip(NEXT) | instid1(VALU_DEP_4)
	v_sub_nc_u32_e32 v7, v12, v7
	v_sub_nc_u32_e32 v8, v14, v9
	s_delay_alu instid0(VALU_DEP_4)
	v_mul_lo_u32 v9, s43, v3
	v_mul_lo_u32 v3, s44, v3
	;; [unrolled: 1-line block ×6, first 2 shown]
	s_waitcnt lgkmcnt(0)
	v_mul_lo_u32 v12, s0, v8
	v_mul_lo_u32 v8, s13, v8
	v_add3_u32 v6, v9, v6, v10
	v_add3_u32 v3, v3, v4, v5
	s_delay_alu instid0(VALU_DEP_2) | instskip(NEXT) | instid1(VALU_DEP_2)
	v_add3_u32 v6, v11, v6, v12
	v_add3_u32 v4, v7, v3, v8
	s_cbranch_scc1 .LBB41_40
; %bb.39:                               ;   in Loop: Header=BB41_22 Depth=2
	v_dual_mov_b32 v8, v16 :: v_dual_mov_b32 v9, v17
	s_branch .LBB41_22
.LBB41_40:                              ;   in Loop: Header=BB41_3 Depth=1
	v_sub_nc_u32_e32 v8, v19, v20
	v_dual_mov_b32 v11, 0 :: v_dual_mov_b32 v10, 0
	v_mov_b32_e32 v3, 0
	v_mov_b32_e32 v7, 0
	s_delay_alu instid0(VALU_DEP_4) | instskip(SKIP_1) | instid1(VALU_DEP_1)
	v_ashrrev_i32_e32 v9, 31, v8
	s_mov_b32 s0, exec_lo
	v_cmpx_ge_i64_e64 s[4:5], v[8:9]
	s_cbranch_execz .LBB41_50
; %bb.41:                               ;   in Loop: Header=BB41_3 Depth=1
	v_dual_mov_b32 v13, 0 :: v_dual_mov_b32 v12, 0
	v_mov_b32_e32 v7, 0
	v_mov_b32_e32 v3, 0
	s_mov_b32 s13, exec_lo
	v_cmpx_gt_i32_e64 s9, v19
	s_cbranch_execz .LBB41_49
; %bb.42:                               ;   in Loop: Header=BB41_3 Depth=1
	v_ashrrev_i32_e32 v7, 31, v6
	v_dual_mov_b32 v12, 0 :: v_dual_add_nc_u32 v5, 1, v19
	v_mov_b32_e32 v13, 0
	s_mov_b32 s16, exec_lo
	s_delay_alu instid0(VALU_DEP_3) | instskip(SKIP_1) | instid1(VALU_DEP_2)
	v_lshlrev_b64 v[10:11], 1, v[6:7]
	v_mov_b32_e32 v7, 0
	v_add_co_u32 v10, vcc_lo, s2, v10
	s_delay_alu instid0(VALU_DEP_3)
	v_add_co_ci_u32_e32 v11, vcc_lo, s3, v11, vcc_lo
	global_load_u16 v3, v[10:11], off
	v_cmpx_gt_i32_e64 s9, v5
	s_xor_b32 s16, exec_lo, s16
	s_cbranch_execz .LBB41_48
; %bb.43:                               ;   in Loop: Header=BB41_3 Depth=1
	s_lshl_b64 s[22:23], s[18:19], 1
	v_dual_mov_b32 v12, 0 :: v_dual_add_nc_u32 v5, 2, v19
	v_add_co_u32 v10, vcc_lo, v10, s22
	v_add_co_ci_u32_e32 v11, vcc_lo, s23, v11, vcc_lo
	v_mov_b32_e32 v13, 0
	s_mov_b32 s22, exec_lo
	global_load_u16 v7, v[10:11], off
	v_cmpx_gt_i32_e64 s9, v5
	s_xor_b32 s22, exec_lo, s22
	s_cbranch_execz .LBB41_47
; %bb.44:                               ;   in Loop: Header=BB41_3 Depth=1
	v_add3_u32 v5, s18, s18, v6
	s_mov_b32 s23, exec_lo
	v_mov_b32_e32 v13, 0
	s_delay_alu instid0(VALU_DEP_2) | instskip(NEXT) | instid1(VALU_DEP_1)
	v_ashrrev_i32_e32 v6, 31, v5
	v_lshlrev_b64 v[10:11], 1, v[5:6]
	v_add_nc_u32_e32 v6, 3, v19
	s_delay_alu instid0(VALU_DEP_2) | instskip(NEXT) | instid1(VALU_DEP_3)
	v_add_co_u32 v10, vcc_lo, s2, v10
	v_add_co_ci_u32_e32 v11, vcc_lo, s3, v11, vcc_lo
	global_load_u16 v12, v[10:11], off
	v_cmpx_gt_i32_e64 s9, v6
	s_xor_b32 s23, exec_lo, s23
	s_cbranch_execz .LBB41_46
; %bb.45:                               ;   in Loop: Header=BB41_3 Depth=1
	v_add_nc_u32_e32 v5, s18, v5
	s_delay_alu instid0(VALU_DEP_1) | instskip(NEXT) | instid1(VALU_DEP_1)
	v_ashrrev_i32_e32 v6, 31, v5
	v_lshlrev_b64 v[5:6], 1, v[5:6]
	s_delay_alu instid0(VALU_DEP_1) | instskip(NEXT) | instid1(VALU_DEP_2)
	v_add_co_u32 v5, vcc_lo, s2, v5
	v_add_co_ci_u32_e32 v6, vcc_lo, s3, v6, vcc_lo
	global_load_u16 v13, v[5:6], off
.LBB41_46:                              ;   in Loop: Header=BB41_3 Depth=1
	s_or_b32 exec_lo, exec_lo, s23
.LBB41_47:                              ;   in Loop: Header=BB41_3 Depth=1
	s_delay_alu instid0(SALU_CYCLE_1)
	s_or_b32 exec_lo, exec_lo, s22
.LBB41_48:                              ;   in Loop: Header=BB41_3 Depth=1
	s_delay_alu instid0(SALU_CYCLE_1)
	s_or_b32 exec_lo, exec_lo, s16
.LBB41_49:                              ;   in Loop: Header=BB41_3 Depth=1
	s_delay_alu instid0(SALU_CYCLE_1) | instskip(SKIP_3) | instid1(VALU_DEP_3)
	s_or_b32 exec_lo, exec_lo, s13
	v_add_nc_u32_e32 v5, 1, v8
	v_cmp_ge_i64_e32 vcc_lo, s[4:5], v[8:9]
	v_add_nc_u32_e32 v14, 2, v8
	v_ashrrev_i32_e32 v6, 31, v5
	s_waitcnt vmcnt(0)
	v_cndmask_b32_e32 v11, 0, v3, vcc_lo
	s_delay_alu instid0(VALU_DEP_3) | instskip(NEXT) | instid1(VALU_DEP_3)
	v_ashrrev_i32_e32 v15, 31, v14
	v_cmp_ge_i64_e32 vcc_lo, s[4:5], v[5:6]
	v_dual_cndmask_b32 v3, 0, v7 :: v_dual_add_nc_u32 v16, 3, v8
	s_delay_alu instid0(VALU_DEP_3) | instskip(NEXT) | instid1(VALU_DEP_2)
	v_cmp_ge_i64_e32 vcc_lo, s[4:5], v[14:15]
	v_ashrrev_i32_e32 v17, 31, v16
	v_cndmask_b32_e32 v10, 0, v12, vcc_lo
	s_delay_alu instid0(VALU_DEP_2)
	v_cmp_ge_i64_e32 vcc_lo, s[4:5], v[16:17]
	v_cndmask_b32_e32 v7, 0, v13, vcc_lo
.LBB41_50:                              ;   in Loop: Header=BB41_3 Depth=1
	s_or_b32 exec_lo, exec_lo, s0
	s_delay_alu instid0(SALU_CYCLE_1)
	s_mov_b32 s0, exec_lo
	v_cmpx_gt_i32_e64 s9, v19
	s_cbranch_execz .LBB41_2
; %bb.51:                               ;   in Loop: Header=BB41_3 Depth=1
	v_ashrrev_i32_e32 v5, 31, v4
	v_add_nc_u32_e32 v8, 1, v19
	s_mov_b32 s13, exec_lo
	s_delay_alu instid0(VALU_DEP_2) | instskip(NEXT) | instid1(VALU_DEP_1)
	v_lshlrev_b64 v[5:6], 1, v[4:5]
	v_add_co_u32 v5, vcc_lo, s14, v5
	s_delay_alu instid0(VALU_DEP_2)
	v_add_co_ci_u32_e32 v6, vcc_lo, s15, v6, vcc_lo
	global_store_b16 v[5:6], v11, off
	v_cmpx_gt_i32_e64 s9, v8
	s_xor_b32 s13, exec_lo, s13
	s_cbranch_execz .LBB41_2
; %bb.52:                               ;   in Loop: Header=BB41_3 Depth=1
	s_lshl_b64 s[22:23], s[20:21], 1
	v_add_nc_u32_e32 v8, 2, v19
	v_add_co_u32 v5, vcc_lo, v5, s22
	v_add_co_ci_u32_e32 v6, vcc_lo, s23, v6, vcc_lo
	s_mov_b32 s13, exec_lo
	global_store_b16 v[5:6], v3, off
	v_cmpx_gt_i32_e64 s9, v8
	s_xor_b32 s13, exec_lo, s13
	s_cbranch_execz .LBB41_2
; %bb.53:                               ;   in Loop: Header=BB41_3 Depth=1
	v_add3_u32 v3, s20, s20, v4
	v_add_nc_u32_e32 v6, 3, v19
	s_mov_b32 s13, exec_lo
	s_delay_alu instid0(VALU_DEP_2) | instskip(NEXT) | instid1(VALU_DEP_1)
	v_ashrrev_i32_e32 v4, 31, v3
	v_lshlrev_b64 v[4:5], 1, v[3:4]
	s_delay_alu instid0(VALU_DEP_1) | instskip(NEXT) | instid1(VALU_DEP_2)
	v_add_co_u32 v4, vcc_lo, s14, v4
	v_add_co_ci_u32_e32 v5, vcc_lo, s15, v5, vcc_lo
	global_store_b16 v[4:5], v10, off
	v_cmpx_gt_i32_e64 s9, v6
	s_xor_b32 s13, exec_lo, s13
	s_cbranch_execz .LBB41_2
; %bb.54:                               ;   in Loop: Header=BB41_3 Depth=1
	v_add_nc_u32_e32 v3, s20, v3
	s_delay_alu instid0(VALU_DEP_1) | instskip(NEXT) | instid1(VALU_DEP_1)
	v_ashrrev_i32_e32 v4, 31, v3
	v_lshlrev_b64 v[3:4], 1, v[3:4]
	s_delay_alu instid0(VALU_DEP_1) | instskip(NEXT) | instid1(VALU_DEP_2)
	v_add_co_u32 v3, vcc_lo, s14, v3
	v_add_co_ci_u32_e32 v4, vcc_lo, s15, v4, vcc_lo
	global_store_b16 v[3:4], v7, off
	s_branch .LBB41_2
.LBB41_55:
	s_nop 0
	s_sendmsg sendmsg(MSG_DEALLOC_VGPRS)
	s_endpgm
	.section	.rodata,"a",@progbits
	.p2align	6, 0x0
	.amdhsa_kernel _ZN2at6native16triu_tril_kernelIN3c104HalfEiLb0ELi4ELb0EEEvNS_4cuda6detail10TensorInfoIT_T0_EENS6_IKS7_S8_EEllS8_
		.amdhsa_group_segment_fixed_size 0
		.amdhsa_private_segment_fixed_size 0
		.amdhsa_kernarg_size 712
		.amdhsa_user_sgpr_count 15
		.amdhsa_user_sgpr_dispatch_ptr 0
		.amdhsa_user_sgpr_queue_ptr 0
		.amdhsa_user_sgpr_kernarg_segment_ptr 1
		.amdhsa_user_sgpr_dispatch_id 0
		.amdhsa_user_sgpr_private_segment_size 0
		.amdhsa_wavefront_size32 1
		.amdhsa_uses_dynamic_stack 0
		.amdhsa_enable_private_segment 0
		.amdhsa_system_sgpr_workgroup_id_x 1
		.amdhsa_system_sgpr_workgroup_id_y 0
		.amdhsa_system_sgpr_workgroup_id_z 0
		.amdhsa_system_sgpr_workgroup_info 0
		.amdhsa_system_vgpr_workitem_id 0
		.amdhsa_next_free_vgpr 25
		.amdhsa_next_free_sgpr 54
		.amdhsa_reserve_vcc 1
		.amdhsa_float_round_mode_32 0
		.amdhsa_float_round_mode_16_64 0
		.amdhsa_float_denorm_mode_32 3
		.amdhsa_float_denorm_mode_16_64 3
		.amdhsa_dx10_clamp 1
		.amdhsa_ieee_mode 1
		.amdhsa_fp16_overflow 0
		.amdhsa_workgroup_processor_mode 1
		.amdhsa_memory_ordered 1
		.amdhsa_forward_progress 0
		.amdhsa_shared_vgpr_count 0
		.amdhsa_exception_fp_ieee_invalid_op 0
		.amdhsa_exception_fp_denorm_src 0
		.amdhsa_exception_fp_ieee_div_zero 0
		.amdhsa_exception_fp_ieee_overflow 0
		.amdhsa_exception_fp_ieee_underflow 0
		.amdhsa_exception_fp_ieee_inexact 0
		.amdhsa_exception_int_div_zero 0
	.end_amdhsa_kernel
	.section	.text._ZN2at6native16triu_tril_kernelIN3c104HalfEiLb0ELi4ELb0EEEvNS_4cuda6detail10TensorInfoIT_T0_EENS6_IKS7_S8_EEllS8_,"axG",@progbits,_ZN2at6native16triu_tril_kernelIN3c104HalfEiLb0ELi4ELb0EEEvNS_4cuda6detail10TensorInfoIT_T0_EENS6_IKS7_S8_EEllS8_,comdat
.Lfunc_end41:
	.size	_ZN2at6native16triu_tril_kernelIN3c104HalfEiLb0ELi4ELb0EEEvNS_4cuda6detail10TensorInfoIT_T0_EENS6_IKS7_S8_EEllS8_, .Lfunc_end41-_ZN2at6native16triu_tril_kernelIN3c104HalfEiLb0ELi4ELb0EEEvNS_4cuda6detail10TensorInfoIT_T0_EENS6_IKS7_S8_EEllS8_
                                        ; -- End function
	.section	.AMDGPU.csdata,"",@progbits
; Kernel info:
; codeLenInByte = 8704
; NumSgprs: 56
; NumVgprs: 25
; ScratchSize: 0
; MemoryBound: 0
; FloatMode: 240
; IeeeMode: 1
; LDSByteSize: 0 bytes/workgroup (compile time only)
; SGPRBlocks: 6
; VGPRBlocks: 3
; NumSGPRsForWavesPerEU: 56
; NumVGPRsForWavesPerEU: 25
; Occupancy: 16
; WaveLimiterHint : 0
; COMPUTE_PGM_RSRC2:SCRATCH_EN: 0
; COMPUTE_PGM_RSRC2:USER_SGPR: 15
; COMPUTE_PGM_RSRC2:TRAP_HANDLER: 0
; COMPUTE_PGM_RSRC2:TGID_X_EN: 1
; COMPUTE_PGM_RSRC2:TGID_Y_EN: 0
; COMPUTE_PGM_RSRC2:TGID_Z_EN: 0
; COMPUTE_PGM_RSRC2:TIDIG_COMP_CNT: 0
	.section	.text._ZN2at6native16triu_tril_kernelIN3c104HalfElLb0ELi4ELb1EEEvNS_4cuda6detail10TensorInfoIT_T0_EENS6_IKS7_S8_EEllS8_,"axG",@progbits,_ZN2at6native16triu_tril_kernelIN3c104HalfElLb0ELi4ELb1EEEvNS_4cuda6detail10TensorInfoIT_T0_EENS6_IKS7_S8_EEllS8_,comdat
	.protected	_ZN2at6native16triu_tril_kernelIN3c104HalfElLb0ELi4ELb1EEEvNS_4cuda6detail10TensorInfoIT_T0_EENS6_IKS7_S8_EEllS8_ ; -- Begin function _ZN2at6native16triu_tril_kernelIN3c104HalfElLb0ELi4ELb1EEEvNS_4cuda6detail10TensorInfoIT_T0_EENS6_IKS7_S8_EEllS8_
	.globl	_ZN2at6native16triu_tril_kernelIN3c104HalfElLb0ELi4ELb1EEEvNS_4cuda6detail10TensorInfoIT_T0_EENS6_IKS7_S8_EEllS8_
	.p2align	8
	.type	_ZN2at6native16triu_tril_kernelIN3c104HalfElLb0ELi4ELb1EEEvNS_4cuda6detail10TensorInfoIT_T0_EENS6_IKS7_S8_EEllS8_,@function
_ZN2at6native16triu_tril_kernelIN3c104HalfElLb0ELi4ELb1EEEvNS_4cuda6detail10TensorInfoIT_T0_EENS6_IKS7_S8_EEllS8_: ; @_ZN2at6native16triu_tril_kernelIN3c104HalfElLb0ELi4ELb1EEEvNS_4cuda6detail10TensorInfoIT_T0_EENS6_IKS7_S8_EEllS8_
; %bb.0:
	s_clause 0x1
	s_load_b32 s2, s[0:1], 0x364
	s_load_b128 s[4:7], s[0:1], 0x340
	v_mov_b32_e32 v2, 0
	s_add_u32 s8, s0, 0x358
	s_addc_u32 s9, s1, 0
	s_delay_alu instid0(VALU_DEP_1) | instskip(SKIP_3) | instid1(VALU_DEP_1)
	v_mov_b32_e32 v1, v2
	s_waitcnt lgkmcnt(0)
	s_and_b32 s10, s2, 0xffff
	s_mov_b32 s2, exec_lo
	v_mad_u64_u32 v[3:4], null, s10, s15, v[0:1]
	s_delay_alu instid0(VALU_DEP_1) | instskip(NEXT) | instid1(VALU_DEP_1)
	v_lshlrev_b64 v[0:1], 2, v[3:4]
	v_cmpx_gt_i64_e64 s[6:7], v[0:1]
	s_cbranch_execz .LBB42_29
; %bb.1:
	s_clause 0x1
	s_load_b32 s24, s[0:1], 0x338
	s_load_b64 s[2:3], s[0:1], 0x350
	s_load_b32 s11, s[8:9], 0x0
	s_load_b64 s[8:9], s[0:1], 0x0
	s_mov_b32 s44, 0
	s_waitcnt lgkmcnt(0)
	s_ashr_i32 s25, s24, 31
	s_add_u32 s26, s0, 0x1a8
	s_addc_u32 s27, s1, 0
	s_lshl_b64 s[12:13], s[24:25], 3
	v_cvt_f32_u32_e32 v3, s2
	s_add_u32 s14, s12, -16
	s_addc_u32 s15, s13, -1
	s_add_u32 s22, s26, s14
	s_addc_u32 s23, s27, s15
	v_rcp_iflag_f32_e32 v3, v3
	s_add_u32 s17, s12, -8
	s_addc_u32 s18, s13, -1
	s_add_u32 s0, s0, 0xd0
	s_addc_u32 s28, s1, 0
	s_mul_i32 s16, s11, s10
	s_add_u32 s10, s0, s17
	s_addc_u32 s11, s28, s18
	s_add_u32 s12, s0, s14
	s_addc_u32 s13, s28, s15
	s_add_i32 s20, s24, -3
	s_waitcnt_depctr 0xfff
	v_mul_f32_e32 v3, 0x4f7ffffe, v3
	s_ashr_i32 s21, s20, 31
	s_add_u32 s14, s26, s17
	s_addc_u32 s15, s27, s18
	s_lshl_b64 s[18:19], s[20:21], 3
	s_lshl_b32 s1, s16, 2
	s_add_u32 s16, s0, s18
	s_addc_u32 s17, s28, s19
	v_cvt_u32_f32_e32 v3, v3
	s_add_u32 s18, s26, s18
	s_addc_u32 s19, s27, s19
	s_add_u32 s20, s20, 1
	s_addc_u32 s21, s21, 0
	s_sub_i32 s0, 0, s2
	s_load_b64 s[22:23], s[22:23], 0x0
	v_mul_lo_u32 v4, s0, v3
	v_cmp_gt_i64_e64 s33, s[24:25], 2
	s_ashr_i32 s24, s3, 31
	s_delay_alu instid0(VALU_DEP_2) | instskip(NEXT) | instid1(VALU_DEP_1)
	v_mul_hi_u32 v4, v3, v4
	v_add_nc_u32_e32 v16, v3, v4
	s_waitcnt lgkmcnt(0)
	s_ashr_i32 s26, s23, 31
	s_branch .LBB42_3
.LBB42_2:                               ;   in Loop: Header=BB42_3 Depth=1
	s_or_b32 exec_lo, exec_lo, s25
	v_add_co_u32 v0, vcc_lo, v0, s1
	v_add_co_ci_u32_e32 v1, vcc_lo, 0, v1, vcc_lo
	s_delay_alu instid0(VALU_DEP_1) | instskip(SKIP_1) | instid1(SALU_CYCLE_1)
	v_cmp_le_i64_e32 vcc_lo, s[6:7], v[0:1]
	s_or_b32 s44, vcc_lo, s44
	s_and_not1_b32 exec_lo, exec_lo, s44
	s_cbranch_execz .LBB42_29
.LBB42_3:                               ; =>This Loop Header: Depth=1
                                        ;     Child Loop BB42_25 Depth 2
	v_or_b32_e32 v3, s3, v1
                                        ; implicit-def: $vgpr6_vgpr7
	s_mov_b32 s0, exec_lo
	s_delay_alu instid0(VALU_DEP_1)
	v_cmpx_ne_u64_e32 0, v[2:3]
	s_xor_b32 s27, exec_lo, s0
	s_cbranch_execz .LBB42_5
; %bb.4:                                ;   in Loop: Header=BB42_3 Depth=1
	s_add_u32 s28, s2, s24
	s_mov_b32 s25, s24
	s_addc_u32 s29, s3, s24
	s_delay_alu instid0(SALU_CYCLE_1) | instskip(NEXT) | instid1(SALU_CYCLE_1)
	s_xor_b64 s[28:29], s[28:29], s[24:25]
	v_cvt_f32_u32_e32 v3, s28
	v_cvt_f32_u32_e32 v4, s29
	s_sub_u32 s0, 0, s28
	s_subb_u32 s25, 0, s29
	s_delay_alu instid0(VALU_DEP_1) | instskip(NEXT) | instid1(VALU_DEP_1)
	v_fmac_f32_e32 v3, 0x4f800000, v4
	v_rcp_f32_e32 v3, v3
	s_waitcnt_depctr 0xfff
	v_mul_f32_e32 v3, 0x5f7ffffc, v3
	s_delay_alu instid0(VALU_DEP_1) | instskip(NEXT) | instid1(VALU_DEP_1)
	v_mul_f32_e32 v4, 0x2f800000, v3
	v_trunc_f32_e32 v4, v4
	s_delay_alu instid0(VALU_DEP_1) | instskip(SKIP_1) | instid1(VALU_DEP_2)
	v_fmac_f32_e32 v3, 0xcf800000, v4
	v_cvt_u32_f32_e32 v4, v4
	v_cvt_u32_f32_e32 v3, v3
	s_delay_alu instid0(VALU_DEP_2) | instskip(NEXT) | instid1(VALU_DEP_2)
	v_mul_lo_u32 v5, s0, v4
	v_mul_hi_u32 v6, s0, v3
	v_mul_lo_u32 v7, s25, v3
	s_delay_alu instid0(VALU_DEP_2) | instskip(SKIP_1) | instid1(VALU_DEP_2)
	v_add_nc_u32_e32 v5, v6, v5
	v_mul_lo_u32 v6, s0, v3
	v_add_nc_u32_e32 v5, v5, v7
	s_delay_alu instid0(VALU_DEP_2) | instskip(NEXT) | instid1(VALU_DEP_2)
	v_mul_hi_u32 v7, v3, v6
	v_mul_lo_u32 v8, v3, v5
	v_mul_hi_u32 v9, v3, v5
	v_mul_hi_u32 v10, v4, v6
	v_mul_lo_u32 v6, v4, v6
	v_mul_hi_u32 v11, v4, v5
	v_mul_lo_u32 v5, v4, v5
	v_add_co_u32 v7, vcc_lo, v7, v8
	v_add_co_ci_u32_e32 v8, vcc_lo, 0, v9, vcc_lo
	s_delay_alu instid0(VALU_DEP_2) | instskip(NEXT) | instid1(VALU_DEP_2)
	v_add_co_u32 v6, vcc_lo, v7, v6
	v_add_co_ci_u32_e32 v6, vcc_lo, v8, v10, vcc_lo
	v_add_co_ci_u32_e32 v7, vcc_lo, 0, v11, vcc_lo
	v_ashrrev_i32_e32 v10, 31, v1
	s_delay_alu instid0(VALU_DEP_3) | instskip(NEXT) | instid1(VALU_DEP_3)
	v_add_co_u32 v5, vcc_lo, v6, v5
	v_add_co_ci_u32_e32 v6, vcc_lo, 0, v7, vcc_lo
	s_delay_alu instid0(VALU_DEP_2) | instskip(NEXT) | instid1(VALU_DEP_2)
	v_add_co_u32 v3, vcc_lo, v3, v5
	v_add_co_ci_u32_e32 v4, vcc_lo, v4, v6, vcc_lo
	s_delay_alu instid0(VALU_DEP_2) | instskip(SKIP_1) | instid1(VALU_DEP_3)
	v_mul_hi_u32 v5, s0, v3
	v_mul_lo_u32 v7, s25, v3
	v_mul_lo_u32 v6, s0, v4
	s_delay_alu instid0(VALU_DEP_1) | instskip(SKIP_1) | instid1(VALU_DEP_2)
	v_add_nc_u32_e32 v5, v5, v6
	v_mul_lo_u32 v6, s0, v3
	v_add_nc_u32_e32 v5, v5, v7
	s_delay_alu instid0(VALU_DEP_2) | instskip(NEXT) | instid1(VALU_DEP_2)
	v_mul_hi_u32 v7, v3, v6
	v_mul_lo_u32 v8, v3, v5
	v_mul_hi_u32 v9, v3, v5
	v_mul_hi_u32 v11, v4, v6
	v_mul_lo_u32 v6, v4, v6
	v_mul_hi_u32 v12, v4, v5
	v_mul_lo_u32 v5, v4, v5
	v_add_co_u32 v7, vcc_lo, v7, v8
	v_add_co_ci_u32_e32 v8, vcc_lo, 0, v9, vcc_lo
	s_delay_alu instid0(VALU_DEP_2) | instskip(NEXT) | instid1(VALU_DEP_2)
	v_add_co_u32 v6, vcc_lo, v7, v6
	v_add_co_ci_u32_e32 v6, vcc_lo, v8, v11, vcc_lo
	v_add_co_ci_u32_e32 v7, vcc_lo, 0, v12, vcc_lo
	v_add_co_u32 v8, vcc_lo, v0, v10
	v_add_co_ci_u32_e32 v9, vcc_lo, v1, v10, vcc_lo
	s_delay_alu instid0(VALU_DEP_4) | instskip(NEXT) | instid1(VALU_DEP_4)
	v_add_co_u32 v5, vcc_lo, v6, v5
	v_add_co_ci_u32_e32 v6, vcc_lo, 0, v7, vcc_lo
	s_delay_alu instid0(VALU_DEP_4) | instskip(NEXT) | instid1(VALU_DEP_3)
	v_xor_b32_e32 v11, v8, v10
	v_add_co_u32 v7, vcc_lo, v3, v5
	s_delay_alu instid0(VALU_DEP_3) | instskip(SKIP_1) | instid1(VALU_DEP_3)
	v_add_co_ci_u32_e32 v12, vcc_lo, v4, v6, vcc_lo
	v_xor_b32_e32 v9, v9, v10
	v_mul_hi_u32 v13, v11, v7
	s_delay_alu instid0(VALU_DEP_3) | instskip(NEXT) | instid1(VALU_DEP_3)
	v_mad_u64_u32 v[3:4], null, v11, v12, 0
	v_mad_u64_u32 v[5:6], null, v9, v7, 0
	v_mad_u64_u32 v[7:8], null, v9, v12, 0
	s_delay_alu instid0(VALU_DEP_3) | instskip(NEXT) | instid1(VALU_DEP_4)
	v_add_co_u32 v3, vcc_lo, v13, v3
	v_add_co_ci_u32_e32 v4, vcc_lo, 0, v4, vcc_lo
	s_delay_alu instid0(VALU_DEP_2) | instskip(NEXT) | instid1(VALU_DEP_2)
	v_add_co_u32 v3, vcc_lo, v3, v5
	v_add_co_ci_u32_e32 v3, vcc_lo, v4, v6, vcc_lo
	v_add_co_ci_u32_e32 v4, vcc_lo, 0, v8, vcc_lo
	s_delay_alu instid0(VALU_DEP_2) | instskip(NEXT) | instid1(VALU_DEP_2)
	v_add_co_u32 v5, vcc_lo, v3, v7
	v_add_co_ci_u32_e32 v6, vcc_lo, 0, v4, vcc_lo
	s_delay_alu instid0(VALU_DEP_2) | instskip(SKIP_1) | instid1(VALU_DEP_3)
	v_mul_lo_u32 v7, s29, v5
	v_mad_u64_u32 v[3:4], null, s28, v5, 0
	v_mul_lo_u32 v8, s28, v6
	s_delay_alu instid0(VALU_DEP_2) | instskip(NEXT) | instid1(VALU_DEP_2)
	v_sub_co_u32 v3, vcc_lo, v11, v3
	v_add3_u32 v4, v4, v8, v7
	s_delay_alu instid0(VALU_DEP_1) | instskip(NEXT) | instid1(VALU_DEP_1)
	v_sub_nc_u32_e32 v7, v9, v4
	v_subrev_co_ci_u32_e64 v7, s0, s29, v7, vcc_lo
	v_add_co_u32 v8, s0, v5, 2
	s_delay_alu instid0(VALU_DEP_1) | instskip(SKIP_3) | instid1(VALU_DEP_3)
	v_add_co_ci_u32_e64 v11, s0, 0, v6, s0
	v_sub_co_u32 v12, s0, v3, s28
	v_sub_co_ci_u32_e32 v4, vcc_lo, v9, v4, vcc_lo
	v_subrev_co_ci_u32_e64 v7, s0, 0, v7, s0
	v_cmp_le_u32_e32 vcc_lo, s28, v12
	s_delay_alu instid0(VALU_DEP_3) | instskip(SKIP_1) | instid1(VALU_DEP_4)
	v_cmp_eq_u32_e64 s0, s29, v4
	v_cndmask_b32_e64 v9, 0, -1, vcc_lo
	v_cmp_le_u32_e32 vcc_lo, s29, v7
	v_cndmask_b32_e64 v12, 0, -1, vcc_lo
	v_cmp_le_u32_e32 vcc_lo, s28, v3
	;; [unrolled: 2-line block ×3, first 2 shown]
	v_cndmask_b32_e64 v13, 0, -1, vcc_lo
	v_cmp_eq_u32_e32 vcc_lo, s29, v7
	s_delay_alu instid0(VALU_DEP_2) | instskip(SKIP_3) | instid1(VALU_DEP_3)
	v_cndmask_b32_e64 v3, v13, v3, s0
	v_cndmask_b32_e32 v7, v12, v9, vcc_lo
	v_add_co_u32 v9, vcc_lo, v5, 1
	v_add_co_ci_u32_e32 v12, vcc_lo, 0, v6, vcc_lo
	v_cmp_ne_u32_e32 vcc_lo, 0, v7
	s_delay_alu instid0(VALU_DEP_2) | instskip(SKIP_2) | instid1(VALU_DEP_3)
	v_dual_cndmask_b32 v4, v12, v11 :: v_dual_cndmask_b32 v7, v9, v8
	v_cmp_ne_u32_e32 vcc_lo, 0, v3
	v_xor_b32_e32 v3, s24, v10
	v_dual_cndmask_b32 v5, v5, v7 :: v_dual_cndmask_b32 v4, v6, v4
	s_delay_alu instid0(VALU_DEP_1) | instskip(NEXT) | instid1(VALU_DEP_2)
	v_xor_b32_e32 v5, v5, v3
	v_xor_b32_e32 v4, v4, v3
	s_delay_alu instid0(VALU_DEP_2) | instskip(NEXT) | instid1(VALU_DEP_2)
	v_sub_co_u32 v6, vcc_lo, v5, v3
	v_sub_co_ci_u32_e32 v7, vcc_lo, v4, v3, vcc_lo
.LBB42_5:                               ;   in Loop: Header=BB42_3 Depth=1
	s_and_not1_saveexec_b32 s0, s27
; %bb.6:                                ;   in Loop: Header=BB42_3 Depth=1
	v_mul_hi_u32 v3, v0, v16
	v_mov_b32_e32 v7, v2
	s_delay_alu instid0(VALU_DEP_2) | instskip(NEXT) | instid1(VALU_DEP_1)
	v_mul_lo_u32 v4, v3, s2
	v_sub_nc_u32_e32 v4, v0, v4
	s_delay_alu instid0(VALU_DEP_1) | instskip(SKIP_1) | instid1(VALU_DEP_2)
	v_subrev_nc_u32_e32 v6, s2, v4
	v_cmp_le_u32_e32 vcc_lo, s2, v4
	v_dual_cndmask_b32 v4, v4, v6 :: v_dual_add_nc_u32 v5, 1, v3
	s_delay_alu instid0(VALU_DEP_1) | instskip(NEXT) | instid1(VALU_DEP_2)
	v_cndmask_b32_e32 v3, v3, v5, vcc_lo
	v_cmp_le_u32_e32 vcc_lo, s2, v4
	s_delay_alu instid0(VALU_DEP_2) | instskip(NEXT) | instid1(VALU_DEP_1)
	v_add_nc_u32_e32 v5, 1, v3
	v_cndmask_b32_e32 v6, v3, v5, vcc_lo
; %bb.7:                                ;   in Loop: Header=BB42_3 Depth=1
	s_or_b32 exec_lo, exec_lo, s0
	v_or_b32_e32 v3, s23, v7
                                        ; implicit-def: $vgpr8_vgpr9
	s_mov_b32 s0, exec_lo
	s_delay_alu instid0(VALU_DEP_1)
	v_cmpx_ne_u64_e32 0, v[2:3]
	s_xor_b32 s25, exec_lo, s0
	s_cbranch_execz .LBB42_9
; %bb.8:                                ;   in Loop: Header=BB42_3 Depth=1
	s_add_u32 s28, s22, s26
	s_mov_b32 s27, s26
	s_addc_u32 s29, s23, s26
	s_delay_alu instid0(SALU_CYCLE_1) | instskip(NEXT) | instid1(SALU_CYCLE_1)
	s_xor_b64 s[28:29], s[28:29], s[26:27]
	v_cvt_f32_u32_e32 v3, s28
	v_cvt_f32_u32_e32 v4, s29
	s_sub_u32 s0, 0, s28
	s_subb_u32 s27, 0, s29
	s_delay_alu instid0(VALU_DEP_1) | instskip(NEXT) | instid1(VALU_DEP_1)
	v_fmac_f32_e32 v3, 0x4f800000, v4
	v_rcp_f32_e32 v3, v3
	s_waitcnt_depctr 0xfff
	v_mul_f32_e32 v3, 0x5f7ffffc, v3
	s_delay_alu instid0(VALU_DEP_1) | instskip(NEXT) | instid1(VALU_DEP_1)
	v_mul_f32_e32 v4, 0x2f800000, v3
	v_trunc_f32_e32 v4, v4
	s_delay_alu instid0(VALU_DEP_1) | instskip(SKIP_1) | instid1(VALU_DEP_2)
	v_fmac_f32_e32 v3, 0xcf800000, v4
	v_cvt_u32_f32_e32 v4, v4
	v_cvt_u32_f32_e32 v3, v3
	s_delay_alu instid0(VALU_DEP_2) | instskip(NEXT) | instid1(VALU_DEP_2)
	v_mul_lo_u32 v5, s0, v4
	v_mul_hi_u32 v8, s0, v3
	v_mul_lo_u32 v9, s27, v3
	s_delay_alu instid0(VALU_DEP_2) | instskip(SKIP_1) | instid1(VALU_DEP_2)
	v_add_nc_u32_e32 v5, v8, v5
	v_mul_lo_u32 v8, s0, v3
	v_add_nc_u32_e32 v5, v5, v9
	s_delay_alu instid0(VALU_DEP_2) | instskip(NEXT) | instid1(VALU_DEP_2)
	v_mul_hi_u32 v9, v3, v8
	v_mul_lo_u32 v10, v3, v5
	v_mul_hi_u32 v11, v3, v5
	v_mul_hi_u32 v12, v4, v8
	v_mul_lo_u32 v8, v4, v8
	v_mul_hi_u32 v13, v4, v5
	v_mul_lo_u32 v5, v4, v5
	v_add_co_u32 v9, vcc_lo, v9, v10
	v_add_co_ci_u32_e32 v10, vcc_lo, 0, v11, vcc_lo
	s_delay_alu instid0(VALU_DEP_2) | instskip(NEXT) | instid1(VALU_DEP_2)
	v_add_co_u32 v8, vcc_lo, v9, v8
	v_add_co_ci_u32_e32 v8, vcc_lo, v10, v12, vcc_lo
	v_add_co_ci_u32_e32 v9, vcc_lo, 0, v13, vcc_lo
	v_ashrrev_i32_e32 v12, 31, v7
	s_delay_alu instid0(VALU_DEP_3) | instskip(NEXT) | instid1(VALU_DEP_3)
	v_add_co_u32 v5, vcc_lo, v8, v5
	v_add_co_ci_u32_e32 v8, vcc_lo, 0, v9, vcc_lo
	s_delay_alu instid0(VALU_DEP_2) | instskip(NEXT) | instid1(VALU_DEP_2)
	v_add_co_u32 v3, vcc_lo, v3, v5
	v_add_co_ci_u32_e32 v4, vcc_lo, v4, v8, vcc_lo
	s_delay_alu instid0(VALU_DEP_2) | instskip(SKIP_1) | instid1(VALU_DEP_3)
	v_mul_hi_u32 v5, s0, v3
	v_mul_lo_u32 v9, s27, v3
	v_mul_lo_u32 v8, s0, v4
	s_delay_alu instid0(VALU_DEP_1) | instskip(SKIP_1) | instid1(VALU_DEP_2)
	v_add_nc_u32_e32 v5, v5, v8
	v_mul_lo_u32 v8, s0, v3
	v_add_nc_u32_e32 v5, v5, v9
	s_delay_alu instid0(VALU_DEP_2) | instskip(NEXT) | instid1(VALU_DEP_2)
	v_mul_hi_u32 v9, v3, v8
	v_mul_lo_u32 v10, v3, v5
	v_mul_hi_u32 v11, v3, v5
	v_mul_hi_u32 v13, v4, v8
	v_mul_lo_u32 v8, v4, v8
	v_mul_hi_u32 v14, v4, v5
	v_mul_lo_u32 v5, v4, v5
	v_add_co_u32 v9, vcc_lo, v9, v10
	v_add_co_ci_u32_e32 v10, vcc_lo, 0, v11, vcc_lo
	s_delay_alu instid0(VALU_DEP_2) | instskip(NEXT) | instid1(VALU_DEP_2)
	v_add_co_u32 v8, vcc_lo, v9, v8
	v_add_co_ci_u32_e32 v8, vcc_lo, v10, v13, vcc_lo
	v_add_co_ci_u32_e32 v9, vcc_lo, 0, v14, vcc_lo
	v_add_co_u32 v10, vcc_lo, v6, v12
	v_add_co_ci_u32_e32 v11, vcc_lo, v7, v12, vcc_lo
	s_delay_alu instid0(VALU_DEP_4) | instskip(NEXT) | instid1(VALU_DEP_4)
	v_add_co_u32 v5, vcc_lo, v8, v5
	v_add_co_ci_u32_e32 v8, vcc_lo, 0, v9, vcc_lo
	s_delay_alu instid0(VALU_DEP_4) | instskip(NEXT) | instid1(VALU_DEP_3)
	v_xor_b32_e32 v13, v10, v12
	v_add_co_u32 v5, vcc_lo, v3, v5
	s_delay_alu instid0(VALU_DEP_3) | instskip(SKIP_1) | instid1(VALU_DEP_3)
	v_add_co_ci_u32_e32 v14, vcc_lo, v4, v8, vcc_lo
	v_xor_b32_e32 v15, v11, v12
	v_mul_hi_u32 v17, v13, v5
	s_delay_alu instid0(VALU_DEP_3) | instskip(NEXT) | instid1(VALU_DEP_3)
	v_mad_u64_u32 v[3:4], null, v13, v14, 0
	v_mad_u64_u32 v[8:9], null, v15, v5, 0
	;; [unrolled: 1-line block ×3, first 2 shown]
	s_delay_alu instid0(VALU_DEP_3) | instskip(NEXT) | instid1(VALU_DEP_4)
	v_add_co_u32 v3, vcc_lo, v17, v3
	v_add_co_ci_u32_e32 v4, vcc_lo, 0, v4, vcc_lo
	s_delay_alu instid0(VALU_DEP_2) | instskip(NEXT) | instid1(VALU_DEP_2)
	v_add_co_u32 v3, vcc_lo, v3, v8
	v_add_co_ci_u32_e32 v3, vcc_lo, v4, v9, vcc_lo
	v_add_co_ci_u32_e32 v4, vcc_lo, 0, v11, vcc_lo
	s_delay_alu instid0(VALU_DEP_2) | instskip(NEXT) | instid1(VALU_DEP_2)
	v_add_co_u32 v5, vcc_lo, v3, v10
	v_add_co_ci_u32_e32 v8, vcc_lo, 0, v4, vcc_lo
	s_delay_alu instid0(VALU_DEP_2) | instskip(SKIP_1) | instid1(VALU_DEP_3)
	v_mul_lo_u32 v9, s29, v5
	v_mad_u64_u32 v[3:4], null, s28, v5, 0
	v_mul_lo_u32 v10, s28, v8
	s_delay_alu instid0(VALU_DEP_2) | instskip(NEXT) | instid1(VALU_DEP_2)
	v_sub_co_u32 v3, vcc_lo, v13, v3
	v_add3_u32 v4, v4, v10, v9
	s_delay_alu instid0(VALU_DEP_1) | instskip(NEXT) | instid1(VALU_DEP_1)
	v_sub_nc_u32_e32 v9, v15, v4
	v_subrev_co_ci_u32_e64 v9, s0, s29, v9, vcc_lo
	v_add_co_u32 v10, s0, v5, 2
	s_delay_alu instid0(VALU_DEP_1) | instskip(SKIP_3) | instid1(VALU_DEP_3)
	v_add_co_ci_u32_e64 v11, s0, 0, v8, s0
	v_sub_co_u32 v13, s0, v3, s28
	v_sub_co_ci_u32_e32 v4, vcc_lo, v15, v4, vcc_lo
	v_subrev_co_ci_u32_e64 v9, s0, 0, v9, s0
	v_cmp_le_u32_e32 vcc_lo, s28, v13
	s_delay_alu instid0(VALU_DEP_3) | instskip(SKIP_1) | instid1(VALU_DEP_4)
	v_cmp_eq_u32_e64 s0, s29, v4
	v_cndmask_b32_e64 v13, 0, -1, vcc_lo
	v_cmp_le_u32_e32 vcc_lo, s29, v9
	v_cndmask_b32_e64 v14, 0, -1, vcc_lo
	v_cmp_le_u32_e32 vcc_lo, s28, v3
	;; [unrolled: 2-line block ×3, first 2 shown]
	v_cndmask_b32_e64 v15, 0, -1, vcc_lo
	v_cmp_eq_u32_e32 vcc_lo, s29, v9
	s_delay_alu instid0(VALU_DEP_2) | instskip(SKIP_3) | instid1(VALU_DEP_3)
	v_cndmask_b32_e64 v3, v15, v3, s0
	v_cndmask_b32_e32 v9, v14, v13, vcc_lo
	v_add_co_u32 v13, vcc_lo, v5, 1
	v_add_co_ci_u32_e32 v14, vcc_lo, 0, v8, vcc_lo
	v_cmp_ne_u32_e32 vcc_lo, 0, v9
	s_delay_alu instid0(VALU_DEP_2) | instskip(SKIP_2) | instid1(VALU_DEP_3)
	v_dual_cndmask_b32 v4, v14, v11 :: v_dual_cndmask_b32 v9, v13, v10
	v_cmp_ne_u32_e32 vcc_lo, 0, v3
	v_xor_b32_e32 v3, s26, v12
	v_dual_cndmask_b32 v5, v5, v9 :: v_dual_cndmask_b32 v4, v8, v4
	s_delay_alu instid0(VALU_DEP_1) | instskip(NEXT) | instid1(VALU_DEP_2)
	v_xor_b32_e32 v5, v5, v3
	v_xor_b32_e32 v4, v4, v3
	s_delay_alu instid0(VALU_DEP_2) | instskip(NEXT) | instid1(VALU_DEP_2)
	v_sub_co_u32 v8, vcc_lo, v5, v3
	v_sub_co_ci_u32_e32 v9, vcc_lo, v4, v3, vcc_lo
.LBB42_9:                               ;   in Loop: Header=BB42_3 Depth=1
	s_and_not1_saveexec_b32 s0, s25
	s_cbranch_execz .LBB42_11
; %bb.10:                               ;   in Loop: Header=BB42_3 Depth=1
	v_cvt_f32_u32_e32 v3, s22
	s_sub_i32 s25, 0, s22
	v_mov_b32_e32 v9, v2
	s_delay_alu instid0(VALU_DEP_2) | instskip(SKIP_2) | instid1(VALU_DEP_1)
	v_rcp_iflag_f32_e32 v3, v3
	s_waitcnt_depctr 0xfff
	v_mul_f32_e32 v3, 0x4f7ffffe, v3
	v_cvt_u32_f32_e32 v3, v3
	s_delay_alu instid0(VALU_DEP_1) | instskip(NEXT) | instid1(VALU_DEP_1)
	v_mul_lo_u32 v4, s25, v3
	v_mul_hi_u32 v4, v3, v4
	s_delay_alu instid0(VALU_DEP_1) | instskip(NEXT) | instid1(VALU_DEP_1)
	v_add_nc_u32_e32 v3, v3, v4
	v_mul_hi_u32 v3, v6, v3
	s_delay_alu instid0(VALU_DEP_1) | instskip(SKIP_1) | instid1(VALU_DEP_2)
	v_mul_lo_u32 v4, v3, s22
	v_add_nc_u32_e32 v5, 1, v3
	v_sub_nc_u32_e32 v4, v6, v4
	s_delay_alu instid0(VALU_DEP_1) | instskip(SKIP_1) | instid1(VALU_DEP_2)
	v_subrev_nc_u32_e32 v8, s22, v4
	v_cmp_le_u32_e32 vcc_lo, s22, v4
	v_dual_cndmask_b32 v4, v4, v8 :: v_dual_cndmask_b32 v3, v3, v5
	s_delay_alu instid0(VALU_DEP_1) | instskip(NEXT) | instid1(VALU_DEP_2)
	v_cmp_le_u32_e32 vcc_lo, s22, v4
	v_add_nc_u32_e32 v5, 1, v3
	s_delay_alu instid0(VALU_DEP_1)
	v_cndmask_b32_e32 v8, v3, v5, vcc_lo
.LBB42_11:                              ;   in Loop: Header=BB42_3 Depth=1
	s_or_b32 exec_lo, exec_lo, s0
	v_mul_lo_u32 v5, v7, s2
	v_mul_lo_u32 v12, v6, s3
	v_mad_u64_u32 v[3:4], null, v6, s2, 0
	v_mul_lo_u32 v13, v9, s22
	v_mul_lo_u32 v14, v8, s23
	v_mad_u64_u32 v[10:11], null, v8, s22, 0
	s_mov_b32 s25, exec_lo
	s_delay_alu instid0(VALU_DEP_4) | instskip(SKIP_1) | instid1(VALU_DEP_3)
	v_add3_u32 v5, v4, v12, v5
	v_sub_co_u32 v4, vcc_lo, v0, v3
	v_add3_u32 v11, v11, v14, v13
	s_delay_alu instid0(VALU_DEP_3) | instskip(SKIP_1) | instid1(VALU_DEP_3)
	v_sub_co_ci_u32_e32 v5, vcc_lo, v1, v5, vcc_lo
	v_sub_co_u32 v17, vcc_lo, v6, v10
	v_sub_co_ci_u32_e32 v18, vcc_lo, v7, v11, vcc_lo
	s_delay_alu instid0(VALU_DEP_2) | instskip(NEXT) | instid1(VALU_DEP_2)
	v_sub_co_u32 v6, vcc_lo, v4, v17
	v_sub_co_ci_u32_e32 v7, vcc_lo, v5, v18, vcc_lo
	s_delay_alu instid0(VALU_DEP_2) | instskip(NEXT) | instid1(VALU_DEP_2)
	v_add_co_u32 v10, vcc_lo, v6, 4
	v_add_co_ci_u32_e32 v11, vcc_lo, 0, v7, vcc_lo
	s_delay_alu instid0(VALU_DEP_1)
	v_cmpx_lt_i64_e64 s[4:5], v[10:11]
	s_cbranch_execz .LBB42_2
; %bb.12:                               ;   in Loop: Header=BB42_3 Depth=1
	s_clause 0x1
	s_load_b64 s[28:29], s[10:11], 0x0
	s_load_b64 s[30:31], s[12:13], 0x0
	s_and_b32 vcc_lo, exec_lo, s33
	s_mov_b64 s[34:35], s[18:19]
	s_mov_b64 s[36:37], s[16:17]
	s_waitcnt lgkmcnt(0)
	v_mul_lo_u32 v3, s29, v4
	v_mul_lo_u32 v12, s28, v5
	v_mad_u64_u32 v[10:11], null, s28, v4, 0
	s_delay_alu instid0(VALU_DEP_1) | instskip(SKIP_1) | instid1(VALU_DEP_2)
	v_add3_u32 v11, v11, v12, v3
	v_mul_lo_u32 v3, s30, v18
	v_mad_u64_u32 v[14:15], null, s30, v17, v[10:11]
	v_mul_lo_u32 v10, s31, v17
	s_mov_b64 s[30:31], s[20:21]
	s_delay_alu instid0(VALU_DEP_1) | instskip(NEXT) | instid1(VALU_DEP_1)
	v_add3_u32 v15, v10, v15, v3
	v_dual_mov_b32 v10, v14 :: v_dual_mov_b32 v11, v15
	s_cbranch_vccnz .LBB42_25
.LBB42_13:                              ;   in Loop: Header=BB42_3 Depth=1
	s_load_b64 s[30:31], s[14:15], 0x0
	s_waitcnt lgkmcnt(0)
	v_cmp_gt_i64_e32 vcc_lo, s[30:31], v[4:5]
	s_and_b32 exec_lo, exec_lo, vcc_lo
	s_cbranch_execz .LBB42_2
; %bb.14:                               ;   in Loop: Header=BB42_3 Depth=1
	v_lshlrev_b64 v[8:9], 1, v[14:15]
	v_cmp_lt_i64_e32 vcc_lo, s[4:5], v[6:7]
	s_delay_alu instid0(VALU_DEP_2) | instskip(NEXT) | instid1(VALU_DEP_1)
	v_add_co_u32 v6, s0, s8, v8
	v_add_co_ci_u32_e64 v7, s0, s9, v9, s0
	s_and_saveexec_b32 s0, vcc_lo
	s_cbranch_execz .LBB42_16
; %bb.15:                               ;   in Loop: Header=BB42_3 Depth=1
	global_store_b16 v[6:7], v2, off
.LBB42_16:                              ;   in Loop: Header=BB42_3 Depth=1
	s_or_b32 exec_lo, exec_lo, s0
	v_add_co_u32 v8, vcc_lo, v4, 1
	v_add_co_ci_u32_e32 v9, vcc_lo, 0, v5, vcc_lo
	s_delay_alu instid0(VALU_DEP_1)
	v_cmp_gt_i64_e32 vcc_lo, s[30:31], v[8:9]
	s_and_b32 exec_lo, exec_lo, vcc_lo
	s_cbranch_execz .LBB42_2
; %bb.17:                               ;   in Loop: Header=BB42_3 Depth=1
	v_sub_co_u32 v8, vcc_lo, v8, v17
	v_sub_co_ci_u32_e32 v9, vcc_lo, v9, v18, vcc_lo
	s_mov_b32 s0, exec_lo
	s_delay_alu instid0(VALU_DEP_1)
	v_cmpx_lt_i64_e64 s[4:5], v[8:9]
	s_cbranch_execz .LBB42_19
; %bb.18:                               ;   in Loop: Header=BB42_3 Depth=1
	s_lshl_b64 s[34:35], s[28:29], 1
	s_delay_alu instid0(SALU_CYCLE_1)
	v_add_co_u32 v8, vcc_lo, v6, s34
	v_add_co_ci_u32_e32 v9, vcc_lo, s35, v7, vcc_lo
	global_store_b16 v[8:9], v2, off
.LBB42_19:                              ;   in Loop: Header=BB42_3 Depth=1
	s_or_b32 exec_lo, exec_lo, s0
	v_add_co_u32 v8, vcc_lo, v4, 2
	v_add_co_ci_u32_e32 v9, vcc_lo, 0, v5, vcc_lo
	s_delay_alu instid0(VALU_DEP_1)
	v_cmp_gt_i64_e32 vcc_lo, s[30:31], v[8:9]
	s_and_b32 exec_lo, exec_lo, vcc_lo
	s_cbranch_execz .LBB42_2
; %bb.20:                               ;   in Loop: Header=BB42_3 Depth=1
	v_sub_co_u32 v8, vcc_lo, v8, v17
	v_sub_co_ci_u32_e32 v9, vcc_lo, v9, v18, vcc_lo
	s_mov_b32 s0, exec_lo
	s_delay_alu instid0(VALU_DEP_1)
	v_cmpx_lt_i64_e64 s[4:5], v[8:9]
	s_cbranch_execz .LBB42_22
; %bb.21:                               ;   in Loop: Header=BB42_3 Depth=1
	s_lshl_b64 s[34:35], s[28:29], 2
	s_delay_alu instid0(SALU_CYCLE_1)
	v_add_co_u32 v8, vcc_lo, v6, s34
	v_add_co_ci_u32_e32 v9, vcc_lo, s35, v7, vcc_lo
	global_store_b16 v[8:9], v2, off
.LBB42_22:                              ;   in Loop: Header=BB42_3 Depth=1
	s_or_b32 exec_lo, exec_lo, s0
	v_add_co_u32 v3, vcc_lo, v4, 3
	v_add_co_ci_u32_e32 v4, vcc_lo, 0, v5, vcc_lo
	s_delay_alu instid0(VALU_DEP_2) | instskip(NEXT) | instid1(VALU_DEP_2)
	v_sub_co_u32 v8, vcc_lo, v3, v17
	v_sub_co_ci_u32_e32 v9, vcc_lo, v4, v18, vcc_lo
	v_cmp_gt_i64_e32 vcc_lo, s[30:31], v[3:4]
	s_delay_alu instid0(VALU_DEP_2) | instskip(NEXT) | instid1(VALU_DEP_1)
	v_cmp_lt_i64_e64 s0, s[4:5], v[8:9]
	s_and_b32 s0, vcc_lo, s0
	s_delay_alu instid0(SALU_CYCLE_1)
	s_and_b32 exec_lo, exec_lo, s0
	s_cbranch_execz .LBB42_2
; %bb.23:                               ;   in Loop: Header=BB42_3 Depth=1
	v_mad_u64_u32 v[3:4], null, s28, 6, v[6:7]
	s_delay_alu instid0(VALU_DEP_1) | instskip(NEXT) | instid1(VALU_DEP_1)
	v_mad_u64_u32 v[5:6], null, s29, 6, v[4:5]
	v_mov_b32_e32 v4, v5
	global_store_b16 v[3:4], v2, off
	s_branch .LBB42_2
.LBB42_24:                              ;   in Loop: Header=BB42_25 Depth=2
	s_or_b32 exec_lo, exec_lo, s0
	s_load_b64 s[40:41], s[36:37], 0x0
	s_delay_alu instid0(VALU_DEP_1)
	v_mul_lo_u32 v3, v13, s38
	v_mul_lo_u32 v19, v12, s39
	v_mad_u64_u32 v[14:15], null, v12, s38, 0
	s_add_u32 s36, s36, -8
	s_addc_u32 s37, s37, -1
	s_add_u32 s34, s34, -8
	s_addc_u32 s35, s35, -1
	;; [unrolled: 2-line block ×3, first 2 shown]
	s_delay_alu instid0(VALU_DEP_1) | instskip(SKIP_2) | instid1(VALU_DEP_3)
	v_add3_u32 v3, v15, v19, v3
	v_sub_co_u32 v8, vcc_lo, v8, v14
	v_cmp_lt_i64_e64 s0, s[30:31], 1
	v_sub_co_ci_u32_e32 v3, vcc_lo, v9, v3, vcc_lo
	s_delay_alu instid0(VALU_DEP_2) | instskip(SKIP_1) | instid1(VALU_DEP_1)
	s_and_b32 vcc_lo, exec_lo, s0
	s_waitcnt lgkmcnt(0)
	v_mul_lo_u32 v3, s40, v3
	v_mul_lo_u32 v9, s41, v8
	v_mad_u64_u32 v[14:15], null, s40, v8, v[10:11]
	s_delay_alu instid0(VALU_DEP_1) | instskip(NEXT) | instid1(VALU_DEP_2)
	v_add3_u32 v15, v9, v15, v3
	v_mov_b32_e32 v10, v14
	v_dual_mov_b32 v8, v12 :: v_dual_mov_b32 v9, v13
	s_delay_alu instid0(VALU_DEP_3)
	v_mov_b32_e32 v11, v15
	s_cbranch_vccnz .LBB42_13
.LBB42_25:                              ;   Parent Loop BB42_3 Depth=1
                                        ; =>  This Inner Loop Header: Depth=2
	s_load_b64 s[38:39], s[34:35], 0x0
                                        ; implicit-def: $vgpr12_vgpr13
	s_mov_b32 s0, exec_lo
	s_waitcnt lgkmcnt(0)
	v_or_b32_e32 v3, s39, v9
	s_delay_alu instid0(VALU_DEP_1)
	v_cmpx_ne_u64_e32 0, v[2:3]
	s_xor_b32 s27, exec_lo, s0
	s_cbranch_execz .LBB42_27
; %bb.26:                               ;   in Loop: Header=BB42_25 Depth=2
	s_ashr_i32 s40, s39, 31
	s_delay_alu instid0(SALU_CYCLE_1) | instskip(SKIP_2) | instid1(SALU_CYCLE_1)
	s_add_u32 s42, s38, s40
	s_mov_b32 s41, s40
	s_addc_u32 s43, s39, s40
	s_xor_b64 s[42:43], s[42:43], s[40:41]
	s_delay_alu instid0(SALU_CYCLE_1) | instskip(SKIP_3) | instid1(VALU_DEP_1)
	v_cvt_f32_u32_e32 v3, s42
	v_cvt_f32_u32_e32 v12, s43
	s_sub_u32 s0, 0, s42
	s_subb_u32 s41, 0, s43
	v_fmac_f32_e32 v3, 0x4f800000, v12
	s_delay_alu instid0(VALU_DEP_1) | instskip(SKIP_2) | instid1(VALU_DEP_1)
	v_rcp_f32_e32 v3, v3
	s_waitcnt_depctr 0xfff
	v_mul_f32_e32 v3, 0x5f7ffffc, v3
	v_mul_f32_e32 v12, 0x2f800000, v3
	s_delay_alu instid0(VALU_DEP_1) | instskip(NEXT) | instid1(VALU_DEP_1)
	v_trunc_f32_e32 v12, v12
	v_fmac_f32_e32 v3, 0xcf800000, v12
	v_cvt_u32_f32_e32 v12, v12
	s_delay_alu instid0(VALU_DEP_2) | instskip(NEXT) | instid1(VALU_DEP_2)
	v_cvt_u32_f32_e32 v3, v3
	v_mul_lo_u32 v13, s0, v12
	s_delay_alu instid0(VALU_DEP_2) | instskip(SKIP_1) | instid1(VALU_DEP_2)
	v_mul_hi_u32 v14, s0, v3
	v_mul_lo_u32 v15, s41, v3
	v_add_nc_u32_e32 v13, v14, v13
	v_mul_lo_u32 v14, s0, v3
	s_delay_alu instid0(VALU_DEP_2) | instskip(NEXT) | instid1(VALU_DEP_2)
	v_add_nc_u32_e32 v13, v13, v15
	v_mul_hi_u32 v15, v3, v14
	s_delay_alu instid0(VALU_DEP_2)
	v_mul_lo_u32 v19, v3, v13
	v_mul_hi_u32 v20, v3, v13
	v_mul_hi_u32 v21, v12, v14
	v_mul_lo_u32 v14, v12, v14
	v_mul_hi_u32 v22, v12, v13
	v_mul_lo_u32 v13, v12, v13
	v_add_co_u32 v15, vcc_lo, v15, v19
	v_add_co_ci_u32_e32 v19, vcc_lo, 0, v20, vcc_lo
	s_delay_alu instid0(VALU_DEP_2) | instskip(NEXT) | instid1(VALU_DEP_2)
	v_add_co_u32 v14, vcc_lo, v15, v14
	v_add_co_ci_u32_e32 v14, vcc_lo, v19, v21, vcc_lo
	v_add_co_ci_u32_e32 v15, vcc_lo, 0, v22, vcc_lo
	v_ashrrev_i32_e32 v21, 31, v9
	s_delay_alu instid0(VALU_DEP_3) | instskip(NEXT) | instid1(VALU_DEP_3)
	v_add_co_u32 v13, vcc_lo, v14, v13
	v_add_co_ci_u32_e32 v14, vcc_lo, 0, v15, vcc_lo
	s_delay_alu instid0(VALU_DEP_2) | instskip(NEXT) | instid1(VALU_DEP_2)
	v_add_co_u32 v3, vcc_lo, v3, v13
	v_add_co_ci_u32_e32 v12, vcc_lo, v12, v14, vcc_lo
	s_delay_alu instid0(VALU_DEP_2) | instskip(SKIP_1) | instid1(VALU_DEP_3)
	v_mul_hi_u32 v13, s0, v3
	v_mul_lo_u32 v15, s41, v3
	v_mul_lo_u32 v14, s0, v12
	s_delay_alu instid0(VALU_DEP_1) | instskip(SKIP_1) | instid1(VALU_DEP_2)
	v_add_nc_u32_e32 v13, v13, v14
	v_mul_lo_u32 v14, s0, v3
	v_add_nc_u32_e32 v13, v13, v15
	s_delay_alu instid0(VALU_DEP_2) | instskip(NEXT) | instid1(VALU_DEP_2)
	v_mul_hi_u32 v15, v3, v14
	v_mul_lo_u32 v19, v3, v13
	v_mul_hi_u32 v20, v3, v13
	v_mul_hi_u32 v22, v12, v14
	v_mul_lo_u32 v14, v12, v14
	v_mul_hi_u32 v23, v12, v13
	v_mul_lo_u32 v13, v12, v13
	v_add_co_u32 v15, vcc_lo, v15, v19
	v_add_co_ci_u32_e32 v19, vcc_lo, 0, v20, vcc_lo
	s_delay_alu instid0(VALU_DEP_2) | instskip(NEXT) | instid1(VALU_DEP_2)
	v_add_co_u32 v14, vcc_lo, v15, v14
	v_add_co_ci_u32_e32 v14, vcc_lo, v19, v22, vcc_lo
	v_add_co_ci_u32_e32 v15, vcc_lo, 0, v23, vcc_lo
	v_add_co_u32 v19, vcc_lo, v8, v21
	v_add_co_ci_u32_e32 v20, vcc_lo, v9, v21, vcc_lo
	s_delay_alu instid0(VALU_DEP_4) | instskip(NEXT) | instid1(VALU_DEP_4)
	v_add_co_u32 v13, vcc_lo, v14, v13
	v_add_co_ci_u32_e32 v14, vcc_lo, 0, v15, vcc_lo
	s_delay_alu instid0(VALU_DEP_4) | instskip(NEXT) | instid1(VALU_DEP_3)
	v_xor_b32_e32 v22, v19, v21
	v_add_co_u32 v3, vcc_lo, v3, v13
	s_delay_alu instid0(VALU_DEP_3) | instskip(SKIP_1) | instid1(VALU_DEP_3)
	v_add_co_ci_u32_e32 v23, vcc_lo, v12, v14, vcc_lo
	v_xor_b32_e32 v24, v20, v21
	v_mul_hi_u32 v25, v22, v3
	s_delay_alu instid0(VALU_DEP_3) | instskip(NEXT) | instid1(VALU_DEP_3)
	v_mad_u64_u32 v[12:13], null, v22, v23, 0
	v_mad_u64_u32 v[14:15], null, v24, v3, 0
	;; [unrolled: 1-line block ×3, first 2 shown]
	s_delay_alu instid0(VALU_DEP_3) | instskip(NEXT) | instid1(VALU_DEP_4)
	v_add_co_u32 v3, vcc_lo, v25, v12
	v_add_co_ci_u32_e32 v12, vcc_lo, 0, v13, vcc_lo
	s_delay_alu instid0(VALU_DEP_2) | instskip(NEXT) | instid1(VALU_DEP_2)
	v_add_co_u32 v3, vcc_lo, v3, v14
	v_add_co_ci_u32_e32 v3, vcc_lo, v12, v15, vcc_lo
	v_add_co_ci_u32_e32 v12, vcc_lo, 0, v20, vcc_lo
	s_delay_alu instid0(VALU_DEP_2) | instskip(NEXT) | instid1(VALU_DEP_2)
	v_add_co_u32 v3, vcc_lo, v3, v19
	v_add_co_ci_u32_e32 v14, vcc_lo, 0, v12, vcc_lo
	s_delay_alu instid0(VALU_DEP_2) | instskip(SKIP_1) | instid1(VALU_DEP_3)
	v_mul_lo_u32 v15, s43, v3
	v_mad_u64_u32 v[12:13], null, s42, v3, 0
	v_mul_lo_u32 v19, s42, v14
	s_delay_alu instid0(VALU_DEP_2) | instskip(NEXT) | instid1(VALU_DEP_2)
	v_sub_co_u32 v12, vcc_lo, v22, v12
	v_add3_u32 v13, v13, v19, v15
	s_delay_alu instid0(VALU_DEP_1) | instskip(NEXT) | instid1(VALU_DEP_1)
	v_sub_nc_u32_e32 v15, v24, v13
	v_subrev_co_ci_u32_e64 v15, s0, s43, v15, vcc_lo
	v_add_co_u32 v19, s0, v3, 2
	s_delay_alu instid0(VALU_DEP_1) | instskip(SKIP_3) | instid1(VALU_DEP_3)
	v_add_co_ci_u32_e64 v20, s0, 0, v14, s0
	v_sub_co_u32 v22, s0, v12, s42
	v_sub_co_ci_u32_e32 v13, vcc_lo, v24, v13, vcc_lo
	v_subrev_co_ci_u32_e64 v15, s0, 0, v15, s0
	v_cmp_le_u32_e32 vcc_lo, s42, v22
	s_delay_alu instid0(VALU_DEP_3) | instskip(SKIP_1) | instid1(VALU_DEP_4)
	v_cmp_eq_u32_e64 s0, s43, v13
	v_cndmask_b32_e64 v22, 0, -1, vcc_lo
	v_cmp_le_u32_e32 vcc_lo, s43, v15
	v_cndmask_b32_e64 v23, 0, -1, vcc_lo
	v_cmp_le_u32_e32 vcc_lo, s42, v12
	;; [unrolled: 2-line block ×3, first 2 shown]
	v_cndmask_b32_e64 v24, 0, -1, vcc_lo
	v_cmp_eq_u32_e32 vcc_lo, s43, v15
	s_delay_alu instid0(VALU_DEP_2) | instskip(SKIP_3) | instid1(VALU_DEP_3)
	v_cndmask_b32_e64 v12, v24, v12, s0
	v_cndmask_b32_e32 v15, v23, v22, vcc_lo
	v_add_co_u32 v22, vcc_lo, v3, 1
	v_add_co_ci_u32_e32 v23, vcc_lo, 0, v14, vcc_lo
	v_cmp_ne_u32_e32 vcc_lo, 0, v15
	s_delay_alu instid0(VALU_DEP_2) | instskip(NEXT) | instid1(VALU_DEP_4)
	v_cndmask_b32_e32 v13, v23, v20, vcc_lo
	v_cndmask_b32_e32 v15, v22, v19, vcc_lo
	v_cmp_ne_u32_e32 vcc_lo, 0, v12
	v_xor_b32_e32 v19, s40, v21
	s_delay_alu instid0(VALU_DEP_3) | instskip(NEXT) | instid1(VALU_DEP_1)
	v_dual_cndmask_b32 v3, v3, v15 :: v_dual_cndmask_b32 v12, v14, v13
	v_xor_b32_e32 v3, v3, v19
	s_delay_alu instid0(VALU_DEP_2) | instskip(NEXT) | instid1(VALU_DEP_2)
	v_xor_b32_e32 v13, v12, v19
	v_sub_co_u32 v12, vcc_lo, v3, v19
	s_delay_alu instid0(VALU_DEP_2)
	v_sub_co_ci_u32_e32 v13, vcc_lo, v13, v19, vcc_lo
.LBB42_27:                              ;   in Loop: Header=BB42_25 Depth=2
	s_and_not1_saveexec_b32 s0, s27
	s_cbranch_execz .LBB42_24
; %bb.28:                               ;   in Loop: Header=BB42_25 Depth=2
	v_cvt_f32_u32_e32 v3, s38
	s_sub_i32 s27, 0, s38
	s_delay_alu instid0(VALU_DEP_1) | instskip(SKIP_2) | instid1(VALU_DEP_1)
	v_rcp_iflag_f32_e32 v3, v3
	s_waitcnt_depctr 0xfff
	v_mul_f32_e32 v3, 0x4f7ffffe, v3
	v_cvt_u32_f32_e32 v3, v3
	s_delay_alu instid0(VALU_DEP_1) | instskip(NEXT) | instid1(VALU_DEP_1)
	v_mul_lo_u32 v12, s27, v3
	v_mul_hi_u32 v12, v3, v12
	s_delay_alu instid0(VALU_DEP_1) | instskip(NEXT) | instid1(VALU_DEP_1)
	v_add_nc_u32_e32 v3, v3, v12
	v_mul_hi_u32 v3, v8, v3
	s_delay_alu instid0(VALU_DEP_1) | instskip(SKIP_1) | instid1(VALU_DEP_2)
	v_mul_lo_u32 v12, v3, s38
	v_add_nc_u32_e32 v13, 1, v3
	v_sub_nc_u32_e32 v12, v8, v12
	s_delay_alu instid0(VALU_DEP_1) | instskip(SKIP_1) | instid1(VALU_DEP_2)
	v_subrev_nc_u32_e32 v14, s38, v12
	v_cmp_le_u32_e32 vcc_lo, s38, v12
	v_dual_cndmask_b32 v12, v12, v14 :: v_dual_cndmask_b32 v3, v3, v13
	s_delay_alu instid0(VALU_DEP_1) | instskip(NEXT) | instid1(VALU_DEP_2)
	v_cmp_le_u32_e32 vcc_lo, s38, v12
	v_add_nc_u32_e32 v13, 1, v3
	s_delay_alu instid0(VALU_DEP_1)
	v_dual_cndmask_b32 v12, v3, v13 :: v_dual_mov_b32 v13, v2
	s_branch .LBB42_24
.LBB42_29:
	s_nop 0
	s_sendmsg sendmsg(MSG_DEALLOC_VGPRS)
	s_endpgm
	.section	.rodata,"a",@progbits
	.p2align	6, 0x0
	.amdhsa_kernel _ZN2at6native16triu_tril_kernelIN3c104HalfElLb0ELi4ELb1EEEvNS_4cuda6detail10TensorInfoIT_T0_EENS6_IKS7_S8_EEllS8_
		.amdhsa_group_segment_fixed_size 0
		.amdhsa_private_segment_fixed_size 0
		.amdhsa_kernarg_size 1112
		.amdhsa_user_sgpr_count 15
		.amdhsa_user_sgpr_dispatch_ptr 0
		.amdhsa_user_sgpr_queue_ptr 0
		.amdhsa_user_sgpr_kernarg_segment_ptr 1
		.amdhsa_user_sgpr_dispatch_id 0
		.amdhsa_user_sgpr_private_segment_size 0
		.amdhsa_wavefront_size32 1
		.amdhsa_uses_dynamic_stack 0
		.amdhsa_enable_private_segment 0
		.amdhsa_system_sgpr_workgroup_id_x 1
		.amdhsa_system_sgpr_workgroup_id_y 0
		.amdhsa_system_sgpr_workgroup_id_z 0
		.amdhsa_system_sgpr_workgroup_info 0
		.amdhsa_system_vgpr_workitem_id 0
		.amdhsa_next_free_vgpr 26
		.amdhsa_next_free_sgpr 45
		.amdhsa_reserve_vcc 1
		.amdhsa_float_round_mode_32 0
		.amdhsa_float_round_mode_16_64 0
		.amdhsa_float_denorm_mode_32 3
		.amdhsa_float_denorm_mode_16_64 3
		.amdhsa_dx10_clamp 1
		.amdhsa_ieee_mode 1
		.amdhsa_fp16_overflow 0
		.amdhsa_workgroup_processor_mode 1
		.amdhsa_memory_ordered 1
		.amdhsa_forward_progress 0
		.amdhsa_shared_vgpr_count 0
		.amdhsa_exception_fp_ieee_invalid_op 0
		.amdhsa_exception_fp_denorm_src 0
		.amdhsa_exception_fp_ieee_div_zero 0
		.amdhsa_exception_fp_ieee_overflow 0
		.amdhsa_exception_fp_ieee_underflow 0
		.amdhsa_exception_fp_ieee_inexact 0
		.amdhsa_exception_int_div_zero 0
	.end_amdhsa_kernel
	.section	.text._ZN2at6native16triu_tril_kernelIN3c104HalfElLb0ELi4ELb1EEEvNS_4cuda6detail10TensorInfoIT_T0_EENS6_IKS7_S8_EEllS8_,"axG",@progbits,_ZN2at6native16triu_tril_kernelIN3c104HalfElLb0ELi4ELb1EEEvNS_4cuda6detail10TensorInfoIT_T0_EENS6_IKS7_S8_EEllS8_,comdat
.Lfunc_end42:
	.size	_ZN2at6native16triu_tril_kernelIN3c104HalfElLb0ELi4ELb1EEEvNS_4cuda6detail10TensorInfoIT_T0_EENS6_IKS7_S8_EEllS8_, .Lfunc_end42-_ZN2at6native16triu_tril_kernelIN3c104HalfElLb0ELi4ELb1EEEvNS_4cuda6detail10TensorInfoIT_T0_EENS6_IKS7_S8_EEllS8_
                                        ; -- End function
	.section	.AMDGPU.csdata,"",@progbits
; Kernel info:
; codeLenInByte = 4100
; NumSgprs: 47
; NumVgprs: 26
; ScratchSize: 0
; MemoryBound: 0
; FloatMode: 240
; IeeeMode: 1
; LDSByteSize: 0 bytes/workgroup (compile time only)
; SGPRBlocks: 5
; VGPRBlocks: 3
; NumSGPRsForWavesPerEU: 47
; NumVGPRsForWavesPerEU: 26
; Occupancy: 16
; WaveLimiterHint : 0
; COMPUTE_PGM_RSRC2:SCRATCH_EN: 0
; COMPUTE_PGM_RSRC2:USER_SGPR: 15
; COMPUTE_PGM_RSRC2:TRAP_HANDLER: 0
; COMPUTE_PGM_RSRC2:TGID_X_EN: 1
; COMPUTE_PGM_RSRC2:TGID_Y_EN: 0
; COMPUTE_PGM_RSRC2:TGID_Z_EN: 0
; COMPUTE_PGM_RSRC2:TIDIG_COMP_CNT: 0
	.section	.text._ZN2at6native16triu_tril_kernelIN3c104HalfElLb0ELi4ELb0EEEvNS_4cuda6detail10TensorInfoIT_T0_EENS6_IKS7_S8_EEllS8_,"axG",@progbits,_ZN2at6native16triu_tril_kernelIN3c104HalfElLb0ELi4ELb0EEEvNS_4cuda6detail10TensorInfoIT_T0_EENS6_IKS7_S8_EEllS8_,comdat
	.protected	_ZN2at6native16triu_tril_kernelIN3c104HalfElLb0ELi4ELb0EEEvNS_4cuda6detail10TensorInfoIT_T0_EENS6_IKS7_S8_EEllS8_ ; -- Begin function _ZN2at6native16triu_tril_kernelIN3c104HalfElLb0ELi4ELb0EEEvNS_4cuda6detail10TensorInfoIT_T0_EENS6_IKS7_S8_EEllS8_
	.globl	_ZN2at6native16triu_tril_kernelIN3c104HalfElLb0ELi4ELb0EEEvNS_4cuda6detail10TensorInfoIT_T0_EENS6_IKS7_S8_EEllS8_
	.p2align	8
	.type	_ZN2at6native16triu_tril_kernelIN3c104HalfElLb0ELi4ELb0EEEvNS_4cuda6detail10TensorInfoIT_T0_EENS6_IKS7_S8_EEllS8_,@function
_ZN2at6native16triu_tril_kernelIN3c104HalfElLb0ELi4ELb0EEEvNS_4cuda6detail10TensorInfoIT_T0_EENS6_IKS7_S8_EEllS8_: ; @_ZN2at6native16triu_tril_kernelIN3c104HalfElLb0ELi4ELb0EEEvNS_4cuda6detail10TensorInfoIT_T0_EENS6_IKS7_S8_EEllS8_
; %bb.0:
	s_clause 0x1
	s_load_b32 s2, s[0:1], 0x364
	s_load_b128 s[4:7], s[0:1], 0x340
	v_mov_b32_e32 v2, 0
	s_add_u32 s8, s0, 0x358
	s_addc_u32 s9, s1, 0
	s_delay_alu instid0(VALU_DEP_1) | instskip(SKIP_3) | instid1(VALU_DEP_1)
	v_mov_b32_e32 v1, v2
	s_waitcnt lgkmcnt(0)
	s_and_b32 s26, s2, 0xffff
	s_mov_b32 s2, exec_lo
	v_mad_u64_u32 v[3:4], null, s26, s15, v[0:1]
	s_delay_alu instid0(VALU_DEP_1) | instskip(NEXT) | instid1(VALU_DEP_1)
	v_lshlrev_b64 v[0:1], 2, v[3:4]
	v_cmpx_gt_i64_e64 s[6:7], v[0:1]
	s_cbranch_execz .LBB43_32
; %bb.1:
	s_clause 0x1
	s_load_b32 s24, s[0:1], 0x338
	s_load_b64 s[2:3], s[0:1], 0x350
	s_add_u32 s10, s0, 0x1a0
	s_addc_u32 s11, s1, 0
	s_load_b32 s27, s[8:9], 0x0
	s_load_b64 s[20:21], s[0:1], 0x1a0
	s_waitcnt lgkmcnt(0)
	s_ashr_i32 s25, s24, 31
	s_add_u32 s36, s0, 0x1a8
	s_addc_u32 s37, s1, 0
	s_lshl_b64 s[8:9], s[24:25], 3
	v_cvt_f32_u32_e32 v3, s2
	s_add_u32 s12, s8, -16
	s_addc_u32 s13, s9, -1
	s_add_u32 s16, s36, s12
	s_addc_u32 s17, s37, s13
	s_add_u32 s8, s10, s12
	s_addc_u32 s9, s11, s13
	s_add_u32 s28, s0, 0xd0
	s_load_b128 s[8:11], s[8:9], 0xd0
	s_addc_u32 s29, s1, 0
	s_add_u32 s12, s28, s12
	s_addc_u32 s13, s29, s13
	s_clause 0x2
	s_load_b128 s[12:15], s[12:13], 0x0
	s_load_b128 s[16:19], s[16:17], 0x0
	s_load_b64 s[22:23], s[0:1], 0x0
	v_rcp_iflag_f32_e32 v3, v3
	s_add_i32 s34, s24, -3
	s_mul_i32 s27, s27, s26
	s_ashr_i32 s35, s34, 31
	v_cmp_gt_i64_e64 s33, s[24:25], 2
	s_lshl_b64 s[30:31], s[34:35], 3
	s_lshl_b32 s50, s27, 2
	s_mov_b32 s1, 0
	s_waitcnt_depctr 0xfff
	v_mul_f32_e32 v3, 0x4f7ffffe, v3
	s_waitcnt lgkmcnt(0)
	s_mul_i32 s0, s11, 6
	s_mul_hi_u32 s26, s10, 6
	s_lshl_b64 s[24:25], s[10:11], 2
	s_add_i32 s52, s26, s0
	s_mul_i32 s0, s15, 6
	s_mul_hi_u32 s38, s14, 6
	s_lshl_b64 s[26:27], s[14:15], 2
	s_add_i32 s54, s38, s0
	s_add_u32 s28, s28, s30
	s_addc_u32 s29, s29, s31
	v_cvt_u32_f32_e32 v18, v3
	s_add_u32 s30, s36, s30
	s_addc_u32 s31, s37, s31
	s_add_u32 s34, s34, 1
	s_mul_i32 s51, s10, 6
	s_mul_i32 s53, s14, 6
	s_addc_u32 s35, s35, 0
	s_ashr_i32 s36, s3, 31
	s_branch .LBB43_3
.LBB43_2:                               ;   in Loop: Header=BB43_3 Depth=1
	s_or_b32 exec_lo, exec_lo, s0
	v_add_co_u32 v0, vcc_lo, v0, s50
	v_add_co_ci_u32_e32 v1, vcc_lo, 0, v1, vcc_lo
	s_delay_alu instid0(VALU_DEP_1) | instskip(SKIP_1) | instid1(SALU_CYCLE_1)
	v_cmp_le_i64_e32 vcc_lo, s[6:7], v[0:1]
	s_or_b32 s1, vcc_lo, s1
	s_and_not1_b32 exec_lo, exec_lo, s1
	s_cbranch_execz .LBB43_32
.LBB43_3:                               ; =>This Loop Header: Depth=1
                                        ;     Child Loop BB43_28 Depth 2
	v_or_b32_e32 v3, s3, v1
                                        ; implicit-def: $vgpr8_vgpr9
	s_mov_b32 s0, exec_lo
	s_delay_alu instid0(VALU_DEP_1)
	v_cmpx_ne_u64_e32 0, v[2:3]
	s_xor_b32 s40, exec_lo, s0
	s_cbranch_execz .LBB43_5
; %bb.4:                                ;   in Loop: Header=BB43_3 Depth=1
	s_add_u32 s38, s2, s36
	s_mov_b32 s37, s36
	s_addc_u32 s39, s3, s36
	s_delay_alu instid0(SALU_CYCLE_1) | instskip(NEXT) | instid1(SALU_CYCLE_1)
	s_xor_b64 s[38:39], s[38:39], s[36:37]
	v_cvt_f32_u32_e32 v3, s38
	v_cvt_f32_u32_e32 v4, s39
	s_sub_u32 s0, 0, s38
	s_subb_u32 s37, 0, s39
	s_delay_alu instid0(VALU_DEP_1) | instskip(NEXT) | instid1(VALU_DEP_1)
	v_fmac_f32_e32 v3, 0x4f800000, v4
	v_rcp_f32_e32 v3, v3
	s_waitcnt_depctr 0xfff
	v_mul_f32_e32 v3, 0x5f7ffffc, v3
	s_delay_alu instid0(VALU_DEP_1) | instskip(NEXT) | instid1(VALU_DEP_1)
	v_mul_f32_e32 v4, 0x2f800000, v3
	v_trunc_f32_e32 v4, v4
	s_delay_alu instid0(VALU_DEP_1) | instskip(SKIP_1) | instid1(VALU_DEP_2)
	v_fmac_f32_e32 v3, 0xcf800000, v4
	v_cvt_u32_f32_e32 v4, v4
	v_cvt_u32_f32_e32 v3, v3
	s_delay_alu instid0(VALU_DEP_2) | instskip(NEXT) | instid1(VALU_DEP_2)
	v_mul_lo_u32 v5, s0, v4
	v_mul_hi_u32 v6, s0, v3
	v_mul_lo_u32 v7, s37, v3
	s_delay_alu instid0(VALU_DEP_2) | instskip(SKIP_1) | instid1(VALU_DEP_2)
	v_add_nc_u32_e32 v5, v6, v5
	v_mul_lo_u32 v6, s0, v3
	v_add_nc_u32_e32 v5, v5, v7
	s_delay_alu instid0(VALU_DEP_2) | instskip(NEXT) | instid1(VALU_DEP_2)
	v_mul_hi_u32 v7, v3, v6
	v_mul_lo_u32 v8, v3, v5
	v_mul_hi_u32 v9, v3, v5
	v_mul_hi_u32 v10, v4, v6
	v_mul_lo_u32 v6, v4, v6
	v_mul_hi_u32 v11, v4, v5
	v_mul_lo_u32 v5, v4, v5
	v_add_co_u32 v7, vcc_lo, v7, v8
	v_add_co_ci_u32_e32 v8, vcc_lo, 0, v9, vcc_lo
	s_delay_alu instid0(VALU_DEP_2) | instskip(NEXT) | instid1(VALU_DEP_2)
	v_add_co_u32 v6, vcc_lo, v7, v6
	v_add_co_ci_u32_e32 v6, vcc_lo, v8, v10, vcc_lo
	v_add_co_ci_u32_e32 v7, vcc_lo, 0, v11, vcc_lo
	v_ashrrev_i32_e32 v10, 31, v1
	s_delay_alu instid0(VALU_DEP_3) | instskip(NEXT) | instid1(VALU_DEP_3)
	v_add_co_u32 v5, vcc_lo, v6, v5
	v_add_co_ci_u32_e32 v6, vcc_lo, 0, v7, vcc_lo
	s_delay_alu instid0(VALU_DEP_2) | instskip(NEXT) | instid1(VALU_DEP_2)
	v_add_co_u32 v3, vcc_lo, v3, v5
	v_add_co_ci_u32_e32 v4, vcc_lo, v4, v6, vcc_lo
	s_delay_alu instid0(VALU_DEP_2) | instskip(SKIP_1) | instid1(VALU_DEP_3)
	v_mul_hi_u32 v5, s0, v3
	v_mul_lo_u32 v7, s37, v3
	v_mul_lo_u32 v6, s0, v4
	s_delay_alu instid0(VALU_DEP_1) | instskip(SKIP_1) | instid1(VALU_DEP_2)
	v_add_nc_u32_e32 v5, v5, v6
	v_mul_lo_u32 v6, s0, v3
	v_add_nc_u32_e32 v5, v5, v7
	s_delay_alu instid0(VALU_DEP_2) | instskip(NEXT) | instid1(VALU_DEP_2)
	v_mul_hi_u32 v7, v3, v6
	v_mul_lo_u32 v8, v3, v5
	v_mul_hi_u32 v9, v3, v5
	v_mul_hi_u32 v11, v4, v6
	v_mul_lo_u32 v6, v4, v6
	v_mul_hi_u32 v12, v4, v5
	v_mul_lo_u32 v5, v4, v5
	v_add_co_u32 v7, vcc_lo, v7, v8
	v_add_co_ci_u32_e32 v8, vcc_lo, 0, v9, vcc_lo
	s_delay_alu instid0(VALU_DEP_2) | instskip(NEXT) | instid1(VALU_DEP_2)
	v_add_co_u32 v6, vcc_lo, v7, v6
	v_add_co_ci_u32_e32 v6, vcc_lo, v8, v11, vcc_lo
	v_add_co_ci_u32_e32 v7, vcc_lo, 0, v12, vcc_lo
	v_add_co_u32 v8, vcc_lo, v0, v10
	v_add_co_ci_u32_e32 v9, vcc_lo, v1, v10, vcc_lo
	s_delay_alu instid0(VALU_DEP_4) | instskip(NEXT) | instid1(VALU_DEP_4)
	v_add_co_u32 v5, vcc_lo, v6, v5
	v_add_co_ci_u32_e32 v6, vcc_lo, 0, v7, vcc_lo
	s_delay_alu instid0(VALU_DEP_4) | instskip(NEXT) | instid1(VALU_DEP_3)
	v_xor_b32_e32 v11, v8, v10
	v_add_co_u32 v7, vcc_lo, v3, v5
	s_delay_alu instid0(VALU_DEP_3) | instskip(SKIP_1) | instid1(VALU_DEP_3)
	v_add_co_ci_u32_e32 v12, vcc_lo, v4, v6, vcc_lo
	v_xor_b32_e32 v9, v9, v10
	v_mul_hi_u32 v13, v11, v7
	s_delay_alu instid0(VALU_DEP_3) | instskip(NEXT) | instid1(VALU_DEP_3)
	v_mad_u64_u32 v[3:4], null, v11, v12, 0
	v_mad_u64_u32 v[5:6], null, v9, v7, 0
	;; [unrolled: 1-line block ×3, first 2 shown]
	s_delay_alu instid0(VALU_DEP_3) | instskip(NEXT) | instid1(VALU_DEP_4)
	v_add_co_u32 v3, vcc_lo, v13, v3
	v_add_co_ci_u32_e32 v4, vcc_lo, 0, v4, vcc_lo
	s_delay_alu instid0(VALU_DEP_2) | instskip(NEXT) | instid1(VALU_DEP_2)
	v_add_co_u32 v3, vcc_lo, v3, v5
	v_add_co_ci_u32_e32 v3, vcc_lo, v4, v6, vcc_lo
	v_add_co_ci_u32_e32 v4, vcc_lo, 0, v8, vcc_lo
	s_delay_alu instid0(VALU_DEP_2) | instskip(NEXT) | instid1(VALU_DEP_2)
	v_add_co_u32 v5, vcc_lo, v3, v7
	v_add_co_ci_u32_e32 v6, vcc_lo, 0, v4, vcc_lo
	s_delay_alu instid0(VALU_DEP_2) | instskip(SKIP_1) | instid1(VALU_DEP_3)
	v_mul_lo_u32 v7, s39, v5
	v_mad_u64_u32 v[3:4], null, s38, v5, 0
	v_mul_lo_u32 v8, s38, v6
	s_delay_alu instid0(VALU_DEP_2) | instskip(NEXT) | instid1(VALU_DEP_2)
	v_sub_co_u32 v3, vcc_lo, v11, v3
	v_add3_u32 v4, v4, v8, v7
	s_delay_alu instid0(VALU_DEP_1) | instskip(NEXT) | instid1(VALU_DEP_1)
	v_sub_nc_u32_e32 v7, v9, v4
	v_subrev_co_ci_u32_e64 v7, s0, s39, v7, vcc_lo
	v_add_co_u32 v8, s0, v5, 2
	s_delay_alu instid0(VALU_DEP_1) | instskip(SKIP_3) | instid1(VALU_DEP_3)
	v_add_co_ci_u32_e64 v11, s0, 0, v6, s0
	v_sub_co_u32 v12, s0, v3, s38
	v_sub_co_ci_u32_e32 v4, vcc_lo, v9, v4, vcc_lo
	v_subrev_co_ci_u32_e64 v7, s0, 0, v7, s0
	v_cmp_le_u32_e32 vcc_lo, s38, v12
	s_delay_alu instid0(VALU_DEP_3) | instskip(SKIP_1) | instid1(VALU_DEP_4)
	v_cmp_eq_u32_e64 s0, s39, v4
	v_cndmask_b32_e64 v9, 0, -1, vcc_lo
	v_cmp_le_u32_e32 vcc_lo, s39, v7
	v_cndmask_b32_e64 v12, 0, -1, vcc_lo
	v_cmp_le_u32_e32 vcc_lo, s38, v3
	v_cndmask_b32_e64 v3, 0, -1, vcc_lo
	v_cmp_le_u32_e32 vcc_lo, s39, v4
	v_cndmask_b32_e64 v13, 0, -1, vcc_lo
	v_cmp_eq_u32_e32 vcc_lo, s39, v7
	s_delay_alu instid0(VALU_DEP_2) | instskip(SKIP_3) | instid1(VALU_DEP_3)
	v_cndmask_b32_e64 v3, v13, v3, s0
	v_cndmask_b32_e32 v7, v12, v9, vcc_lo
	v_add_co_u32 v9, vcc_lo, v5, 1
	v_add_co_ci_u32_e32 v12, vcc_lo, 0, v6, vcc_lo
	v_cmp_ne_u32_e32 vcc_lo, 0, v7
	s_delay_alu instid0(VALU_DEP_2) | instskip(SKIP_2) | instid1(VALU_DEP_3)
	v_dual_cndmask_b32 v4, v12, v11 :: v_dual_cndmask_b32 v7, v9, v8
	v_cmp_ne_u32_e32 vcc_lo, 0, v3
	v_xor_b32_e32 v3, s36, v10
	v_dual_cndmask_b32 v5, v5, v7 :: v_dual_cndmask_b32 v4, v6, v4
	s_delay_alu instid0(VALU_DEP_1) | instskip(NEXT) | instid1(VALU_DEP_2)
	v_xor_b32_e32 v5, v5, v3
	v_xor_b32_e32 v4, v4, v3
	s_delay_alu instid0(VALU_DEP_2) | instskip(NEXT) | instid1(VALU_DEP_2)
	v_sub_co_u32 v8, vcc_lo, v5, v3
	v_sub_co_ci_u32_e32 v9, vcc_lo, v4, v3, vcc_lo
.LBB43_5:                               ;   in Loop: Header=BB43_3 Depth=1
	s_and_not1_saveexec_b32 s0, s40
	s_cbranch_execz .LBB43_7
; %bb.6:                                ;   in Loop: Header=BB43_3 Depth=1
	s_sub_i32 s37, 0, s2
	v_mov_b32_e32 v9, v2
	v_mul_lo_u32 v3, s37, v18
	s_delay_alu instid0(VALU_DEP_1) | instskip(NEXT) | instid1(VALU_DEP_1)
	v_mul_hi_u32 v3, v18, v3
	v_add_nc_u32_e32 v3, v18, v3
	s_delay_alu instid0(VALU_DEP_1) | instskip(NEXT) | instid1(VALU_DEP_1)
	v_mul_hi_u32 v3, v0, v3
	v_mul_lo_u32 v4, v3, s2
	v_add_nc_u32_e32 v5, 1, v3
	s_delay_alu instid0(VALU_DEP_2) | instskip(NEXT) | instid1(VALU_DEP_1)
	v_sub_nc_u32_e32 v4, v0, v4
	v_subrev_nc_u32_e32 v6, s2, v4
	v_cmp_le_u32_e32 vcc_lo, s2, v4
	s_delay_alu instid0(VALU_DEP_2) | instskip(NEXT) | instid1(VALU_DEP_1)
	v_dual_cndmask_b32 v4, v4, v6 :: v_dual_cndmask_b32 v3, v3, v5
	v_cmp_le_u32_e32 vcc_lo, s2, v4
	s_delay_alu instid0(VALU_DEP_2) | instskip(NEXT) | instid1(VALU_DEP_1)
	v_add_nc_u32_e32 v5, 1, v3
	v_cndmask_b32_e32 v8, v3, v5, vcc_lo
.LBB43_7:                               ;   in Loop: Header=BB43_3 Depth=1
	s_or_b32 exec_lo, exec_lo, s0
	s_delay_alu instid0(VALU_DEP_1) | instskip(SKIP_1) | instid1(VALU_DEP_1)
	v_or_b32_e32 v3, s17, v9
                                        ; implicit-def: $vgpr6_vgpr7
	s_mov_b32 s0, exec_lo
	v_cmpx_ne_u64_e32 0, v[2:3]
	s_xor_b32 s37, exec_lo, s0
	s_cbranch_execz .LBB43_9
; %bb.8:                                ;   in Loop: Header=BB43_3 Depth=1
	s_ashr_i32 s38, s17, 31
	s_delay_alu instid0(SALU_CYCLE_1) | instskip(SKIP_2) | instid1(SALU_CYCLE_1)
	s_add_u32 s40, s16, s38
	s_mov_b32 s39, s38
	s_addc_u32 s41, s17, s38
	s_xor_b64 s[40:41], s[40:41], s[38:39]
	s_delay_alu instid0(SALU_CYCLE_1) | instskip(SKIP_3) | instid1(VALU_DEP_1)
	v_cvt_f32_u32_e32 v3, s40
	v_cvt_f32_u32_e32 v4, s41
	s_sub_u32 s0, 0, s40
	s_subb_u32 s39, 0, s41
	v_fmac_f32_e32 v3, 0x4f800000, v4
	s_delay_alu instid0(VALU_DEP_1) | instskip(SKIP_2) | instid1(VALU_DEP_1)
	v_rcp_f32_e32 v3, v3
	s_waitcnt_depctr 0xfff
	v_mul_f32_e32 v3, 0x5f7ffffc, v3
	v_mul_f32_e32 v4, 0x2f800000, v3
	s_delay_alu instid0(VALU_DEP_1) | instskip(NEXT) | instid1(VALU_DEP_1)
	v_trunc_f32_e32 v4, v4
	v_fmac_f32_e32 v3, 0xcf800000, v4
	v_cvt_u32_f32_e32 v4, v4
	s_delay_alu instid0(VALU_DEP_2) | instskip(NEXT) | instid1(VALU_DEP_2)
	v_cvt_u32_f32_e32 v3, v3
	v_mul_lo_u32 v5, s0, v4
	s_delay_alu instid0(VALU_DEP_2) | instskip(SKIP_1) | instid1(VALU_DEP_2)
	v_mul_hi_u32 v6, s0, v3
	v_mul_lo_u32 v7, s39, v3
	v_add_nc_u32_e32 v5, v6, v5
	v_mul_lo_u32 v6, s0, v3
	s_delay_alu instid0(VALU_DEP_2) | instskip(NEXT) | instid1(VALU_DEP_2)
	v_add_nc_u32_e32 v5, v5, v7
	v_mul_hi_u32 v7, v3, v6
	s_delay_alu instid0(VALU_DEP_2)
	v_mul_lo_u32 v10, v3, v5
	v_mul_hi_u32 v11, v3, v5
	v_mul_hi_u32 v12, v4, v6
	v_mul_lo_u32 v6, v4, v6
	v_mul_hi_u32 v13, v4, v5
	v_mul_lo_u32 v5, v4, v5
	v_add_co_u32 v7, vcc_lo, v7, v10
	v_add_co_ci_u32_e32 v10, vcc_lo, 0, v11, vcc_lo
	s_delay_alu instid0(VALU_DEP_2) | instskip(NEXT) | instid1(VALU_DEP_2)
	v_add_co_u32 v6, vcc_lo, v7, v6
	v_add_co_ci_u32_e32 v6, vcc_lo, v10, v12, vcc_lo
	v_add_co_ci_u32_e32 v7, vcc_lo, 0, v13, vcc_lo
	v_ashrrev_i32_e32 v12, 31, v9
	s_delay_alu instid0(VALU_DEP_3) | instskip(NEXT) | instid1(VALU_DEP_3)
	v_add_co_u32 v5, vcc_lo, v6, v5
	v_add_co_ci_u32_e32 v6, vcc_lo, 0, v7, vcc_lo
	s_delay_alu instid0(VALU_DEP_2) | instskip(NEXT) | instid1(VALU_DEP_2)
	v_add_co_u32 v3, vcc_lo, v3, v5
	v_add_co_ci_u32_e32 v4, vcc_lo, v4, v6, vcc_lo
	s_delay_alu instid0(VALU_DEP_2) | instskip(SKIP_1) | instid1(VALU_DEP_3)
	v_mul_hi_u32 v5, s0, v3
	v_mul_lo_u32 v7, s39, v3
	v_mul_lo_u32 v6, s0, v4
	s_delay_alu instid0(VALU_DEP_1) | instskip(SKIP_1) | instid1(VALU_DEP_2)
	v_add_nc_u32_e32 v5, v5, v6
	v_mul_lo_u32 v6, s0, v3
	v_add_nc_u32_e32 v5, v5, v7
	s_delay_alu instid0(VALU_DEP_2) | instskip(NEXT) | instid1(VALU_DEP_2)
	v_mul_hi_u32 v7, v3, v6
	v_mul_lo_u32 v10, v3, v5
	v_mul_hi_u32 v11, v3, v5
	v_mul_hi_u32 v13, v4, v6
	v_mul_lo_u32 v6, v4, v6
	v_mul_hi_u32 v14, v4, v5
	v_mul_lo_u32 v5, v4, v5
	v_add_co_u32 v7, vcc_lo, v7, v10
	v_add_co_ci_u32_e32 v10, vcc_lo, 0, v11, vcc_lo
	s_delay_alu instid0(VALU_DEP_2) | instskip(NEXT) | instid1(VALU_DEP_2)
	v_add_co_u32 v6, vcc_lo, v7, v6
	v_add_co_ci_u32_e32 v6, vcc_lo, v10, v13, vcc_lo
	v_add_co_ci_u32_e32 v7, vcc_lo, 0, v14, vcc_lo
	v_add_co_u32 v10, vcc_lo, v8, v12
	v_add_co_ci_u32_e32 v11, vcc_lo, v9, v12, vcc_lo
	s_delay_alu instid0(VALU_DEP_4) | instskip(NEXT) | instid1(VALU_DEP_4)
	v_add_co_u32 v5, vcc_lo, v6, v5
	v_add_co_ci_u32_e32 v6, vcc_lo, 0, v7, vcc_lo
	s_delay_alu instid0(VALU_DEP_4) | instskip(NEXT) | instid1(VALU_DEP_3)
	v_xor_b32_e32 v7, v10, v12
	v_add_co_u32 v10, vcc_lo, v3, v5
	s_delay_alu instid0(VALU_DEP_3) | instskip(SKIP_1) | instid1(VALU_DEP_3)
	v_add_co_ci_u32_e32 v13, vcc_lo, v4, v6, vcc_lo
	v_xor_b32_e32 v14, v11, v12
	v_mul_hi_u32 v15, v7, v10
	s_delay_alu instid0(VALU_DEP_3) | instskip(NEXT) | instid1(VALU_DEP_3)
	v_mad_u64_u32 v[3:4], null, v7, v13, 0
	v_mad_u64_u32 v[5:6], null, v14, v10, 0
	;; [unrolled: 1-line block ×3, first 2 shown]
	s_delay_alu instid0(VALU_DEP_3) | instskip(NEXT) | instid1(VALU_DEP_4)
	v_add_co_u32 v3, vcc_lo, v15, v3
	v_add_co_ci_u32_e32 v4, vcc_lo, 0, v4, vcc_lo
	s_delay_alu instid0(VALU_DEP_2) | instskip(NEXT) | instid1(VALU_DEP_2)
	v_add_co_u32 v3, vcc_lo, v3, v5
	v_add_co_ci_u32_e32 v3, vcc_lo, v4, v6, vcc_lo
	v_add_co_ci_u32_e32 v4, vcc_lo, 0, v11, vcc_lo
	s_delay_alu instid0(VALU_DEP_2) | instskip(NEXT) | instid1(VALU_DEP_2)
	v_add_co_u32 v5, vcc_lo, v3, v10
	v_add_co_ci_u32_e32 v6, vcc_lo, 0, v4, vcc_lo
	s_delay_alu instid0(VALU_DEP_2) | instskip(SKIP_1) | instid1(VALU_DEP_3)
	v_mul_lo_u32 v10, s41, v5
	v_mad_u64_u32 v[3:4], null, s40, v5, 0
	v_mul_lo_u32 v11, s40, v6
	s_delay_alu instid0(VALU_DEP_2) | instskip(NEXT) | instid1(VALU_DEP_2)
	v_sub_co_u32 v3, vcc_lo, v7, v3
	v_add3_u32 v4, v4, v11, v10
	s_delay_alu instid0(VALU_DEP_1) | instskip(NEXT) | instid1(VALU_DEP_1)
	v_sub_nc_u32_e32 v10, v14, v4
	v_subrev_co_ci_u32_e64 v7, s0, s41, v10, vcc_lo
	v_add_co_u32 v10, s0, v5, 2
	s_delay_alu instid0(VALU_DEP_1) | instskip(SKIP_3) | instid1(VALU_DEP_3)
	v_add_co_ci_u32_e64 v11, s0, 0, v6, s0
	v_sub_co_u32 v13, s0, v3, s40
	v_sub_co_ci_u32_e32 v4, vcc_lo, v14, v4, vcc_lo
	v_subrev_co_ci_u32_e64 v7, s0, 0, v7, s0
	v_cmp_le_u32_e32 vcc_lo, s40, v13
	s_delay_alu instid0(VALU_DEP_3) | instskip(SKIP_1) | instid1(VALU_DEP_4)
	v_cmp_eq_u32_e64 s0, s41, v4
	v_cndmask_b32_e64 v13, 0, -1, vcc_lo
	v_cmp_le_u32_e32 vcc_lo, s41, v7
	v_cndmask_b32_e64 v14, 0, -1, vcc_lo
	v_cmp_le_u32_e32 vcc_lo, s40, v3
	;; [unrolled: 2-line block ×3, first 2 shown]
	v_cndmask_b32_e64 v15, 0, -1, vcc_lo
	v_cmp_eq_u32_e32 vcc_lo, s41, v7
	s_delay_alu instid0(VALU_DEP_2) | instskip(SKIP_3) | instid1(VALU_DEP_3)
	v_cndmask_b32_e64 v3, v15, v3, s0
	v_cndmask_b32_e32 v7, v14, v13, vcc_lo
	v_add_co_u32 v13, vcc_lo, v5, 1
	v_add_co_ci_u32_e32 v14, vcc_lo, 0, v6, vcc_lo
	v_cmp_ne_u32_e32 vcc_lo, 0, v7
	s_delay_alu instid0(VALU_DEP_2) | instskip(SKIP_2) | instid1(VALU_DEP_3)
	v_dual_cndmask_b32 v4, v14, v11 :: v_dual_cndmask_b32 v7, v13, v10
	v_cmp_ne_u32_e32 vcc_lo, 0, v3
	v_xor_b32_e32 v3, s38, v12
	v_dual_cndmask_b32 v5, v5, v7 :: v_dual_cndmask_b32 v4, v6, v4
	s_delay_alu instid0(VALU_DEP_1) | instskip(NEXT) | instid1(VALU_DEP_2)
	v_xor_b32_e32 v5, v5, v3
	v_xor_b32_e32 v4, v4, v3
	s_delay_alu instid0(VALU_DEP_2) | instskip(NEXT) | instid1(VALU_DEP_2)
	v_sub_co_u32 v6, vcc_lo, v5, v3
	v_sub_co_ci_u32_e32 v7, vcc_lo, v4, v3, vcc_lo
.LBB43_9:                               ;   in Loop: Header=BB43_3 Depth=1
	s_and_not1_saveexec_b32 s0, s37
	s_cbranch_execz .LBB43_11
; %bb.10:                               ;   in Loop: Header=BB43_3 Depth=1
	v_cvt_f32_u32_e32 v3, s16
	s_sub_i32 s37, 0, s16
	v_mov_b32_e32 v7, v2
	s_delay_alu instid0(VALU_DEP_2) | instskip(SKIP_2) | instid1(VALU_DEP_1)
	v_rcp_iflag_f32_e32 v3, v3
	s_waitcnt_depctr 0xfff
	v_mul_f32_e32 v3, 0x4f7ffffe, v3
	v_cvt_u32_f32_e32 v3, v3
	s_delay_alu instid0(VALU_DEP_1) | instskip(NEXT) | instid1(VALU_DEP_1)
	v_mul_lo_u32 v4, s37, v3
	v_mul_hi_u32 v4, v3, v4
	s_delay_alu instid0(VALU_DEP_1) | instskip(NEXT) | instid1(VALU_DEP_1)
	v_add_nc_u32_e32 v3, v3, v4
	v_mul_hi_u32 v3, v8, v3
	s_delay_alu instid0(VALU_DEP_1) | instskip(SKIP_1) | instid1(VALU_DEP_2)
	v_mul_lo_u32 v4, v3, s16
	v_add_nc_u32_e32 v5, 1, v3
	v_sub_nc_u32_e32 v4, v8, v4
	s_delay_alu instid0(VALU_DEP_1) | instskip(SKIP_1) | instid1(VALU_DEP_2)
	v_subrev_nc_u32_e32 v6, s16, v4
	v_cmp_le_u32_e32 vcc_lo, s16, v4
	v_dual_cndmask_b32 v4, v4, v6 :: v_dual_cndmask_b32 v3, v3, v5
	s_delay_alu instid0(VALU_DEP_1) | instskip(NEXT) | instid1(VALU_DEP_2)
	v_cmp_le_u32_e32 vcc_lo, s16, v4
	v_add_nc_u32_e32 v5, 1, v3
	s_delay_alu instid0(VALU_DEP_1)
	v_cndmask_b32_e32 v6, v3, v5, vcc_lo
.LBB43_11:                              ;   in Loop: Header=BB43_3 Depth=1
	s_or_b32 exec_lo, exec_lo, s0
	v_mul_lo_u32 v5, v9, s2
	v_mul_lo_u32 v12, v8, s3
	v_mad_u64_u32 v[3:4], null, v8, s2, 0
	v_mul_lo_u32 v13, v7, s16
	v_mul_lo_u32 v14, v6, s17
	v_mad_u64_u32 v[10:11], null, v6, s16, 0
	s_mov_b64 s[38:39], s[34:35]
	s_mov_b64 s[40:41], s[30:31]
	s_delay_alu instid0(VALU_DEP_4) | instskip(SKIP_2) | instid1(VALU_DEP_3)
	v_add3_u32 v5, v4, v12, v5
	v_sub_co_u32 v4, vcc_lo, v0, v3
	s_mov_b64 s[42:43], s[28:29]
	v_add3_u32 v3, v11, v14, v13
	s_delay_alu instid0(VALU_DEP_3) | instskip(NEXT) | instid1(VALU_DEP_3)
	v_sub_co_ci_u32_e32 v5, vcc_lo, v1, v5, vcc_lo
	v_mul_lo_u32 v11, s11, v4
	v_mul_lo_u32 v12, s15, v4
	v_mad_u64_u32 v[14:15], null, s14, v4, 0
	s_delay_alu instid0(VALU_DEP_4)
	v_mul_lo_u32 v13, s10, v5
	v_mul_lo_u32 v16, s14, v5
	v_mad_u64_u32 v[21:22], null, s10, v4, 0
	v_sub_co_u32 v19, vcc_lo, v8, v10
	v_sub_co_ci_u32_e32 v20, vcc_lo, v9, v3, vcc_lo
	s_and_b32 vcc_lo, exec_lo, s33
	s_delay_alu instid0(VALU_DEP_4) | instskip(NEXT) | instid1(VALU_DEP_4)
	v_add3_u32 v15, v15, v16, v12
	v_add3_u32 v22, v22, v13, v11
	v_mul_lo_u32 v3, s9, v19
	v_mul_lo_u32 v8, s8, v20
	;; [unrolled: 1-line block ×3, first 2 shown]
	v_mad_u64_u32 v[12:13], null, s12, v19, v[14:15]
	v_mul_lo_u32 v10, s13, v19
	v_mad_u64_u32 v[16:17], null, s8, v19, v[21:22]
	s_delay_alu instid0(VALU_DEP_2) | instskip(NEXT) | instid1(VALU_DEP_2)
	v_add3_u32 v13, v10, v13, v9
	v_add3_u32 v17, v3, v17, v8
	v_mov_b32_e32 v8, v12
	s_delay_alu instid0(VALU_DEP_3) | instskip(NEXT) | instid1(VALU_DEP_3)
	v_dual_mov_b32 v10, v16 :: v_dual_mov_b32 v9, v13
	v_mov_b32_e32 v11, v17
	s_cbranch_vccnz .LBB43_28
.LBB43_12:                              ;   in Loop: Header=BB43_3 Depth=1
	v_sub_co_u32 v6, vcc_lo, v4, v19
	v_sub_co_ci_u32_e32 v7, vcc_lo, v5, v20, vcc_lo
	v_dual_mov_b32 v3, 0 :: v_dual_mov_b32 v10, 0
	v_dual_mov_b32 v9, 0 :: v_dual_mov_b32 v8, 0
	s_mov_b32 s0, exec_lo
	s_delay_alu instid0(VALU_DEP_3)
	v_cmpx_ge_i64_e64 s[4:5], v[6:7]
	s_cbranch_execz .LBB43_22
; %bb.13:                               ;   in Loop: Header=BB43_3 Depth=1
	v_dual_mov_b32 v14, 0 :: v_dual_mov_b32 v11, 0
	v_dual_mov_b32 v10, 0 :: v_dual_mov_b32 v3, 0
	s_mov_b32 s37, exec_lo
	v_cmpx_gt_i64_e64 s[18:19], v[4:5]
	s_cbranch_execz .LBB43_21
; %bb.14:                               ;   in Loop: Header=BB43_3 Depth=1
	v_lshlrev_b64 v[8:9], 1, v[16:17]
	v_mov_b32_e32 v14, 0
	s_delay_alu instid0(VALU_DEP_2) | instskip(NEXT) | instid1(VALU_DEP_3)
	v_add_co_u32 v8, vcc_lo, s20, v8
	v_add_co_ci_u32_e32 v9, vcc_lo, s21, v9, vcc_lo
	v_add_co_u32 v10, vcc_lo, v4, 1
	v_add_co_ci_u32_e32 v11, vcc_lo, 0, v5, vcc_lo
	global_load_u16 v3, v[8:9], off
	v_cmp_gt_i64_e32 vcc_lo, s[18:19], v[10:11]
	v_dual_mov_b32 v10, 0 :: v_dual_mov_b32 v11, 0
	s_and_saveexec_b32 s38, vcc_lo
	s_cbranch_execz .LBB43_20
; %bb.15:                               ;   in Loop: Header=BB43_3 Depth=1
	s_lshl_b64 s[40:41], s[10:11], 1
	s_delay_alu instid0(SALU_CYCLE_1)
	v_add_co_u32 v10, vcc_lo, v8, s40
	v_add_co_ci_u32_e32 v11, vcc_lo, s41, v9, vcc_lo
	v_add_co_u32 v14, vcc_lo, v4, 2
	v_add_co_ci_u32_e32 v15, vcc_lo, 0, v5, vcc_lo
	global_load_u16 v10, v[10:11], off
	v_mov_b32_e32 v11, 0
	v_cmp_gt_i64_e32 vcc_lo, s[18:19], v[14:15]
	v_mov_b32_e32 v14, 0
	s_and_saveexec_b32 s39, vcc_lo
	s_cbranch_execz .LBB43_19
; %bb.16:                               ;   in Loop: Header=BB43_3 Depth=1
	v_add_co_u32 v14, vcc_lo, v8, s24
	v_add_co_ci_u32_e32 v15, vcc_lo, s25, v9, vcc_lo
	global_load_u16 v11, v[14:15], off
	v_add_co_u32 v14, vcc_lo, v4, 3
	v_add_co_ci_u32_e32 v15, vcc_lo, 0, v5, vcc_lo
	s_delay_alu instid0(VALU_DEP_1)
	v_cmp_gt_i64_e32 vcc_lo, s[18:19], v[14:15]
	v_mov_b32_e32 v14, 0
	s_and_saveexec_b32 s40, vcc_lo
	s_cbranch_execz .LBB43_18
; %bb.17:                               ;   in Loop: Header=BB43_3 Depth=1
	v_add_co_u32 v8, vcc_lo, v8, s51
	v_add_co_ci_u32_e32 v9, vcc_lo, s52, v9, vcc_lo
	global_load_u16 v14, v[8:9], off
.LBB43_18:                              ;   in Loop: Header=BB43_3 Depth=1
	s_or_b32 exec_lo, exec_lo, s40
.LBB43_19:                              ;   in Loop: Header=BB43_3 Depth=1
	s_delay_alu instid0(SALU_CYCLE_1)
	s_or_b32 exec_lo, exec_lo, s39
.LBB43_20:                              ;   in Loop: Header=BB43_3 Depth=1
	s_delay_alu instid0(SALU_CYCLE_1)
	s_or_b32 exec_lo, exec_lo, s38
.LBB43_21:                              ;   in Loop: Header=BB43_3 Depth=1
	s_delay_alu instid0(SALU_CYCLE_1)
	s_or_b32 exec_lo, exec_lo, s37
	v_add_co_u32 v8, vcc_lo, v6, 1
	v_add_co_ci_u32_e32 v9, vcc_lo, 0, v7, vcc_lo
	v_add_co_u32 v15, vcc_lo, v6, 2
	v_add_co_ci_u32_e32 v16, vcc_lo, 0, v7, vcc_lo
	v_add_co_u32 v6, vcc_lo, v6, 3
	v_add_co_ci_u32_e32 v7, vcc_lo, 0, v7, vcc_lo
	v_cmp_ge_i64_e32 vcc_lo, s[4:5], v[8:9]
	s_waitcnt vmcnt(0)
	v_cndmask_b32_e32 v10, 0, v10, vcc_lo
	v_cmp_ge_i64_e32 vcc_lo, s[4:5], v[15:16]
	v_cndmask_b32_e32 v9, 0, v11, vcc_lo
	v_cmp_ge_i64_e32 vcc_lo, s[4:5], v[6:7]
	v_cndmask_b32_e32 v8, 0, v14, vcc_lo
.LBB43_22:                              ;   in Loop: Header=BB43_3 Depth=1
	s_or_b32 exec_lo, exec_lo, s0
	s_delay_alu instid0(SALU_CYCLE_1)
	s_mov_b32 s0, exec_lo
	v_cmpx_gt_i64_e64 s[18:19], v[4:5]
	s_cbranch_execz .LBB43_2
; %bb.23:                               ;   in Loop: Header=BB43_3 Depth=1
	v_lshlrev_b64 v[6:7], 1, v[12:13]
	v_add_co_u32 v11, vcc_lo, v4, 1
	v_add_co_ci_u32_e32 v12, vcc_lo, 0, v5, vcc_lo
	s_mov_b32 s37, exec_lo
	s_delay_alu instid0(VALU_DEP_3) | instskip(NEXT) | instid1(VALU_DEP_4)
	v_add_co_u32 v6, vcc_lo, s22, v6
	v_add_co_ci_u32_e32 v7, vcc_lo, s23, v7, vcc_lo
	global_store_b16 v[6:7], v3, off
	v_cmpx_gt_i64_e64 s[18:19], v[11:12]
	s_xor_b32 s37, exec_lo, s37
	s_cbranch_execz .LBB43_2
; %bb.24:                               ;   in Loop: Header=BB43_3 Depth=1
	v_add_co_u32 v11, vcc_lo, v4, 2
	s_lshl_b64 s[38:39], s[14:15], 1
	v_add_co_ci_u32_e32 v12, vcc_lo, 0, v5, vcc_lo
	v_add_co_u32 v13, vcc_lo, v6, s38
	v_add_co_ci_u32_e32 v14, vcc_lo, s39, v7, vcc_lo
	s_mov_b32 s37, exec_lo
	global_store_b16 v[13:14], v10, off
	v_cmpx_gt_i64_e64 s[18:19], v[11:12]
	s_xor_b32 s37, exec_lo, s37
	s_cbranch_execz .LBB43_2
; %bb.25:                               ;   in Loop: Header=BB43_3 Depth=1
	v_add_co_u32 v3, vcc_lo, v4, 3
	v_add_co_ci_u32_e32 v4, vcc_lo, 0, v5, vcc_lo
	v_add_co_u32 v10, vcc_lo, v6, s26
	v_add_co_ci_u32_e32 v11, vcc_lo, s27, v7, vcc_lo
	s_mov_b32 s37, exec_lo
	global_store_b16 v[10:11], v9, off
	v_cmpx_gt_i64_e64 s[18:19], v[3:4]
	s_xor_b32 s37, exec_lo, s37
	s_cbranch_execz .LBB43_2
; %bb.26:                               ;   in Loop: Header=BB43_3 Depth=1
	v_add_co_u32 v3, vcc_lo, v6, s53
	v_add_co_ci_u32_e32 v4, vcc_lo, s54, v7, vcc_lo
	global_store_b16 v[3:4], v8, off
	s_branch .LBB43_2
.LBB43_27:                              ;   in Loop: Header=BB43_28 Depth=2
	s_or_b32 exec_lo, exec_lo, s0
	s_delay_alu instid0(VALU_DEP_1) | instskip(NEXT) | instid1(VALU_DEP_2)
	v_mul_lo_u32 v3, v15, s44
	v_mul_lo_u32 v16, v14, s45
	s_load_b64 s[46:47], s[40:41], 0xc8
	v_mad_u64_u32 v[12:13], null, v14, s44, 0
	s_load_b64 s[44:45], s[42:43], 0x0
	s_add_u32 s42, s42, -8
	s_addc_u32 s43, s43, -1
	s_add_u32 s40, s40, -8
	s_addc_u32 s41, s41, -1
	s_add_u32 s38, s38, -1
	s_delay_alu instid0(VALU_DEP_1) | instskip(SKIP_2) | instid1(VALU_DEP_2)
	v_add3_u32 v3, v13, v16, v3
	v_sub_co_u32 v6, vcc_lo, v6, v12
	s_addc_u32 s39, s39, -1
	v_sub_co_ci_u32_e32 v3, vcc_lo, v7, v3, vcc_lo
	v_cmp_lt_i64_e64 s0, s[38:39], 1
	s_waitcnt lgkmcnt(0)
	s_delay_alu instid0(VALU_DEP_2)
	v_mul_lo_u32 v7, s46, v3
	v_mul_lo_u32 v21, s47, v6
	v_mad_u64_u32 v[16:17], null, s46, v6, v[10:11]
	v_mul_lo_u32 v3, s44, v3
	v_mul_lo_u32 v10, s45, v6
	v_mad_u64_u32 v[12:13], null, s44, v6, v[8:9]
	s_and_b32 vcc_lo, exec_lo, s0
	s_delay_alu instid0(VALU_DEP_4) | instskip(SKIP_1) | instid1(VALU_DEP_3)
	v_add3_u32 v17, v21, v17, v7
	v_dual_mov_b32 v6, v14 :: v_dual_mov_b32 v7, v15
	v_add3_u32 v13, v10, v13, v3
	s_delay_alu instid0(VALU_DEP_4) | instskip(NEXT) | instid1(VALU_DEP_4)
	v_mov_b32_e32 v8, v12
	v_dual_mov_b32 v10, v16 :: v_dual_mov_b32 v11, v17
	s_delay_alu instid0(VALU_DEP_3)
	v_mov_b32_e32 v9, v13
	s_cbranch_vccnz .LBB43_12
.LBB43_28:                              ;   Parent Loop BB43_3 Depth=1
                                        ; =>  This Inner Loop Header: Depth=2
	s_load_b64 s[44:45], s[40:41], 0x0
                                        ; implicit-def: $vgpr14_vgpr15
	s_mov_b32 s0, exec_lo
	s_waitcnt lgkmcnt(0)
	v_or_b32_e32 v3, s45, v7
	s_delay_alu instid0(VALU_DEP_1)
	v_cmpx_ne_u64_e32 0, v[2:3]
	s_xor_b32 s37, exec_lo, s0
	s_cbranch_execz .LBB43_30
; %bb.29:                               ;   in Loop: Header=BB43_28 Depth=2
	s_ashr_i32 s46, s45, 31
	s_delay_alu instid0(SALU_CYCLE_1) | instskip(SKIP_2) | instid1(SALU_CYCLE_1)
	s_add_u32 s48, s44, s46
	s_mov_b32 s47, s46
	s_addc_u32 s49, s45, s46
	s_xor_b64 s[48:49], s[48:49], s[46:47]
	s_delay_alu instid0(SALU_CYCLE_1) | instskip(SKIP_3) | instid1(VALU_DEP_1)
	v_cvt_f32_u32_e32 v3, s48
	v_cvt_f32_u32_e32 v12, s49
	s_sub_u32 s0, 0, s48
	s_subb_u32 s47, 0, s49
	v_fmac_f32_e32 v3, 0x4f800000, v12
	s_delay_alu instid0(VALU_DEP_1) | instskip(SKIP_2) | instid1(VALU_DEP_1)
	v_rcp_f32_e32 v3, v3
	s_waitcnt_depctr 0xfff
	v_mul_f32_e32 v3, 0x5f7ffffc, v3
	v_mul_f32_e32 v12, 0x2f800000, v3
	s_delay_alu instid0(VALU_DEP_1) | instskip(NEXT) | instid1(VALU_DEP_1)
	v_trunc_f32_e32 v12, v12
	v_fmac_f32_e32 v3, 0xcf800000, v12
	v_cvt_u32_f32_e32 v12, v12
	s_delay_alu instid0(VALU_DEP_2) | instskip(NEXT) | instid1(VALU_DEP_2)
	v_cvt_u32_f32_e32 v3, v3
	v_mul_lo_u32 v13, s0, v12
	s_delay_alu instid0(VALU_DEP_2) | instskip(SKIP_1) | instid1(VALU_DEP_2)
	v_mul_hi_u32 v14, s0, v3
	v_mul_lo_u32 v15, s47, v3
	v_add_nc_u32_e32 v13, v14, v13
	v_mul_lo_u32 v14, s0, v3
	s_delay_alu instid0(VALU_DEP_2) | instskip(NEXT) | instid1(VALU_DEP_2)
	v_add_nc_u32_e32 v13, v13, v15
	v_mul_hi_u32 v15, v3, v14
	s_delay_alu instid0(VALU_DEP_2)
	v_mul_lo_u32 v16, v3, v13
	v_mul_hi_u32 v17, v3, v13
	v_mul_hi_u32 v21, v12, v14
	v_mul_lo_u32 v14, v12, v14
	v_mul_hi_u32 v22, v12, v13
	v_mul_lo_u32 v13, v12, v13
	v_add_co_u32 v15, vcc_lo, v15, v16
	v_add_co_ci_u32_e32 v16, vcc_lo, 0, v17, vcc_lo
	s_delay_alu instid0(VALU_DEP_2) | instskip(NEXT) | instid1(VALU_DEP_2)
	v_add_co_u32 v14, vcc_lo, v15, v14
	v_add_co_ci_u32_e32 v14, vcc_lo, v16, v21, vcc_lo
	v_add_co_ci_u32_e32 v15, vcc_lo, 0, v22, vcc_lo
	v_ashrrev_i32_e32 v21, 31, v7
	s_delay_alu instid0(VALU_DEP_3) | instskip(NEXT) | instid1(VALU_DEP_3)
	v_add_co_u32 v13, vcc_lo, v14, v13
	v_add_co_ci_u32_e32 v14, vcc_lo, 0, v15, vcc_lo
	s_delay_alu instid0(VALU_DEP_2) | instskip(NEXT) | instid1(VALU_DEP_2)
	v_add_co_u32 v3, vcc_lo, v3, v13
	v_add_co_ci_u32_e32 v12, vcc_lo, v12, v14, vcc_lo
	s_delay_alu instid0(VALU_DEP_2) | instskip(SKIP_1) | instid1(VALU_DEP_3)
	v_mul_hi_u32 v13, s0, v3
	v_mul_lo_u32 v15, s47, v3
	v_mul_lo_u32 v14, s0, v12
	s_delay_alu instid0(VALU_DEP_1) | instskip(SKIP_1) | instid1(VALU_DEP_2)
	v_add_nc_u32_e32 v13, v13, v14
	v_mul_lo_u32 v14, s0, v3
	v_add_nc_u32_e32 v13, v13, v15
	s_delay_alu instid0(VALU_DEP_2) | instskip(NEXT) | instid1(VALU_DEP_2)
	v_mul_hi_u32 v15, v3, v14
	v_mul_lo_u32 v16, v3, v13
	v_mul_hi_u32 v17, v3, v13
	v_mul_hi_u32 v22, v12, v14
	v_mul_lo_u32 v14, v12, v14
	v_mul_hi_u32 v23, v12, v13
	v_mul_lo_u32 v13, v12, v13
	v_add_co_u32 v15, vcc_lo, v15, v16
	v_add_co_ci_u32_e32 v16, vcc_lo, 0, v17, vcc_lo
	s_delay_alu instid0(VALU_DEP_2) | instskip(NEXT) | instid1(VALU_DEP_2)
	v_add_co_u32 v14, vcc_lo, v15, v14
	v_add_co_ci_u32_e32 v14, vcc_lo, v16, v22, vcc_lo
	v_add_co_ci_u32_e32 v15, vcc_lo, 0, v23, vcc_lo
	v_add_co_u32 v16, vcc_lo, v6, v21
	v_add_co_ci_u32_e32 v17, vcc_lo, v7, v21, vcc_lo
	s_delay_alu instid0(VALU_DEP_4) | instskip(NEXT) | instid1(VALU_DEP_4)
	v_add_co_u32 v13, vcc_lo, v14, v13
	v_add_co_ci_u32_e32 v14, vcc_lo, 0, v15, vcc_lo
	s_delay_alu instid0(VALU_DEP_4) | instskip(NEXT) | instid1(VALU_DEP_3)
	v_xor_b32_e32 v22, v16, v21
	v_add_co_u32 v3, vcc_lo, v3, v13
	s_delay_alu instid0(VALU_DEP_3) | instskip(SKIP_1) | instid1(VALU_DEP_3)
	v_add_co_ci_u32_e32 v23, vcc_lo, v12, v14, vcc_lo
	v_xor_b32_e32 v24, v17, v21
	v_mul_hi_u32 v25, v22, v3
	s_delay_alu instid0(VALU_DEP_3) | instskip(NEXT) | instid1(VALU_DEP_3)
	v_mad_u64_u32 v[12:13], null, v22, v23, 0
	v_mad_u64_u32 v[14:15], null, v24, v3, 0
	v_mad_u64_u32 v[16:17], null, v24, v23, 0
	s_delay_alu instid0(VALU_DEP_3) | instskip(NEXT) | instid1(VALU_DEP_4)
	v_add_co_u32 v3, vcc_lo, v25, v12
	v_add_co_ci_u32_e32 v12, vcc_lo, 0, v13, vcc_lo
	s_delay_alu instid0(VALU_DEP_2) | instskip(NEXT) | instid1(VALU_DEP_2)
	v_add_co_u32 v3, vcc_lo, v3, v14
	v_add_co_ci_u32_e32 v3, vcc_lo, v12, v15, vcc_lo
	v_add_co_ci_u32_e32 v12, vcc_lo, 0, v17, vcc_lo
	s_delay_alu instid0(VALU_DEP_2) | instskip(NEXT) | instid1(VALU_DEP_2)
	v_add_co_u32 v3, vcc_lo, v3, v16
	v_add_co_ci_u32_e32 v14, vcc_lo, 0, v12, vcc_lo
	s_delay_alu instid0(VALU_DEP_2) | instskip(SKIP_1) | instid1(VALU_DEP_3)
	v_mul_lo_u32 v15, s49, v3
	v_mad_u64_u32 v[12:13], null, s48, v3, 0
	v_mul_lo_u32 v16, s48, v14
	s_delay_alu instid0(VALU_DEP_2) | instskip(NEXT) | instid1(VALU_DEP_2)
	v_sub_co_u32 v12, vcc_lo, v22, v12
	v_add3_u32 v13, v13, v16, v15
	s_delay_alu instid0(VALU_DEP_1) | instskip(NEXT) | instid1(VALU_DEP_1)
	v_sub_nc_u32_e32 v15, v24, v13
	v_subrev_co_ci_u32_e64 v15, s0, s49, v15, vcc_lo
	v_add_co_u32 v16, s0, v3, 2
	s_delay_alu instid0(VALU_DEP_1) | instskip(SKIP_3) | instid1(VALU_DEP_3)
	v_add_co_ci_u32_e64 v17, s0, 0, v14, s0
	v_sub_co_u32 v22, s0, v12, s48
	v_sub_co_ci_u32_e32 v13, vcc_lo, v24, v13, vcc_lo
	v_subrev_co_ci_u32_e64 v15, s0, 0, v15, s0
	v_cmp_le_u32_e32 vcc_lo, s48, v22
	s_delay_alu instid0(VALU_DEP_3) | instskip(SKIP_1) | instid1(VALU_DEP_4)
	v_cmp_eq_u32_e64 s0, s49, v13
	v_cndmask_b32_e64 v22, 0, -1, vcc_lo
	v_cmp_le_u32_e32 vcc_lo, s49, v15
	v_cndmask_b32_e64 v23, 0, -1, vcc_lo
	v_cmp_le_u32_e32 vcc_lo, s48, v12
	;; [unrolled: 2-line block ×3, first 2 shown]
	v_cndmask_b32_e64 v24, 0, -1, vcc_lo
	v_cmp_eq_u32_e32 vcc_lo, s49, v15
	s_delay_alu instid0(VALU_DEP_2) | instskip(SKIP_3) | instid1(VALU_DEP_3)
	v_cndmask_b32_e64 v12, v24, v12, s0
	v_cndmask_b32_e32 v15, v23, v22, vcc_lo
	v_add_co_u32 v22, vcc_lo, v3, 1
	v_add_co_ci_u32_e32 v23, vcc_lo, 0, v14, vcc_lo
	v_cmp_ne_u32_e32 vcc_lo, 0, v15
	s_delay_alu instid0(VALU_DEP_2) | instskip(NEXT) | instid1(VALU_DEP_4)
	v_cndmask_b32_e32 v13, v23, v17, vcc_lo
	v_cndmask_b32_e32 v15, v22, v16, vcc_lo
	v_cmp_ne_u32_e32 vcc_lo, 0, v12
	v_xor_b32_e32 v12, s46, v21
	s_delay_alu instid0(VALU_DEP_3) | instskip(SKIP_1) | instid1(VALU_DEP_2)
	v_cndmask_b32_e32 v3, v3, v15, vcc_lo
	v_cndmask_b32_e32 v13, v14, v13, vcc_lo
	v_xor_b32_e32 v3, v3, v12
	s_delay_alu instid0(VALU_DEP_2) | instskip(NEXT) | instid1(VALU_DEP_2)
	v_xor_b32_e32 v13, v13, v12
	v_sub_co_u32 v14, vcc_lo, v3, v12
	s_delay_alu instid0(VALU_DEP_2)
	v_sub_co_ci_u32_e32 v15, vcc_lo, v13, v12, vcc_lo
.LBB43_30:                              ;   in Loop: Header=BB43_28 Depth=2
	s_and_not1_saveexec_b32 s0, s37
	s_cbranch_execz .LBB43_27
; %bb.31:                               ;   in Loop: Header=BB43_28 Depth=2
	v_cvt_f32_u32_e32 v3, s44
	s_sub_i32 s37, 0, s44
	v_mov_b32_e32 v15, v2
	s_delay_alu instid0(VALU_DEP_2) | instskip(SKIP_2) | instid1(VALU_DEP_1)
	v_rcp_iflag_f32_e32 v3, v3
	s_waitcnt_depctr 0xfff
	v_mul_f32_e32 v3, 0x4f7ffffe, v3
	v_cvt_u32_f32_e32 v3, v3
	s_delay_alu instid0(VALU_DEP_1) | instskip(NEXT) | instid1(VALU_DEP_1)
	v_mul_lo_u32 v12, s37, v3
	v_mul_hi_u32 v12, v3, v12
	s_delay_alu instid0(VALU_DEP_1) | instskip(NEXT) | instid1(VALU_DEP_1)
	v_add_nc_u32_e32 v3, v3, v12
	v_mul_hi_u32 v3, v6, v3
	s_delay_alu instid0(VALU_DEP_1) | instskip(SKIP_1) | instid1(VALU_DEP_2)
	v_mul_lo_u32 v12, v3, s44
	v_add_nc_u32_e32 v13, 1, v3
	v_sub_nc_u32_e32 v12, v6, v12
	s_delay_alu instid0(VALU_DEP_1) | instskip(SKIP_1) | instid1(VALU_DEP_2)
	v_subrev_nc_u32_e32 v14, s44, v12
	v_cmp_le_u32_e32 vcc_lo, s44, v12
	v_dual_cndmask_b32 v12, v12, v14 :: v_dual_cndmask_b32 v3, v3, v13
	s_delay_alu instid0(VALU_DEP_1) | instskip(NEXT) | instid1(VALU_DEP_2)
	v_cmp_le_u32_e32 vcc_lo, s44, v12
	v_add_nc_u32_e32 v13, 1, v3
	s_delay_alu instid0(VALU_DEP_1)
	v_cndmask_b32_e32 v14, v3, v13, vcc_lo
	s_branch .LBB43_27
.LBB43_32:
	s_nop 0
	s_sendmsg sendmsg(MSG_DEALLOC_VGPRS)
	s_endpgm
	.section	.rodata,"a",@progbits
	.p2align	6, 0x0
	.amdhsa_kernel _ZN2at6native16triu_tril_kernelIN3c104HalfElLb0ELi4ELb0EEEvNS_4cuda6detail10TensorInfoIT_T0_EENS6_IKS7_S8_EEllS8_
		.amdhsa_group_segment_fixed_size 0
		.amdhsa_private_segment_fixed_size 0
		.amdhsa_kernarg_size 1112
		.amdhsa_user_sgpr_count 15
		.amdhsa_user_sgpr_dispatch_ptr 0
		.amdhsa_user_sgpr_queue_ptr 0
		.amdhsa_user_sgpr_kernarg_segment_ptr 1
		.amdhsa_user_sgpr_dispatch_id 0
		.amdhsa_user_sgpr_private_segment_size 0
		.amdhsa_wavefront_size32 1
		.amdhsa_uses_dynamic_stack 0
		.amdhsa_enable_private_segment 0
		.amdhsa_system_sgpr_workgroup_id_x 1
		.amdhsa_system_sgpr_workgroup_id_y 0
		.amdhsa_system_sgpr_workgroup_id_z 0
		.amdhsa_system_sgpr_workgroup_info 0
		.amdhsa_system_vgpr_workitem_id 0
		.amdhsa_next_free_vgpr 26
		.amdhsa_next_free_sgpr 55
		.amdhsa_reserve_vcc 1
		.amdhsa_float_round_mode_32 0
		.amdhsa_float_round_mode_16_64 0
		.amdhsa_float_denorm_mode_32 3
		.amdhsa_float_denorm_mode_16_64 3
		.amdhsa_dx10_clamp 1
		.amdhsa_ieee_mode 1
		.amdhsa_fp16_overflow 0
		.amdhsa_workgroup_processor_mode 1
		.amdhsa_memory_ordered 1
		.amdhsa_forward_progress 0
		.amdhsa_shared_vgpr_count 0
		.amdhsa_exception_fp_ieee_invalid_op 0
		.amdhsa_exception_fp_denorm_src 0
		.amdhsa_exception_fp_ieee_div_zero 0
		.amdhsa_exception_fp_ieee_overflow 0
		.amdhsa_exception_fp_ieee_underflow 0
		.amdhsa_exception_fp_ieee_inexact 0
		.amdhsa_exception_int_div_zero 0
	.end_amdhsa_kernel
	.section	.text._ZN2at6native16triu_tril_kernelIN3c104HalfElLb0ELi4ELb0EEEvNS_4cuda6detail10TensorInfoIT_T0_EENS6_IKS7_S8_EEllS8_,"axG",@progbits,_ZN2at6native16triu_tril_kernelIN3c104HalfElLb0ELi4ELb0EEEvNS_4cuda6detail10TensorInfoIT_T0_EENS6_IKS7_S8_EEllS8_,comdat
.Lfunc_end43:
	.size	_ZN2at6native16triu_tril_kernelIN3c104HalfElLb0ELi4ELb0EEEvNS_4cuda6detail10TensorInfoIT_T0_EENS6_IKS7_S8_EEllS8_, .Lfunc_end43-_ZN2at6native16triu_tril_kernelIN3c104HalfElLb0ELi4ELb0EEEvNS_4cuda6detail10TensorInfoIT_T0_EENS6_IKS7_S8_EEllS8_
                                        ; -- End function
	.section	.AMDGPU.csdata,"",@progbits
; Kernel info:
; codeLenInByte = 4464
; NumSgprs: 57
; NumVgprs: 26
; ScratchSize: 0
; MemoryBound: 0
; FloatMode: 240
; IeeeMode: 1
; LDSByteSize: 0 bytes/workgroup (compile time only)
; SGPRBlocks: 7
; VGPRBlocks: 3
; NumSGPRsForWavesPerEU: 57
; NumVGPRsForWavesPerEU: 26
; Occupancy: 16
; WaveLimiterHint : 0
; COMPUTE_PGM_RSRC2:SCRATCH_EN: 0
; COMPUTE_PGM_RSRC2:USER_SGPR: 15
; COMPUTE_PGM_RSRC2:TRAP_HANDLER: 0
; COMPUTE_PGM_RSRC2:TGID_X_EN: 1
; COMPUTE_PGM_RSRC2:TGID_Y_EN: 0
; COMPUTE_PGM_RSRC2:TGID_Z_EN: 0
; COMPUTE_PGM_RSRC2:TIDIG_COMP_CNT: 0
	.section	.text._ZN2at6native16triu_tril_kernelIN3c108BFloat16EiLb0ELi4ELb1EEEvNS_4cuda6detail10TensorInfoIT_T0_EENS6_IKS7_S8_EEllS8_,"axG",@progbits,_ZN2at6native16triu_tril_kernelIN3c108BFloat16EiLb0ELi4ELb1EEEvNS_4cuda6detail10TensorInfoIT_T0_EENS6_IKS7_S8_EEllS8_,comdat
	.protected	_ZN2at6native16triu_tril_kernelIN3c108BFloat16EiLb0ELi4ELb1EEEvNS_4cuda6detail10TensorInfoIT_T0_EENS6_IKS7_S8_EEllS8_ ; -- Begin function _ZN2at6native16triu_tril_kernelIN3c108BFloat16EiLb0ELi4ELb1EEEvNS_4cuda6detail10TensorInfoIT_T0_EENS6_IKS7_S8_EEllS8_
	.globl	_ZN2at6native16triu_tril_kernelIN3c108BFloat16EiLb0ELi4ELb1EEEvNS_4cuda6detail10TensorInfoIT_T0_EENS6_IKS7_S8_EEllS8_
	.p2align	8
	.type	_ZN2at6native16triu_tril_kernelIN3c108BFloat16EiLb0ELi4ELb1EEEvNS_4cuda6detail10TensorInfoIT_T0_EENS6_IKS7_S8_EEllS8_,@function
_ZN2at6native16triu_tril_kernelIN3c108BFloat16EiLb0ELi4ELb1EEEvNS_4cuda6detail10TensorInfoIT_T0_EENS6_IKS7_S8_EEllS8_: ; @_ZN2at6native16triu_tril_kernelIN3c108BFloat16EiLb0ELi4ELb1EEEvNS_4cuda6detail10TensorInfoIT_T0_EENS6_IKS7_S8_EEllS8_
; %bb.0:
	s_clause 0x1
	s_load_b32 s2, s[0:1], 0x1d4
	s_load_b128 s[4:7], s[0:1], 0x1b0
	v_mov_b32_e32 v2, 0
	s_add_u32 s8, s0, 0x1c8
	s_addc_u32 s9, s1, 0
	s_delay_alu instid0(VALU_DEP_1) | instskip(SKIP_3) | instid1(VALU_DEP_1)
	v_mov_b32_e32 v1, v2
	s_waitcnt lgkmcnt(0)
	s_and_b32 s14, s2, 0xffff
	s_mov_b32 s2, exec_lo
	v_mad_u64_u32 v[3:4], null, s14, s15, v[0:1]
	s_delay_alu instid0(VALU_DEP_1) | instskip(NEXT) | instid1(VALU_DEP_1)
	v_lshlrev_b64 v[0:1], 2, v[3:4]
	v_cmpx_gt_i64_e64 s[6:7], v[0:1]
	s_cbranch_execz .LBB44_70
; %bb.1:
	s_clause 0x2
	s_load_b32 s24, s[0:1], 0x1c0
	s_load_b32 s16, s[0:1], 0x1a8
	s_load_b64 s[2:3], s[0:1], 0x0
	s_load_b32 s19, s[8:9], 0x0
	s_mov_b32 s38, 0
	s_waitcnt lgkmcnt(0)
	s_ashr_i32 s25, s24, 31
	s_ashr_i32 s17, s16, 31
	s_add_u32 s26, s0, 0xe0
	s_addc_u32 s27, s1, 0
	s_lshl_b64 s[10:11], s[16:17], 2
	v_cvt_f32_u32_e32 v3, s24
	s_add_u32 s15, s10, -8
	s_addc_u32 s18, s11, -1
	s_add_u32 s12, s26, s15
	s_addc_u32 s13, s27, s18
	v_rcp_iflag_f32_e32 v3, v3
	s_load_b32 s28, s[12:13], 0x0
	s_mul_i32 s19, s19, s14
	v_cmp_gt_i64_e64 s37, s[16:17], 2
	s_waitcnt_depctr 0xfff
	v_mul_f32_e32 v3, 0x4f7ffffe, v3
	s_delay_alu instid0(VALU_DEP_1)
	v_cvt_u32_f32_e32 v3, v3
	s_waitcnt lgkmcnt(0)
	s_ashr_i32 s29, s28, 31
	s_add_u32 s12, s10, -4
	s_addc_u32 s13, s11, -1
	s_add_u32 s30, s0, 0x6c
	s_addc_u32 s1, s1, 0
	s_add_u32 s8, s30, s12
	s_addc_u32 s9, s1, s13
	;; [unrolled: 2-line block ×3, first 2 shown]
	s_add_i32 s31, s16, -3
	s_add_u32 s12, s26, s12
	s_addc_u32 s13, s27, s13
	s_add_i32 s0, s16, 6
	s_lshl_b32 s34, s19, 2
	s_and_b32 s33, s0, 7
	s_mov_b32 s15, 0
	s_cmp_lg_u32 s33, 0
	s_cselect_b32 s35, -1, 0
	s_cmp_gt_u32 s31, 6
	s_cselect_b32 s36, -1, 0
	s_sub_i32 s0, 0, s24
	s_delay_alu instid0(SALU_CYCLE_1) | instskip(NEXT) | instid1(VALU_DEP_1)
	v_mul_lo_u32 v4, s0, v3
	v_mul_hi_u32 v4, v3, v4
	s_delay_alu instid0(VALU_DEP_1)
	v_add_nc_u32_e32 v25, v3, v4
	s_branch .LBB44_3
.LBB44_2:                               ;   in Loop: Header=BB44_3 Depth=1
	s_or_b32 exec_lo, exec_lo, s39
	v_add_co_u32 v0, vcc_lo, v0, s34
	v_add_co_ci_u32_e32 v1, vcc_lo, 0, v1, vcc_lo
	s_delay_alu instid0(VALU_DEP_1) | instskip(SKIP_1) | instid1(SALU_CYCLE_1)
	v_cmp_le_i64_e32 vcc_lo, s[6:7], v[0:1]
	s_or_b32 s38, vcc_lo, s38
	s_and_not1_b32 exec_lo, exec_lo, s38
	s_cbranch_execz .LBB44_70
.LBB44_3:                               ; =>This Loop Header: Depth=1
                                        ;     Child Loop BB44_15 Depth 2
                                        ;     Child Loop BB44_24 Depth 2
	v_or_b32_e32 v3, s25, v1
                                        ; implicit-def: $vgpr4_vgpr5
	s_mov_b32 s0, exec_lo
	s_delay_alu instid0(VALU_DEP_1)
	v_cmpx_ne_u64_e32 0, v[2:3]
	s_xor_b32 s14, exec_lo, s0
	s_cbranch_execz .LBB44_5
; %bb.4:                                ;   in Loop: Header=BB44_3 Depth=1
	s_add_u32 s18, s24, s25
	s_mov_b32 s16, s25
	s_mov_b32 s17, s25
	s_addc_u32 s19, s25, s25
	s_delay_alu instid0(SALU_CYCLE_1) | instskip(NEXT) | instid1(SALU_CYCLE_1)
	s_xor_b64 s[18:19], s[18:19], s[16:17]
	v_cvt_f32_u32_e32 v3, s18
	v_cvt_f32_u32_e32 v4, s19
	s_sub_u32 s0, 0, s18
	s_subb_u32 s20, 0, s19
	s_delay_alu instid0(VALU_DEP_1) | instskip(NEXT) | instid1(VALU_DEP_1)
	v_fmac_f32_e32 v3, 0x4f800000, v4
	v_rcp_f32_e32 v3, v3
	s_waitcnt_depctr 0xfff
	v_mul_f32_e32 v3, 0x5f7ffffc, v3
	s_delay_alu instid0(VALU_DEP_1) | instskip(NEXT) | instid1(VALU_DEP_1)
	v_mul_f32_e32 v4, 0x2f800000, v3
	v_trunc_f32_e32 v4, v4
	s_delay_alu instid0(VALU_DEP_1) | instskip(SKIP_1) | instid1(VALU_DEP_2)
	v_fmac_f32_e32 v3, 0xcf800000, v4
	v_cvt_u32_f32_e32 v4, v4
	v_cvt_u32_f32_e32 v3, v3
	s_delay_alu instid0(VALU_DEP_2) | instskip(NEXT) | instid1(VALU_DEP_2)
	v_mul_lo_u32 v5, s0, v4
	v_mul_hi_u32 v6, s0, v3
	v_mul_lo_u32 v7, s20, v3
	s_delay_alu instid0(VALU_DEP_2) | instskip(SKIP_1) | instid1(VALU_DEP_2)
	v_add_nc_u32_e32 v5, v6, v5
	v_mul_lo_u32 v6, s0, v3
	v_add_nc_u32_e32 v5, v5, v7
	s_delay_alu instid0(VALU_DEP_2) | instskip(NEXT) | instid1(VALU_DEP_2)
	v_mul_hi_u32 v7, v3, v6
	v_mul_lo_u32 v8, v3, v5
	v_mul_hi_u32 v9, v3, v5
	v_mul_hi_u32 v10, v4, v6
	v_mul_lo_u32 v6, v4, v6
	v_mul_hi_u32 v11, v4, v5
	v_mul_lo_u32 v5, v4, v5
	v_add_co_u32 v7, vcc_lo, v7, v8
	v_add_co_ci_u32_e32 v8, vcc_lo, 0, v9, vcc_lo
	s_delay_alu instid0(VALU_DEP_2) | instskip(NEXT) | instid1(VALU_DEP_2)
	v_add_co_u32 v6, vcc_lo, v7, v6
	v_add_co_ci_u32_e32 v6, vcc_lo, v8, v10, vcc_lo
	v_add_co_ci_u32_e32 v7, vcc_lo, 0, v11, vcc_lo
	v_ashrrev_i32_e32 v10, 31, v1
	s_delay_alu instid0(VALU_DEP_3) | instskip(NEXT) | instid1(VALU_DEP_3)
	v_add_co_u32 v5, vcc_lo, v6, v5
	v_add_co_ci_u32_e32 v6, vcc_lo, 0, v7, vcc_lo
	s_delay_alu instid0(VALU_DEP_2) | instskip(NEXT) | instid1(VALU_DEP_2)
	v_add_co_u32 v3, vcc_lo, v3, v5
	v_add_co_ci_u32_e32 v4, vcc_lo, v4, v6, vcc_lo
	s_delay_alu instid0(VALU_DEP_2) | instskip(SKIP_1) | instid1(VALU_DEP_3)
	v_mul_hi_u32 v5, s0, v3
	v_mul_lo_u32 v7, s20, v3
	v_mul_lo_u32 v6, s0, v4
	s_delay_alu instid0(VALU_DEP_1) | instskip(SKIP_1) | instid1(VALU_DEP_2)
	v_add_nc_u32_e32 v5, v5, v6
	v_mul_lo_u32 v6, s0, v3
	v_add_nc_u32_e32 v5, v5, v7
	s_delay_alu instid0(VALU_DEP_2) | instskip(NEXT) | instid1(VALU_DEP_2)
	v_mul_hi_u32 v7, v3, v6
	v_mul_lo_u32 v8, v3, v5
	v_mul_hi_u32 v9, v3, v5
	v_mul_hi_u32 v11, v4, v6
	v_mul_lo_u32 v6, v4, v6
	v_mul_hi_u32 v12, v4, v5
	v_mul_lo_u32 v5, v4, v5
	v_add_co_u32 v7, vcc_lo, v7, v8
	v_add_co_ci_u32_e32 v8, vcc_lo, 0, v9, vcc_lo
	s_delay_alu instid0(VALU_DEP_2) | instskip(NEXT) | instid1(VALU_DEP_2)
	v_add_co_u32 v6, vcc_lo, v7, v6
	v_add_co_ci_u32_e32 v6, vcc_lo, v8, v11, vcc_lo
	v_add_co_ci_u32_e32 v7, vcc_lo, 0, v12, vcc_lo
	v_add_co_u32 v8, vcc_lo, v0, v10
	v_add_co_ci_u32_e32 v9, vcc_lo, v1, v10, vcc_lo
	s_delay_alu instid0(VALU_DEP_4) | instskip(NEXT) | instid1(VALU_DEP_4)
	v_add_co_u32 v5, vcc_lo, v6, v5
	v_add_co_ci_u32_e32 v6, vcc_lo, 0, v7, vcc_lo
	s_delay_alu instid0(VALU_DEP_4) | instskip(NEXT) | instid1(VALU_DEP_3)
	v_xor_b32_e32 v11, v8, v10
	v_add_co_u32 v7, vcc_lo, v3, v5
	s_delay_alu instid0(VALU_DEP_3) | instskip(SKIP_1) | instid1(VALU_DEP_3)
	v_add_co_ci_u32_e32 v12, vcc_lo, v4, v6, vcc_lo
	v_xor_b32_e32 v9, v9, v10
	v_mul_hi_u32 v13, v11, v7
	s_delay_alu instid0(VALU_DEP_3) | instskip(NEXT) | instid1(VALU_DEP_3)
	v_mad_u64_u32 v[3:4], null, v11, v12, 0
	v_mad_u64_u32 v[5:6], null, v9, v7, 0
	;; [unrolled: 1-line block ×3, first 2 shown]
	s_delay_alu instid0(VALU_DEP_3) | instskip(NEXT) | instid1(VALU_DEP_4)
	v_add_co_u32 v3, vcc_lo, v13, v3
	v_add_co_ci_u32_e32 v4, vcc_lo, 0, v4, vcc_lo
	s_delay_alu instid0(VALU_DEP_2) | instskip(NEXT) | instid1(VALU_DEP_2)
	v_add_co_u32 v3, vcc_lo, v3, v5
	v_add_co_ci_u32_e32 v3, vcc_lo, v4, v6, vcc_lo
	v_add_co_ci_u32_e32 v4, vcc_lo, 0, v8, vcc_lo
	s_delay_alu instid0(VALU_DEP_2) | instskip(NEXT) | instid1(VALU_DEP_2)
	v_add_co_u32 v5, vcc_lo, v3, v7
	v_add_co_ci_u32_e32 v6, vcc_lo, 0, v4, vcc_lo
	s_delay_alu instid0(VALU_DEP_2) | instskip(SKIP_1) | instid1(VALU_DEP_3)
	v_mul_lo_u32 v7, s19, v5
	v_mad_u64_u32 v[3:4], null, s18, v5, 0
	v_mul_lo_u32 v8, s18, v6
	s_delay_alu instid0(VALU_DEP_2) | instskip(NEXT) | instid1(VALU_DEP_2)
	v_sub_co_u32 v3, vcc_lo, v11, v3
	v_add3_u32 v4, v4, v8, v7
	s_delay_alu instid0(VALU_DEP_1) | instskip(NEXT) | instid1(VALU_DEP_1)
	v_sub_nc_u32_e32 v7, v9, v4
	v_subrev_co_ci_u32_e64 v7, s0, s19, v7, vcc_lo
	v_add_co_u32 v8, s0, v5, 2
	s_delay_alu instid0(VALU_DEP_1) | instskip(SKIP_3) | instid1(VALU_DEP_3)
	v_add_co_ci_u32_e64 v11, s0, 0, v6, s0
	v_sub_co_u32 v12, s0, v3, s18
	v_sub_co_ci_u32_e32 v4, vcc_lo, v9, v4, vcc_lo
	v_subrev_co_ci_u32_e64 v7, s0, 0, v7, s0
	v_cmp_le_u32_e32 vcc_lo, s18, v12
	s_delay_alu instid0(VALU_DEP_3) | instskip(SKIP_1) | instid1(VALU_DEP_4)
	v_cmp_eq_u32_e64 s0, s19, v4
	v_cndmask_b32_e64 v9, 0, -1, vcc_lo
	v_cmp_le_u32_e32 vcc_lo, s19, v7
	v_cndmask_b32_e64 v12, 0, -1, vcc_lo
	v_cmp_le_u32_e32 vcc_lo, s18, v3
	;; [unrolled: 2-line block ×3, first 2 shown]
	v_cndmask_b32_e64 v13, 0, -1, vcc_lo
	v_cmp_eq_u32_e32 vcc_lo, s19, v7
	s_delay_alu instid0(VALU_DEP_2) | instskip(SKIP_3) | instid1(VALU_DEP_3)
	v_cndmask_b32_e64 v3, v13, v3, s0
	v_cndmask_b32_e32 v7, v12, v9, vcc_lo
	v_add_co_u32 v9, vcc_lo, v5, 1
	v_add_co_ci_u32_e32 v12, vcc_lo, 0, v6, vcc_lo
	v_cmp_ne_u32_e32 vcc_lo, 0, v7
	s_delay_alu instid0(VALU_DEP_2) | instskip(SKIP_2) | instid1(VALU_DEP_3)
	v_dual_cndmask_b32 v4, v12, v11 :: v_dual_cndmask_b32 v7, v9, v8
	v_cmp_ne_u32_e32 vcc_lo, 0, v3
	v_xor_b32_e32 v3, s16, v10
	v_dual_cndmask_b32 v5, v5, v7 :: v_dual_cndmask_b32 v4, v6, v4
	v_xor_b32_e32 v6, s17, v10
	s_delay_alu instid0(VALU_DEP_2) | instskip(NEXT) | instid1(VALU_DEP_2)
	v_xor_b32_e32 v5, v5, v3
	v_xor_b32_e32 v7, v4, v6
	s_delay_alu instid0(VALU_DEP_2) | instskip(NEXT) | instid1(VALU_DEP_2)
	v_sub_co_u32 v4, vcc_lo, v5, v3
	v_sub_co_ci_u32_e32 v5, vcc_lo, v7, v6, vcc_lo
.LBB44_5:                               ;   in Loop: Header=BB44_3 Depth=1
	s_and_not1_saveexec_b32 s0, s14
; %bb.6:                                ;   in Loop: Header=BB44_3 Depth=1
	v_mul_hi_u32 v3, v0, v25
	s_delay_alu instid0(VALU_DEP_1) | instskip(NEXT) | instid1(VALU_DEP_1)
	v_mul_lo_u32 v4, v3, s24
	v_sub_nc_u32_e32 v4, v0, v4
	s_delay_alu instid0(VALU_DEP_1) | instskip(SKIP_1) | instid1(VALU_DEP_2)
	v_subrev_nc_u32_e32 v6, s24, v4
	v_cmp_le_u32_e32 vcc_lo, s24, v4
	v_dual_cndmask_b32 v4, v4, v6 :: v_dual_add_nc_u32 v5, 1, v3
	s_delay_alu instid0(VALU_DEP_1) | instskip(NEXT) | instid1(VALU_DEP_2)
	v_cndmask_b32_e32 v3, v3, v5, vcc_lo
	v_cmp_le_u32_e32 vcc_lo, s24, v4
	s_delay_alu instid0(VALU_DEP_2) | instskip(NEXT) | instid1(VALU_DEP_1)
	v_add_nc_u32_e32 v5, 1, v3
	v_dual_cndmask_b32 v4, v3, v5 :: v_dual_mov_b32 v5, v2
; %bb.7:                                ;   in Loop: Header=BB44_3 Depth=1
	s_or_b32 exec_lo, exec_lo, s0
	s_delay_alu instid0(VALU_DEP_1) | instskip(SKIP_1) | instid1(VALU_DEP_1)
	v_or_b32_e32 v3, s29, v5
                                        ; implicit-def: $vgpr7_vgpr8
	s_mov_b32 s0, exec_lo
	v_cmpx_ne_u64_e32 0, v[2:3]
	s_xor_b32 s14, exec_lo, s0
	s_cbranch_execz .LBB44_9
; %bb.8:                                ;   in Loop: Header=BB44_3 Depth=1
	s_add_u32 s18, s28, s29
	s_mov_b32 s16, s29
	s_mov_b32 s17, s29
	s_addc_u32 s19, s29, s29
	s_delay_alu instid0(SALU_CYCLE_1) | instskip(NEXT) | instid1(SALU_CYCLE_1)
	s_xor_b64 s[18:19], s[18:19], s[16:17]
	v_cvt_f32_u32_e32 v3, s18
	v_cvt_f32_u32_e32 v6, s19
	s_sub_u32 s0, 0, s18
	s_subb_u32 s20, 0, s19
	s_delay_alu instid0(VALU_DEP_1) | instskip(NEXT) | instid1(VALU_DEP_1)
	v_fmac_f32_e32 v3, 0x4f800000, v6
	v_rcp_f32_e32 v3, v3
	s_waitcnt_depctr 0xfff
	v_mul_f32_e32 v3, 0x5f7ffffc, v3
	s_delay_alu instid0(VALU_DEP_1) | instskip(NEXT) | instid1(VALU_DEP_1)
	v_mul_f32_e32 v6, 0x2f800000, v3
	v_trunc_f32_e32 v6, v6
	s_delay_alu instid0(VALU_DEP_1) | instskip(SKIP_1) | instid1(VALU_DEP_2)
	v_fmac_f32_e32 v3, 0xcf800000, v6
	v_cvt_u32_f32_e32 v6, v6
	v_cvt_u32_f32_e32 v3, v3
	s_delay_alu instid0(VALU_DEP_2) | instskip(NEXT) | instid1(VALU_DEP_2)
	v_mul_lo_u32 v7, s0, v6
	v_mul_hi_u32 v8, s0, v3
	v_mul_lo_u32 v9, s20, v3
	s_delay_alu instid0(VALU_DEP_2) | instskip(SKIP_1) | instid1(VALU_DEP_2)
	v_add_nc_u32_e32 v7, v8, v7
	v_mul_lo_u32 v8, s0, v3
	v_add_nc_u32_e32 v7, v7, v9
	s_delay_alu instid0(VALU_DEP_2) | instskip(NEXT) | instid1(VALU_DEP_2)
	v_mul_hi_u32 v9, v3, v8
	v_mul_lo_u32 v10, v3, v7
	v_mul_hi_u32 v11, v3, v7
	v_mul_hi_u32 v12, v6, v8
	v_mul_lo_u32 v8, v6, v8
	v_mul_hi_u32 v13, v6, v7
	v_mul_lo_u32 v7, v6, v7
	v_add_co_u32 v9, vcc_lo, v9, v10
	v_add_co_ci_u32_e32 v10, vcc_lo, 0, v11, vcc_lo
	s_delay_alu instid0(VALU_DEP_2) | instskip(NEXT) | instid1(VALU_DEP_2)
	v_add_co_u32 v8, vcc_lo, v9, v8
	v_add_co_ci_u32_e32 v8, vcc_lo, v10, v12, vcc_lo
	v_add_co_ci_u32_e32 v9, vcc_lo, 0, v13, vcc_lo
	v_ashrrev_i32_e32 v12, 31, v5
	s_delay_alu instid0(VALU_DEP_3) | instskip(NEXT) | instid1(VALU_DEP_3)
	v_add_co_u32 v7, vcc_lo, v8, v7
	v_add_co_ci_u32_e32 v8, vcc_lo, 0, v9, vcc_lo
	s_delay_alu instid0(VALU_DEP_2) | instskip(NEXT) | instid1(VALU_DEP_2)
	v_add_co_u32 v3, vcc_lo, v3, v7
	v_add_co_ci_u32_e32 v6, vcc_lo, v6, v8, vcc_lo
	s_delay_alu instid0(VALU_DEP_2) | instskip(SKIP_1) | instid1(VALU_DEP_3)
	v_mul_hi_u32 v7, s0, v3
	v_mul_lo_u32 v9, s20, v3
	v_mul_lo_u32 v8, s0, v6
	s_delay_alu instid0(VALU_DEP_1) | instskip(SKIP_1) | instid1(VALU_DEP_2)
	v_add_nc_u32_e32 v7, v7, v8
	v_mul_lo_u32 v8, s0, v3
	v_add_nc_u32_e32 v7, v7, v9
	s_delay_alu instid0(VALU_DEP_2) | instskip(NEXT) | instid1(VALU_DEP_2)
	v_mul_hi_u32 v9, v3, v8
	v_mul_lo_u32 v10, v3, v7
	v_mul_hi_u32 v11, v3, v7
	v_mul_hi_u32 v13, v6, v8
	v_mul_lo_u32 v8, v6, v8
	v_mul_hi_u32 v14, v6, v7
	v_mul_lo_u32 v7, v6, v7
	v_add_co_u32 v9, vcc_lo, v9, v10
	v_add_co_ci_u32_e32 v10, vcc_lo, 0, v11, vcc_lo
	s_delay_alu instid0(VALU_DEP_2) | instskip(NEXT) | instid1(VALU_DEP_2)
	v_add_co_u32 v8, vcc_lo, v9, v8
	v_add_co_ci_u32_e32 v8, vcc_lo, v10, v13, vcc_lo
	v_add_co_ci_u32_e32 v9, vcc_lo, 0, v14, vcc_lo
	v_add_co_u32 v10, vcc_lo, v4, v12
	v_add_co_ci_u32_e32 v5, vcc_lo, v5, v12, vcc_lo
	s_delay_alu instid0(VALU_DEP_4) | instskip(NEXT) | instid1(VALU_DEP_4)
	v_add_co_u32 v7, vcc_lo, v8, v7
	v_add_co_ci_u32_e32 v8, vcc_lo, 0, v9, vcc_lo
	s_delay_alu instid0(VALU_DEP_4) | instskip(NEXT) | instid1(VALU_DEP_3)
	v_xor_b32_e32 v11, v10, v12
	v_add_co_u32 v3, vcc_lo, v3, v7
	s_delay_alu instid0(VALU_DEP_3) | instskip(SKIP_1) | instid1(VALU_DEP_3)
	v_add_co_ci_u32_e32 v13, vcc_lo, v6, v8, vcc_lo
	v_xor_b32_e32 v14, v5, v12
	v_mul_hi_u32 v15, v11, v3
	s_delay_alu instid0(VALU_DEP_3) | instskip(NEXT) | instid1(VALU_DEP_3)
	v_mad_u64_u32 v[5:6], null, v11, v13, 0
	v_mad_u64_u32 v[7:8], null, v14, v3, 0
	;; [unrolled: 1-line block ×3, first 2 shown]
	s_delay_alu instid0(VALU_DEP_3) | instskip(NEXT) | instid1(VALU_DEP_4)
	v_add_co_u32 v3, vcc_lo, v15, v5
	v_add_co_ci_u32_e32 v5, vcc_lo, 0, v6, vcc_lo
	s_delay_alu instid0(VALU_DEP_2) | instskip(NEXT) | instid1(VALU_DEP_2)
	v_add_co_u32 v3, vcc_lo, v3, v7
	v_add_co_ci_u32_e32 v3, vcc_lo, v5, v8, vcc_lo
	v_add_co_ci_u32_e32 v5, vcc_lo, 0, v10, vcc_lo
	s_delay_alu instid0(VALU_DEP_2) | instskip(NEXT) | instid1(VALU_DEP_2)
	v_add_co_u32 v3, vcc_lo, v3, v9
	v_add_co_ci_u32_e32 v7, vcc_lo, 0, v5, vcc_lo
	s_delay_alu instid0(VALU_DEP_2) | instskip(SKIP_1) | instid1(VALU_DEP_3)
	v_mul_lo_u32 v8, s19, v3
	v_mad_u64_u32 v[5:6], null, s18, v3, 0
	v_mul_lo_u32 v9, s18, v7
	s_delay_alu instid0(VALU_DEP_2) | instskip(NEXT) | instid1(VALU_DEP_2)
	v_sub_co_u32 v5, vcc_lo, v11, v5
	v_add3_u32 v6, v6, v9, v8
	s_delay_alu instid0(VALU_DEP_1) | instskip(NEXT) | instid1(VALU_DEP_1)
	v_sub_nc_u32_e32 v8, v14, v6
	v_subrev_co_ci_u32_e64 v8, s0, s19, v8, vcc_lo
	v_add_co_u32 v9, s0, v3, 2
	s_delay_alu instid0(VALU_DEP_1) | instskip(SKIP_3) | instid1(VALU_DEP_3)
	v_add_co_ci_u32_e64 v10, s0, 0, v7, s0
	v_sub_co_u32 v11, s0, v5, s18
	v_sub_co_ci_u32_e32 v6, vcc_lo, v14, v6, vcc_lo
	v_subrev_co_ci_u32_e64 v8, s0, 0, v8, s0
	v_cmp_le_u32_e32 vcc_lo, s18, v11
	s_delay_alu instid0(VALU_DEP_3) | instskip(SKIP_1) | instid1(VALU_DEP_4)
	v_cmp_eq_u32_e64 s0, s19, v6
	v_cndmask_b32_e64 v11, 0, -1, vcc_lo
	v_cmp_le_u32_e32 vcc_lo, s19, v8
	v_cndmask_b32_e64 v13, 0, -1, vcc_lo
	v_cmp_le_u32_e32 vcc_lo, s18, v5
	;; [unrolled: 2-line block ×3, first 2 shown]
	v_cndmask_b32_e64 v14, 0, -1, vcc_lo
	v_cmp_eq_u32_e32 vcc_lo, s19, v8
	s_delay_alu instid0(VALU_DEP_2) | instskip(SKIP_3) | instid1(VALU_DEP_3)
	v_cndmask_b32_e64 v5, v14, v5, s0
	v_cndmask_b32_e32 v8, v13, v11, vcc_lo
	v_add_co_u32 v11, vcc_lo, v3, 1
	v_add_co_ci_u32_e32 v13, vcc_lo, 0, v7, vcc_lo
	v_cmp_ne_u32_e32 vcc_lo, 0, v8
	s_delay_alu instid0(VALU_DEP_3) | instskip(NEXT) | instid1(VALU_DEP_3)
	v_cndmask_b32_e32 v8, v11, v9, vcc_lo
	v_cndmask_b32_e32 v6, v13, v10, vcc_lo
	v_cmp_ne_u32_e32 vcc_lo, 0, v5
	v_xor_b32_e32 v5, s16, v12
	s_delay_alu instid0(VALU_DEP_4) | instskip(NEXT) | instid1(VALU_DEP_4)
	v_cndmask_b32_e32 v3, v3, v8, vcc_lo
	v_cndmask_b32_e32 v6, v7, v6, vcc_lo
	v_xor_b32_e32 v8, s17, v12
	s_delay_alu instid0(VALU_DEP_3) | instskip(NEXT) | instid1(VALU_DEP_2)
	v_xor_b32_e32 v3, v3, v5
	v_xor_b32_e32 v6, v6, v8
	s_delay_alu instid0(VALU_DEP_2) | instskip(NEXT) | instid1(VALU_DEP_2)
	v_sub_co_u32 v7, vcc_lo, v3, v5
	v_sub_co_ci_u32_e32 v8, vcc_lo, v6, v8, vcc_lo
.LBB44_9:                               ;   in Loop: Header=BB44_3 Depth=1
	s_and_not1_saveexec_b32 s0, s14
	s_cbranch_execz .LBB44_11
; %bb.10:                               ;   in Loop: Header=BB44_3 Depth=1
	v_cvt_f32_u32_e32 v3, s28
	s_sub_i32 s14, 0, s28
	v_mov_b32_e32 v8, v2
	s_delay_alu instid0(VALU_DEP_2) | instskip(SKIP_2) | instid1(VALU_DEP_1)
	v_rcp_iflag_f32_e32 v3, v3
	s_waitcnt_depctr 0xfff
	v_mul_f32_e32 v3, 0x4f7ffffe, v3
	v_cvt_u32_f32_e32 v3, v3
	s_delay_alu instid0(VALU_DEP_1) | instskip(NEXT) | instid1(VALU_DEP_1)
	v_mul_lo_u32 v5, s14, v3
	v_mul_hi_u32 v5, v3, v5
	s_delay_alu instid0(VALU_DEP_1) | instskip(NEXT) | instid1(VALU_DEP_1)
	v_add_nc_u32_e32 v3, v3, v5
	v_mul_hi_u32 v3, v4, v3
	s_delay_alu instid0(VALU_DEP_1) | instskip(SKIP_1) | instid1(VALU_DEP_2)
	v_mul_lo_u32 v5, v3, s28
	v_add_nc_u32_e32 v6, 1, v3
	v_sub_nc_u32_e32 v5, v4, v5
	s_delay_alu instid0(VALU_DEP_1) | instskip(SKIP_1) | instid1(VALU_DEP_2)
	v_subrev_nc_u32_e32 v7, s28, v5
	v_cmp_le_u32_e32 vcc_lo, s28, v5
	v_cndmask_b32_e32 v5, v5, v7, vcc_lo
	v_cndmask_b32_e32 v3, v3, v6, vcc_lo
	s_delay_alu instid0(VALU_DEP_2) | instskip(NEXT) | instid1(VALU_DEP_2)
	v_cmp_le_u32_e32 vcc_lo, s28, v5
	v_add_nc_u32_e32 v6, 1, v3
	s_delay_alu instid0(VALU_DEP_1)
	v_cndmask_b32_e32 v7, v3, v6, vcc_lo
.LBB44_11:                              ;   in Loop: Header=BB44_3 Depth=1
	s_or_b32 exec_lo, exec_lo, s0
	v_mad_u64_u32 v[5:6], null, v4, s24, 0
	s_delay_alu instid0(VALU_DEP_2) | instskip(SKIP_1) | instid1(VALU_DEP_2)
	v_mad_u64_u32 v[9:10], null, v7, s28, 0
	s_mov_b32 s39, exec_lo
	v_sub_co_u32 v27, null, v0, v5
	s_delay_alu instid0(VALU_DEP_2) | instskip(NEXT) | instid1(VALU_DEP_1)
	v_sub_co_u32 v26, null, v4, v9
	v_sub_nc_u32_e32 v6, v27, v26
	s_delay_alu instid0(VALU_DEP_1) | instskip(NEXT) | instid1(VALU_DEP_1)
	v_add_nc_u32_e32 v3, 4, v6
	v_ashrrev_i32_e32 v4, 31, v3
	s_delay_alu instid0(VALU_DEP_1)
	v_cmpx_lt_i64_e64 s[4:5], v[3:4]
	s_cbranch_execz .LBB44_2
; %bb.12:                               ;   in Loop: Header=BB44_3 Depth=1
	s_clause 0x1
	s_load_b32 s40, s[8:9], 0x0
	s_load_b32 s0, s[10:11], 0x0
	s_and_not1_b32 vcc_lo, exec_lo, s37
	s_waitcnt lgkmcnt(0)
	v_mul_lo_u32 v3, s40, v27
	s_delay_alu instid0(VALU_DEP_1)
	v_mad_u64_u32 v[4:5], null, s0, v26, v[3:4]
	s_cbranch_vccnz .LBB44_58
; %bb.13:                               ;   in Loop: Header=BB44_3 Depth=1
	s_and_not1_b32 vcc_lo, exec_lo, s35
	s_cbranch_vccnz .LBB44_21
; %bb.14:                               ;   in Loop: Header=BB44_3 Depth=1
	v_dual_mov_b32 v10, v8 :: v_dual_mov_b32 v9, v7
	s_mov_b32 s22, s33
	s_mov_b32 s14, s31
.LBB44_15:                              ;   Parent Loop BB44_3 Depth=1
                                        ; =>  This Inner Loop Header: Depth=2
	s_delay_alu instid0(SALU_CYCLE_1) | instskip(NEXT) | instid1(SALU_CYCLE_1)
	s_lshl_b64 s[16:17], s[14:15], 2
                                        ; implicit-def: $vgpr7_vgpr8
	s_add_u32 s18, s26, s16
	s_addc_u32 s19, s27, s17
	s_load_b32 s23, s[18:19], 0x0
	s_mov_b32 s18, exec_lo
	s_waitcnt lgkmcnt(0)
	s_ashr_i32 s0, s23, 31
	s_delay_alu instid0(SALU_CYCLE_1) | instskip(NEXT) | instid1(VALU_DEP_1)
	v_or_b32_e32 v3, s0, v10
	v_cmpx_ne_u64_e32 0, v[2:3]
	s_xor_b32 s41, exec_lo, s18
	s_cbranch_execz .LBB44_17
; %bb.16:                               ;   in Loop: Header=BB44_15 Depth=2
	s_add_u32 s20, s23, s0
	s_mov_b32 s18, s0
	s_mov_b32 s19, s0
	s_addc_u32 s21, s0, s0
	s_delay_alu instid0(SALU_CYCLE_1) | instskip(NEXT) | instid1(SALU_CYCLE_1)
	s_xor_b64 s[20:21], s[20:21], s[18:19]
	v_cvt_f32_u32_e32 v3, s20
	v_cvt_f32_u32_e32 v5, s21
	s_sub_u32 s0, 0, s20
	s_subb_u32 s42, 0, s21
	s_delay_alu instid0(VALU_DEP_1) | instskip(NEXT) | instid1(VALU_DEP_1)
	v_fmac_f32_e32 v3, 0x4f800000, v5
	v_rcp_f32_e32 v3, v3
	s_waitcnt_depctr 0xfff
	v_mul_f32_e32 v3, 0x5f7ffffc, v3
	s_delay_alu instid0(VALU_DEP_1) | instskip(NEXT) | instid1(VALU_DEP_1)
	v_mul_f32_e32 v5, 0x2f800000, v3
	v_trunc_f32_e32 v5, v5
	s_delay_alu instid0(VALU_DEP_1) | instskip(SKIP_1) | instid1(VALU_DEP_2)
	v_fmac_f32_e32 v3, 0xcf800000, v5
	v_cvt_u32_f32_e32 v5, v5
	v_cvt_u32_f32_e32 v3, v3
	s_delay_alu instid0(VALU_DEP_2) | instskip(NEXT) | instid1(VALU_DEP_2)
	v_mul_lo_u32 v7, s0, v5
	v_mul_hi_u32 v8, s0, v3
	v_mul_lo_u32 v11, s42, v3
	s_delay_alu instid0(VALU_DEP_2) | instskip(SKIP_1) | instid1(VALU_DEP_2)
	v_add_nc_u32_e32 v7, v8, v7
	v_mul_lo_u32 v8, s0, v3
	v_add_nc_u32_e32 v7, v7, v11
	s_delay_alu instid0(VALU_DEP_2) | instskip(NEXT) | instid1(VALU_DEP_2)
	v_mul_hi_u32 v11, v3, v8
	v_mul_lo_u32 v12, v3, v7
	v_mul_hi_u32 v13, v3, v7
	v_mul_hi_u32 v14, v5, v8
	v_mul_lo_u32 v8, v5, v8
	v_mul_hi_u32 v15, v5, v7
	v_mul_lo_u32 v7, v5, v7
	v_add_co_u32 v11, vcc_lo, v11, v12
	v_add_co_ci_u32_e32 v12, vcc_lo, 0, v13, vcc_lo
	s_delay_alu instid0(VALU_DEP_2) | instskip(NEXT) | instid1(VALU_DEP_2)
	v_add_co_u32 v8, vcc_lo, v11, v8
	v_add_co_ci_u32_e32 v8, vcc_lo, v12, v14, vcc_lo
	v_add_co_ci_u32_e32 v11, vcc_lo, 0, v15, vcc_lo
	v_ashrrev_i32_e32 v14, 31, v10
	s_delay_alu instid0(VALU_DEP_3) | instskip(NEXT) | instid1(VALU_DEP_3)
	v_add_co_u32 v7, vcc_lo, v8, v7
	v_add_co_ci_u32_e32 v8, vcc_lo, 0, v11, vcc_lo
	s_delay_alu instid0(VALU_DEP_2) | instskip(NEXT) | instid1(VALU_DEP_2)
	v_add_co_u32 v3, vcc_lo, v3, v7
	v_add_co_ci_u32_e32 v5, vcc_lo, v5, v8, vcc_lo
	s_delay_alu instid0(VALU_DEP_2) | instskip(SKIP_1) | instid1(VALU_DEP_3)
	v_mul_hi_u32 v7, s0, v3
	v_mul_lo_u32 v11, s42, v3
	v_mul_lo_u32 v8, s0, v5
	s_delay_alu instid0(VALU_DEP_1) | instskip(SKIP_1) | instid1(VALU_DEP_2)
	v_add_nc_u32_e32 v7, v7, v8
	v_mul_lo_u32 v8, s0, v3
	v_add_nc_u32_e32 v7, v7, v11
	s_delay_alu instid0(VALU_DEP_2) | instskip(NEXT) | instid1(VALU_DEP_2)
	v_mul_hi_u32 v11, v3, v8
	v_mul_lo_u32 v12, v3, v7
	v_mul_hi_u32 v13, v3, v7
	v_mul_hi_u32 v15, v5, v8
	v_mul_lo_u32 v8, v5, v8
	v_mul_hi_u32 v16, v5, v7
	v_mul_lo_u32 v7, v5, v7
	v_add_co_u32 v11, vcc_lo, v11, v12
	v_add_co_ci_u32_e32 v12, vcc_lo, 0, v13, vcc_lo
	s_delay_alu instid0(VALU_DEP_2) | instskip(NEXT) | instid1(VALU_DEP_2)
	v_add_co_u32 v8, vcc_lo, v11, v8
	v_add_co_ci_u32_e32 v8, vcc_lo, v12, v15, vcc_lo
	v_add_co_ci_u32_e32 v11, vcc_lo, 0, v16, vcc_lo
	v_add_co_u32 v12, vcc_lo, v9, v14
	v_add_co_ci_u32_e32 v10, vcc_lo, v10, v14, vcc_lo
	s_delay_alu instid0(VALU_DEP_4) | instskip(NEXT) | instid1(VALU_DEP_4)
	v_add_co_u32 v7, vcc_lo, v8, v7
	v_add_co_ci_u32_e32 v8, vcc_lo, 0, v11, vcc_lo
	s_delay_alu instid0(VALU_DEP_4) | instskip(NEXT) | instid1(VALU_DEP_3)
	v_xor_b32_e32 v15, v12, v14
	v_add_co_u32 v3, vcc_lo, v3, v7
	s_delay_alu instid0(VALU_DEP_3) | instskip(SKIP_1) | instid1(VALU_DEP_3)
	v_add_co_ci_u32_e32 v5, vcc_lo, v5, v8, vcc_lo
	v_xor_b32_e32 v16, v10, v14
	v_mul_hi_u32 v17, v15, v3
	s_delay_alu instid0(VALU_DEP_3) | instskip(NEXT) | instid1(VALU_DEP_3)
	v_mad_u64_u32 v[7:8], null, v15, v5, 0
	v_mad_u64_u32 v[10:11], null, v16, v3, 0
	;; [unrolled: 1-line block ×3, first 2 shown]
	s_delay_alu instid0(VALU_DEP_3) | instskip(NEXT) | instid1(VALU_DEP_4)
	v_add_co_u32 v3, vcc_lo, v17, v7
	v_add_co_ci_u32_e32 v5, vcc_lo, 0, v8, vcc_lo
	s_delay_alu instid0(VALU_DEP_2) | instskip(NEXT) | instid1(VALU_DEP_2)
	v_add_co_u32 v3, vcc_lo, v3, v10
	v_add_co_ci_u32_e32 v3, vcc_lo, v5, v11, vcc_lo
	v_add_co_ci_u32_e32 v5, vcc_lo, 0, v13, vcc_lo
	s_delay_alu instid0(VALU_DEP_2) | instskip(NEXT) | instid1(VALU_DEP_2)
	v_add_co_u32 v3, vcc_lo, v3, v12
	v_add_co_ci_u32_e32 v5, vcc_lo, 0, v5, vcc_lo
	s_delay_alu instid0(VALU_DEP_2) | instskip(SKIP_1) | instid1(VALU_DEP_3)
	v_mul_lo_u32 v10, s21, v3
	v_mad_u64_u32 v[7:8], null, s20, v3, 0
	v_mul_lo_u32 v11, s20, v5
	s_delay_alu instid0(VALU_DEP_2) | instskip(NEXT) | instid1(VALU_DEP_2)
	v_sub_co_u32 v7, vcc_lo, v15, v7
	v_add3_u32 v8, v8, v11, v10
	s_delay_alu instid0(VALU_DEP_1) | instskip(NEXT) | instid1(VALU_DEP_1)
	v_sub_nc_u32_e32 v10, v16, v8
	v_subrev_co_ci_u32_e64 v10, s0, s21, v10, vcc_lo
	v_add_co_u32 v11, s0, v3, 2
	s_delay_alu instid0(VALU_DEP_1) | instskip(SKIP_3) | instid1(VALU_DEP_3)
	v_add_co_ci_u32_e64 v12, s0, 0, v5, s0
	v_sub_co_u32 v13, s0, v7, s20
	v_sub_co_ci_u32_e32 v8, vcc_lo, v16, v8, vcc_lo
	v_subrev_co_ci_u32_e64 v10, s0, 0, v10, s0
	v_cmp_le_u32_e32 vcc_lo, s20, v13
	s_delay_alu instid0(VALU_DEP_3) | instskip(SKIP_1) | instid1(VALU_DEP_4)
	v_cmp_eq_u32_e64 s0, s21, v8
	v_cndmask_b32_e64 v13, 0, -1, vcc_lo
	v_cmp_le_u32_e32 vcc_lo, s21, v10
	v_cndmask_b32_e64 v15, 0, -1, vcc_lo
	v_cmp_le_u32_e32 vcc_lo, s20, v7
	;; [unrolled: 2-line block ×3, first 2 shown]
	v_cndmask_b32_e64 v16, 0, -1, vcc_lo
	v_cmp_eq_u32_e32 vcc_lo, s21, v10
	s_delay_alu instid0(VALU_DEP_2) | instskip(SKIP_3) | instid1(VALU_DEP_3)
	v_cndmask_b32_e64 v7, v16, v7, s0
	v_cndmask_b32_e32 v10, v15, v13, vcc_lo
	v_add_co_u32 v13, vcc_lo, v3, 1
	v_add_co_ci_u32_e32 v15, vcc_lo, 0, v5, vcc_lo
	v_cmp_ne_u32_e32 vcc_lo, 0, v10
	s_delay_alu instid0(VALU_DEP_3) | instskip(NEXT) | instid1(VALU_DEP_3)
	v_cndmask_b32_e32 v10, v13, v11, vcc_lo
	v_cndmask_b32_e32 v8, v15, v12, vcc_lo
	v_cmp_ne_u32_e32 vcc_lo, 0, v7
	v_xor_b32_e32 v7, s18, v14
	s_delay_alu instid0(VALU_DEP_4) | instskip(NEXT) | instid1(VALU_DEP_4)
	v_cndmask_b32_e32 v3, v3, v10, vcc_lo
	v_cndmask_b32_e32 v5, v5, v8, vcc_lo
	v_xor_b32_e32 v8, s19, v14
	s_delay_alu instid0(VALU_DEP_3) | instskip(NEXT) | instid1(VALU_DEP_2)
	v_xor_b32_e32 v3, v3, v7
	v_xor_b32_e32 v5, v5, v8
	s_delay_alu instid0(VALU_DEP_2) | instskip(NEXT) | instid1(VALU_DEP_2)
	v_sub_co_u32 v7, vcc_lo, v3, v7
	v_sub_co_ci_u32_e32 v8, vcc_lo, v5, v8, vcc_lo
.LBB44_17:                              ;   in Loop: Header=BB44_15 Depth=2
	s_and_not1_saveexec_b32 s0, s41
	s_cbranch_execz .LBB44_19
; %bb.18:                               ;   in Loop: Header=BB44_15 Depth=2
	v_cvt_f32_u32_e32 v3, s23
	s_sub_i32 s18, 0, s23
	s_delay_alu instid0(VALU_DEP_1) | instskip(SKIP_2) | instid1(VALU_DEP_1)
	v_rcp_iflag_f32_e32 v3, v3
	s_waitcnt_depctr 0xfff
	v_mul_f32_e32 v3, 0x4f7ffffe, v3
	v_cvt_u32_f32_e32 v3, v3
	s_delay_alu instid0(VALU_DEP_1) | instskip(NEXT) | instid1(VALU_DEP_1)
	v_mul_lo_u32 v5, s18, v3
	v_mul_hi_u32 v5, v3, v5
	s_delay_alu instid0(VALU_DEP_1) | instskip(NEXT) | instid1(VALU_DEP_1)
	v_add_nc_u32_e32 v3, v3, v5
	v_mul_hi_u32 v3, v9, v3
	s_delay_alu instid0(VALU_DEP_1) | instskip(SKIP_1) | instid1(VALU_DEP_2)
	v_mul_lo_u32 v5, v3, s23
	v_add_nc_u32_e32 v7, 1, v3
	v_sub_nc_u32_e32 v5, v9, v5
	s_delay_alu instid0(VALU_DEP_1) | instskip(SKIP_1) | instid1(VALU_DEP_2)
	v_subrev_nc_u32_e32 v8, s23, v5
	v_cmp_le_u32_e32 vcc_lo, s23, v5
	v_dual_cndmask_b32 v5, v5, v8 :: v_dual_mov_b32 v8, v2
	v_cndmask_b32_e32 v3, v3, v7, vcc_lo
	s_delay_alu instid0(VALU_DEP_2) | instskip(NEXT) | instid1(VALU_DEP_2)
	v_cmp_le_u32_e32 vcc_lo, s23, v5
	v_add_nc_u32_e32 v7, 1, v3
	s_delay_alu instid0(VALU_DEP_1)
	v_cndmask_b32_e32 v7, v3, v7, vcc_lo
.LBB44_19:                              ;   in Loop: Header=BB44_15 Depth=2
	s_or_b32 exec_lo, exec_lo, s0
	s_add_u32 s16, s30, s16
	s_addc_u32 s17, s1, s17
	s_delay_alu instid0(VALU_DEP_1) | instskip(SKIP_4) | instid1(VALU_DEP_1)
	v_mul_lo_u32 v3, v7, s23
	s_load_b32 s0, s[16:17], 0x0
	s_add_i32 s22, s22, -1
	s_add_i32 s14, s14, -1
	s_cmp_lg_u32 s22, 0
	v_sub_nc_u32_e32 v3, v9, v3
	s_waitcnt lgkmcnt(0)
	s_delay_alu instid0(VALU_DEP_1) | instskip(NEXT) | instid1(VALU_DEP_1)
	v_mad_u64_u32 v[9:10], null, s0, v3, v[4:5]
	v_mov_b32_e32 v4, v9
	s_cbranch_scc0 .LBB44_22
; %bb.20:                               ;   in Loop: Header=BB44_15 Depth=2
	v_dual_mov_b32 v10, v8 :: v_dual_mov_b32 v9, v7
	s_branch .LBB44_15
.LBB44_21:                              ;   in Loop: Header=BB44_3 Depth=1
	s_mov_b32 s14, s31
.LBB44_22:                              ;   in Loop: Header=BB44_3 Depth=1
	s_and_not1_b32 vcc_lo, exec_lo, s36
	s_cbranch_vccnz .LBB44_58
; %bb.23:                               ;   in Loop: Header=BB44_3 Depth=1
	s_add_i32 s16, s14, -7
.LBB44_24:                              ;   Parent Loop BB44_3 Depth=1
                                        ; =>  This Inner Loop Header: Depth=2
	s_delay_alu instid0(SALU_CYCLE_1) | instskip(NEXT) | instid1(SALU_CYCLE_1)
	s_add_i32 s14, s16, 7
                                        ; implicit-def: $vgpr9_vgpr10
	s_lshl_b64 s[18:19], s[14:15], 2
	s_mov_b32 s14, exec_lo
	s_add_u32 s20, s26, s18
	s_addc_u32 s21, s27, s19
	s_load_b32 s41, s[20:21], 0x0
	s_waitcnt lgkmcnt(0)
	s_ashr_i32 s0, s41, 31
	s_delay_alu instid0(SALU_CYCLE_1) | instskip(NEXT) | instid1(VALU_DEP_1)
	v_or_b32_e32 v3, s0, v8
	v_cmpx_ne_u64_e32 0, v[2:3]
	s_xor_b32 s14, exec_lo, s14
	s_cbranch_execz .LBB44_26
; %bb.25:                               ;   in Loop: Header=BB44_24 Depth=2
	s_add_u32 s22, s41, s0
	s_mov_b32 s20, s0
	s_mov_b32 s21, s0
	s_addc_u32 s23, s0, s0
	s_delay_alu instid0(SALU_CYCLE_1) | instskip(NEXT) | instid1(SALU_CYCLE_1)
	s_xor_b64 s[22:23], s[22:23], s[20:21]
	v_cvt_f32_u32_e32 v3, s22
	v_cvt_f32_u32_e32 v5, s23
	s_sub_u32 s0, 0, s22
	s_subb_u32 s17, 0, s23
	s_delay_alu instid0(VALU_DEP_1) | instskip(NEXT) | instid1(VALU_DEP_1)
	v_fmac_f32_e32 v3, 0x4f800000, v5
	v_rcp_f32_e32 v3, v3
	s_waitcnt_depctr 0xfff
	v_mul_f32_e32 v3, 0x5f7ffffc, v3
	s_delay_alu instid0(VALU_DEP_1) | instskip(NEXT) | instid1(VALU_DEP_1)
	v_mul_f32_e32 v5, 0x2f800000, v3
	v_trunc_f32_e32 v5, v5
	s_delay_alu instid0(VALU_DEP_1) | instskip(SKIP_1) | instid1(VALU_DEP_2)
	v_fmac_f32_e32 v3, 0xcf800000, v5
	v_cvt_u32_f32_e32 v5, v5
	v_cvt_u32_f32_e32 v3, v3
	s_delay_alu instid0(VALU_DEP_2) | instskip(NEXT) | instid1(VALU_DEP_2)
	v_mul_lo_u32 v9, s0, v5
	v_mul_hi_u32 v10, s0, v3
	v_mul_lo_u32 v11, s17, v3
	s_delay_alu instid0(VALU_DEP_2) | instskip(SKIP_1) | instid1(VALU_DEP_2)
	v_add_nc_u32_e32 v9, v10, v9
	v_mul_lo_u32 v10, s0, v3
	v_add_nc_u32_e32 v9, v9, v11
	s_delay_alu instid0(VALU_DEP_2) | instskip(NEXT) | instid1(VALU_DEP_2)
	v_mul_hi_u32 v11, v3, v10
	v_mul_lo_u32 v12, v3, v9
	v_mul_hi_u32 v13, v3, v9
	v_mul_hi_u32 v14, v5, v10
	v_mul_lo_u32 v10, v5, v10
	v_mul_hi_u32 v15, v5, v9
	v_mul_lo_u32 v9, v5, v9
	v_add_co_u32 v11, vcc_lo, v11, v12
	v_add_co_ci_u32_e32 v12, vcc_lo, 0, v13, vcc_lo
	s_delay_alu instid0(VALU_DEP_2) | instskip(NEXT) | instid1(VALU_DEP_2)
	v_add_co_u32 v10, vcc_lo, v11, v10
	v_add_co_ci_u32_e32 v10, vcc_lo, v12, v14, vcc_lo
	v_add_co_ci_u32_e32 v11, vcc_lo, 0, v15, vcc_lo
	v_ashrrev_i32_e32 v14, 31, v8
	s_delay_alu instid0(VALU_DEP_3) | instskip(NEXT) | instid1(VALU_DEP_3)
	v_add_co_u32 v9, vcc_lo, v10, v9
	v_add_co_ci_u32_e32 v10, vcc_lo, 0, v11, vcc_lo
	s_delay_alu instid0(VALU_DEP_2) | instskip(NEXT) | instid1(VALU_DEP_2)
	v_add_co_u32 v3, vcc_lo, v3, v9
	v_add_co_ci_u32_e32 v5, vcc_lo, v5, v10, vcc_lo
	s_delay_alu instid0(VALU_DEP_2) | instskip(SKIP_1) | instid1(VALU_DEP_3)
	v_mul_hi_u32 v9, s0, v3
	v_mul_lo_u32 v11, s17, v3
	v_mul_lo_u32 v10, s0, v5
	s_delay_alu instid0(VALU_DEP_1) | instskip(SKIP_1) | instid1(VALU_DEP_2)
	v_add_nc_u32_e32 v9, v9, v10
	v_mul_lo_u32 v10, s0, v3
	v_add_nc_u32_e32 v9, v9, v11
	s_delay_alu instid0(VALU_DEP_2) | instskip(NEXT) | instid1(VALU_DEP_2)
	v_mul_hi_u32 v11, v3, v10
	v_mul_lo_u32 v12, v3, v9
	v_mul_hi_u32 v13, v3, v9
	v_mul_hi_u32 v15, v5, v10
	v_mul_lo_u32 v10, v5, v10
	v_mul_hi_u32 v16, v5, v9
	v_mul_lo_u32 v9, v5, v9
	v_add_co_u32 v11, vcc_lo, v11, v12
	v_add_co_ci_u32_e32 v12, vcc_lo, 0, v13, vcc_lo
	s_delay_alu instid0(VALU_DEP_2) | instskip(NEXT) | instid1(VALU_DEP_2)
	v_add_co_u32 v10, vcc_lo, v11, v10
	v_add_co_ci_u32_e32 v10, vcc_lo, v12, v15, vcc_lo
	v_add_co_ci_u32_e32 v11, vcc_lo, 0, v16, vcc_lo
	v_add_co_u32 v12, vcc_lo, v7, v14
	v_add_co_ci_u32_e32 v8, vcc_lo, v8, v14, vcc_lo
	s_delay_alu instid0(VALU_DEP_4) | instskip(NEXT) | instid1(VALU_DEP_4)
	v_add_co_u32 v9, vcc_lo, v10, v9
	v_add_co_ci_u32_e32 v10, vcc_lo, 0, v11, vcc_lo
	s_delay_alu instid0(VALU_DEP_4) | instskip(NEXT) | instid1(VALU_DEP_3)
	v_xor_b32_e32 v15, v12, v14
	v_add_co_u32 v3, vcc_lo, v3, v9
	s_delay_alu instid0(VALU_DEP_3) | instskip(SKIP_1) | instid1(VALU_DEP_3)
	v_add_co_ci_u32_e32 v5, vcc_lo, v5, v10, vcc_lo
	v_xor_b32_e32 v16, v8, v14
	v_mul_hi_u32 v17, v15, v3
	s_delay_alu instid0(VALU_DEP_3) | instskip(NEXT) | instid1(VALU_DEP_3)
	v_mad_u64_u32 v[8:9], null, v15, v5, 0
	v_mad_u64_u32 v[10:11], null, v16, v3, 0
	;; [unrolled: 1-line block ×3, first 2 shown]
	s_delay_alu instid0(VALU_DEP_3) | instskip(NEXT) | instid1(VALU_DEP_4)
	v_add_co_u32 v3, vcc_lo, v17, v8
	v_add_co_ci_u32_e32 v5, vcc_lo, 0, v9, vcc_lo
	s_delay_alu instid0(VALU_DEP_2) | instskip(NEXT) | instid1(VALU_DEP_2)
	v_add_co_u32 v3, vcc_lo, v3, v10
	v_add_co_ci_u32_e32 v3, vcc_lo, v5, v11, vcc_lo
	v_add_co_ci_u32_e32 v5, vcc_lo, 0, v13, vcc_lo
	s_delay_alu instid0(VALU_DEP_2) | instskip(NEXT) | instid1(VALU_DEP_2)
	v_add_co_u32 v3, vcc_lo, v3, v12
	v_add_co_ci_u32_e32 v5, vcc_lo, 0, v5, vcc_lo
	s_delay_alu instid0(VALU_DEP_2) | instskip(SKIP_1) | instid1(VALU_DEP_3)
	v_mul_lo_u32 v10, s23, v3
	v_mad_u64_u32 v[8:9], null, s22, v3, 0
	v_mul_lo_u32 v11, s22, v5
	s_delay_alu instid0(VALU_DEP_2) | instskip(NEXT) | instid1(VALU_DEP_2)
	v_sub_co_u32 v8, vcc_lo, v15, v8
	v_add3_u32 v9, v9, v11, v10
	s_delay_alu instid0(VALU_DEP_1) | instskip(NEXT) | instid1(VALU_DEP_1)
	v_sub_nc_u32_e32 v10, v16, v9
	v_subrev_co_ci_u32_e64 v10, s0, s23, v10, vcc_lo
	v_add_co_u32 v11, s0, v3, 2
	s_delay_alu instid0(VALU_DEP_1) | instskip(SKIP_3) | instid1(VALU_DEP_3)
	v_add_co_ci_u32_e64 v12, s0, 0, v5, s0
	v_sub_co_u32 v13, s0, v8, s22
	v_sub_co_ci_u32_e32 v9, vcc_lo, v16, v9, vcc_lo
	v_subrev_co_ci_u32_e64 v10, s0, 0, v10, s0
	v_cmp_le_u32_e32 vcc_lo, s22, v13
	s_delay_alu instid0(VALU_DEP_3) | instskip(SKIP_1) | instid1(VALU_DEP_4)
	v_cmp_eq_u32_e64 s0, s23, v9
	v_cndmask_b32_e64 v13, 0, -1, vcc_lo
	v_cmp_le_u32_e32 vcc_lo, s23, v10
	v_cndmask_b32_e64 v15, 0, -1, vcc_lo
	v_cmp_le_u32_e32 vcc_lo, s22, v8
	;; [unrolled: 2-line block ×3, first 2 shown]
	v_cndmask_b32_e64 v16, 0, -1, vcc_lo
	v_cmp_eq_u32_e32 vcc_lo, s23, v10
	s_delay_alu instid0(VALU_DEP_2) | instskip(SKIP_3) | instid1(VALU_DEP_3)
	v_cndmask_b32_e64 v8, v16, v8, s0
	v_cndmask_b32_e32 v10, v15, v13, vcc_lo
	v_add_co_u32 v13, vcc_lo, v3, 1
	v_add_co_ci_u32_e32 v15, vcc_lo, 0, v5, vcc_lo
	v_cmp_ne_u32_e32 vcc_lo, 0, v10
	s_delay_alu instid0(VALU_DEP_2) | instskip(SKIP_2) | instid1(VALU_DEP_3)
	v_dual_cndmask_b32 v9, v15, v12 :: v_dual_cndmask_b32 v10, v13, v11
	v_cmp_ne_u32_e32 vcc_lo, 0, v8
	v_xor_b32_e32 v8, s20, v14
	v_cndmask_b32_e32 v3, v3, v10, vcc_lo
	s_delay_alu instid0(VALU_DEP_4) | instskip(SKIP_1) | instid1(VALU_DEP_3)
	v_cndmask_b32_e32 v5, v5, v9, vcc_lo
	v_xor_b32_e32 v10, s21, v14
	v_xor_b32_e32 v3, v3, v8
	s_delay_alu instid0(VALU_DEP_2) | instskip(NEXT) | instid1(VALU_DEP_2)
	v_xor_b32_e32 v5, v5, v10
	v_sub_co_u32 v9, vcc_lo, v3, v8
	s_delay_alu instid0(VALU_DEP_2)
	v_sub_co_ci_u32_e32 v10, vcc_lo, v5, v10, vcc_lo
.LBB44_26:                              ;   in Loop: Header=BB44_24 Depth=2
	s_and_not1_saveexec_b32 s0, s14
	s_cbranch_execz .LBB44_28
; %bb.27:                               ;   in Loop: Header=BB44_24 Depth=2
	v_cvt_f32_u32_e32 v3, s41
	s_sub_i32 s14, 0, s41
	v_mov_b32_e32 v10, v2
	s_delay_alu instid0(VALU_DEP_2) | instskip(SKIP_2) | instid1(VALU_DEP_1)
	v_rcp_iflag_f32_e32 v3, v3
	s_waitcnt_depctr 0xfff
	v_mul_f32_e32 v3, 0x4f7ffffe, v3
	v_cvt_u32_f32_e32 v3, v3
	s_delay_alu instid0(VALU_DEP_1) | instskip(NEXT) | instid1(VALU_DEP_1)
	v_mul_lo_u32 v5, s14, v3
	v_mul_hi_u32 v5, v3, v5
	s_delay_alu instid0(VALU_DEP_1) | instskip(NEXT) | instid1(VALU_DEP_1)
	v_add_nc_u32_e32 v3, v3, v5
	v_mul_hi_u32 v3, v7, v3
	s_delay_alu instid0(VALU_DEP_1) | instskip(NEXT) | instid1(VALU_DEP_1)
	v_mul_lo_u32 v5, v3, s41
	v_sub_nc_u32_e32 v5, v7, v5
	s_delay_alu instid0(VALU_DEP_1) | instskip(SKIP_1) | instid1(VALU_DEP_2)
	v_subrev_nc_u32_e32 v9, s41, v5
	v_cmp_le_u32_e32 vcc_lo, s41, v5
	v_dual_cndmask_b32 v5, v5, v9 :: v_dual_add_nc_u32 v8, 1, v3
	s_delay_alu instid0(VALU_DEP_1) | instskip(NEXT) | instid1(VALU_DEP_2)
	v_cndmask_b32_e32 v3, v3, v8, vcc_lo
	v_cmp_le_u32_e32 vcc_lo, s41, v5
	s_delay_alu instid0(VALU_DEP_2) | instskip(NEXT) | instid1(VALU_DEP_1)
	v_add_nc_u32_e32 v8, 1, v3
	v_cndmask_b32_e32 v9, v3, v8, vcc_lo
.LBB44_28:                              ;   in Loop: Header=BB44_24 Depth=2
	s_or_b32 exec_lo, exec_lo, s0
	s_add_u32 s20, s30, s18
	s_addc_u32 s21, s1, s19
	s_add_i32 s14, s16, 6
                                        ; implicit-def: $vgpr11_vgpr12
	s_delay_alu instid0(SALU_CYCLE_1)
	s_lshl_b64 s[18:19], s[14:15], 2
	s_mov_b32 s14, exec_lo
	s_add_u32 s22, s26, s18
	s_addc_u32 s23, s27, s19
	s_clause 0x1
	s_load_b32 s43, s[22:23], 0x0
	s_load_b32 s42, s[20:21], 0x0
	s_waitcnt lgkmcnt(0)
	s_ashr_i32 s0, s43, 31
	s_delay_alu instid0(SALU_CYCLE_1) | instskip(NEXT) | instid1(VALU_DEP_1)
	v_or_b32_e32 v3, s0, v10
	v_cmpx_ne_u64_e32 0, v[2:3]
	s_xor_b32 s14, exec_lo, s14
	s_cbranch_execz .LBB44_30
; %bb.29:                               ;   in Loop: Header=BB44_24 Depth=2
	s_add_u32 s22, s43, s0
	s_mov_b32 s20, s0
	s_mov_b32 s21, s0
	s_addc_u32 s23, s0, s0
	s_delay_alu instid0(SALU_CYCLE_1) | instskip(NEXT) | instid1(SALU_CYCLE_1)
	s_xor_b64 s[22:23], s[22:23], s[20:21]
	v_cvt_f32_u32_e32 v3, s22
	v_cvt_f32_u32_e32 v5, s23
	s_sub_u32 s0, 0, s22
	s_subb_u32 s17, 0, s23
	s_delay_alu instid0(VALU_DEP_1) | instskip(NEXT) | instid1(VALU_DEP_1)
	v_fmac_f32_e32 v3, 0x4f800000, v5
	v_rcp_f32_e32 v3, v3
	s_waitcnt_depctr 0xfff
	v_mul_f32_e32 v3, 0x5f7ffffc, v3
	s_delay_alu instid0(VALU_DEP_1) | instskip(NEXT) | instid1(VALU_DEP_1)
	v_mul_f32_e32 v5, 0x2f800000, v3
	v_trunc_f32_e32 v5, v5
	s_delay_alu instid0(VALU_DEP_1) | instskip(SKIP_1) | instid1(VALU_DEP_2)
	v_fmac_f32_e32 v3, 0xcf800000, v5
	v_cvt_u32_f32_e32 v5, v5
	v_cvt_u32_f32_e32 v3, v3
	s_delay_alu instid0(VALU_DEP_2) | instskip(NEXT) | instid1(VALU_DEP_2)
	v_mul_lo_u32 v8, s0, v5
	v_mul_hi_u32 v11, s0, v3
	v_mul_lo_u32 v12, s17, v3
	s_delay_alu instid0(VALU_DEP_2) | instskip(SKIP_1) | instid1(VALU_DEP_2)
	v_add_nc_u32_e32 v8, v11, v8
	v_mul_lo_u32 v11, s0, v3
	v_add_nc_u32_e32 v8, v8, v12
	s_delay_alu instid0(VALU_DEP_2) | instskip(NEXT) | instid1(VALU_DEP_2)
	v_mul_hi_u32 v12, v3, v11
	v_mul_lo_u32 v13, v3, v8
	v_mul_hi_u32 v14, v3, v8
	v_mul_hi_u32 v15, v5, v11
	v_mul_lo_u32 v11, v5, v11
	v_mul_hi_u32 v16, v5, v8
	v_mul_lo_u32 v8, v5, v8
	v_add_co_u32 v12, vcc_lo, v12, v13
	v_add_co_ci_u32_e32 v13, vcc_lo, 0, v14, vcc_lo
	s_delay_alu instid0(VALU_DEP_2) | instskip(NEXT) | instid1(VALU_DEP_2)
	v_add_co_u32 v11, vcc_lo, v12, v11
	v_add_co_ci_u32_e32 v11, vcc_lo, v13, v15, vcc_lo
	v_add_co_ci_u32_e32 v12, vcc_lo, 0, v16, vcc_lo
	v_ashrrev_i32_e32 v16, 31, v10
	s_delay_alu instid0(VALU_DEP_3) | instskip(NEXT) | instid1(VALU_DEP_3)
	v_add_co_u32 v8, vcc_lo, v11, v8
	v_add_co_ci_u32_e32 v11, vcc_lo, 0, v12, vcc_lo
	s_delay_alu instid0(VALU_DEP_2) | instskip(NEXT) | instid1(VALU_DEP_2)
	v_add_co_u32 v3, vcc_lo, v3, v8
	v_add_co_ci_u32_e32 v5, vcc_lo, v5, v11, vcc_lo
	s_delay_alu instid0(VALU_DEP_2) | instskip(SKIP_1) | instid1(VALU_DEP_3)
	v_mul_hi_u32 v8, s0, v3
	v_mul_lo_u32 v12, s17, v3
	v_mul_lo_u32 v11, s0, v5
	s_delay_alu instid0(VALU_DEP_1) | instskip(SKIP_1) | instid1(VALU_DEP_2)
	v_add_nc_u32_e32 v8, v8, v11
	v_mul_lo_u32 v11, s0, v3
	v_add_nc_u32_e32 v8, v8, v12
	s_delay_alu instid0(VALU_DEP_2) | instskip(NEXT) | instid1(VALU_DEP_2)
	v_mul_hi_u32 v12, v3, v11
	v_mul_lo_u32 v13, v3, v8
	v_mul_hi_u32 v14, v3, v8
	v_mul_hi_u32 v15, v5, v11
	v_mul_lo_u32 v11, v5, v11
	v_mul_hi_u32 v17, v5, v8
	v_mul_lo_u32 v8, v5, v8
	v_add_co_u32 v12, vcc_lo, v12, v13
	v_add_co_ci_u32_e32 v13, vcc_lo, 0, v14, vcc_lo
	s_delay_alu instid0(VALU_DEP_2) | instskip(NEXT) | instid1(VALU_DEP_2)
	v_add_co_u32 v11, vcc_lo, v12, v11
	v_add_co_ci_u32_e32 v11, vcc_lo, v13, v15, vcc_lo
	v_add_co_ci_u32_e32 v12, vcc_lo, 0, v17, vcc_lo
	v_add_co_u32 v13, vcc_lo, v9, v16
	v_add_co_ci_u32_e32 v10, vcc_lo, v10, v16, vcc_lo
	s_delay_alu instid0(VALU_DEP_4) | instskip(NEXT) | instid1(VALU_DEP_4)
	v_add_co_u32 v8, vcc_lo, v11, v8
	v_add_co_ci_u32_e32 v11, vcc_lo, 0, v12, vcc_lo
	s_delay_alu instid0(VALU_DEP_4) | instskip(NEXT) | instid1(VALU_DEP_3)
	v_xor_b32_e32 v17, v13, v16
	v_add_co_u32 v3, vcc_lo, v3, v8
	s_delay_alu instid0(VALU_DEP_3) | instskip(SKIP_1) | instid1(VALU_DEP_3)
	v_add_co_ci_u32_e32 v5, vcc_lo, v5, v11, vcc_lo
	v_xor_b32_e32 v8, v10, v16
	v_mul_hi_u32 v18, v17, v3
	s_delay_alu instid0(VALU_DEP_3) | instskip(NEXT) | instid1(VALU_DEP_3)
	v_mad_u64_u32 v[10:11], null, v17, v5, 0
	v_mad_u64_u32 v[12:13], null, v8, v3, 0
	;; [unrolled: 1-line block ×3, first 2 shown]
	s_delay_alu instid0(VALU_DEP_3) | instskip(NEXT) | instid1(VALU_DEP_4)
	v_add_co_u32 v3, vcc_lo, v18, v10
	v_add_co_ci_u32_e32 v5, vcc_lo, 0, v11, vcc_lo
	s_delay_alu instid0(VALU_DEP_2) | instskip(NEXT) | instid1(VALU_DEP_2)
	v_add_co_u32 v3, vcc_lo, v3, v12
	v_add_co_ci_u32_e32 v3, vcc_lo, v5, v13, vcc_lo
	v_add_co_ci_u32_e32 v5, vcc_lo, 0, v15, vcc_lo
	s_delay_alu instid0(VALU_DEP_2) | instskip(NEXT) | instid1(VALU_DEP_2)
	v_add_co_u32 v3, vcc_lo, v3, v14
	v_add_co_ci_u32_e32 v5, vcc_lo, 0, v5, vcc_lo
	s_delay_alu instid0(VALU_DEP_2) | instskip(SKIP_1) | instid1(VALU_DEP_3)
	v_mul_lo_u32 v12, s23, v3
	v_mad_u64_u32 v[10:11], null, s22, v3, 0
	v_mul_lo_u32 v13, s22, v5
	s_delay_alu instid0(VALU_DEP_2) | instskip(NEXT) | instid1(VALU_DEP_2)
	v_sub_co_u32 v10, vcc_lo, v17, v10
	v_add3_u32 v11, v11, v13, v12
	s_delay_alu instid0(VALU_DEP_1) | instskip(NEXT) | instid1(VALU_DEP_1)
	v_sub_nc_u32_e32 v12, v8, v11
	v_subrev_co_ci_u32_e64 v12, s0, s23, v12, vcc_lo
	v_add_co_u32 v13, s0, v3, 2
	s_delay_alu instid0(VALU_DEP_1) | instskip(SKIP_3) | instid1(VALU_DEP_3)
	v_add_co_ci_u32_e64 v14, s0, 0, v5, s0
	v_sub_co_u32 v15, s0, v10, s22
	v_sub_co_ci_u32_e32 v8, vcc_lo, v8, v11, vcc_lo
	v_subrev_co_ci_u32_e64 v12, s0, 0, v12, s0
	v_cmp_le_u32_e32 vcc_lo, s22, v15
	s_delay_alu instid0(VALU_DEP_3) | instskip(SKIP_1) | instid1(VALU_DEP_4)
	v_cmp_eq_u32_e64 s0, s23, v8
	v_cndmask_b32_e64 v11, 0, -1, vcc_lo
	v_cmp_le_u32_e32 vcc_lo, s23, v12
	v_cndmask_b32_e64 v15, 0, -1, vcc_lo
	v_cmp_le_u32_e32 vcc_lo, s22, v10
	;; [unrolled: 2-line block ×3, first 2 shown]
	v_cndmask_b32_e64 v17, 0, -1, vcc_lo
	v_cmp_eq_u32_e32 vcc_lo, s23, v12
	s_delay_alu instid0(VALU_DEP_2) | instskip(SKIP_3) | instid1(VALU_DEP_3)
	v_cndmask_b32_e64 v8, v17, v10, s0
	v_cndmask_b32_e32 v11, v15, v11, vcc_lo
	v_add_co_u32 v12, vcc_lo, v3, 1
	v_add_co_ci_u32_e32 v15, vcc_lo, 0, v5, vcc_lo
	v_cmp_ne_u32_e32 vcc_lo, 0, v11
	s_delay_alu instid0(VALU_DEP_2) | instskip(SKIP_2) | instid1(VALU_DEP_3)
	v_dual_cndmask_b32 v10, v15, v14 :: v_dual_cndmask_b32 v11, v12, v13
	v_cmp_ne_u32_e32 vcc_lo, 0, v8
	v_xor_b32_e32 v8, s20, v16
	v_cndmask_b32_e32 v3, v3, v11, vcc_lo
	s_delay_alu instid0(VALU_DEP_4) | instskip(SKIP_1) | instid1(VALU_DEP_3)
	v_cndmask_b32_e32 v5, v5, v10, vcc_lo
	v_xor_b32_e32 v10, s21, v16
	v_xor_b32_e32 v3, v3, v8
	s_delay_alu instid0(VALU_DEP_2) | instskip(NEXT) | instid1(VALU_DEP_2)
	v_xor_b32_e32 v5, v5, v10
	v_sub_co_u32 v11, vcc_lo, v3, v8
	s_delay_alu instid0(VALU_DEP_2)
	v_sub_co_ci_u32_e32 v12, vcc_lo, v5, v10, vcc_lo
.LBB44_30:                              ;   in Loop: Header=BB44_24 Depth=2
	s_and_not1_saveexec_b32 s0, s14
	s_cbranch_execz .LBB44_32
; %bb.31:                               ;   in Loop: Header=BB44_24 Depth=2
	v_cvt_f32_u32_e32 v3, s43
	s_sub_i32 s14, 0, s43
	v_mov_b32_e32 v12, v2
	s_delay_alu instid0(VALU_DEP_2) | instskip(SKIP_2) | instid1(VALU_DEP_1)
	v_rcp_iflag_f32_e32 v3, v3
	s_waitcnt_depctr 0xfff
	v_mul_f32_e32 v3, 0x4f7ffffe, v3
	v_cvt_u32_f32_e32 v3, v3
	s_delay_alu instid0(VALU_DEP_1) | instskip(NEXT) | instid1(VALU_DEP_1)
	v_mul_lo_u32 v5, s14, v3
	v_mul_hi_u32 v5, v3, v5
	s_delay_alu instid0(VALU_DEP_1) | instskip(NEXT) | instid1(VALU_DEP_1)
	v_add_nc_u32_e32 v3, v3, v5
	v_mul_hi_u32 v3, v9, v3
	s_delay_alu instid0(VALU_DEP_1) | instskip(NEXT) | instid1(VALU_DEP_1)
	v_mul_lo_u32 v5, v3, s43
	v_sub_nc_u32_e32 v5, v9, v5
	s_delay_alu instid0(VALU_DEP_1) | instskip(SKIP_1) | instid1(VALU_DEP_2)
	v_subrev_nc_u32_e32 v10, s43, v5
	v_cmp_le_u32_e32 vcc_lo, s43, v5
	v_dual_cndmask_b32 v5, v5, v10 :: v_dual_add_nc_u32 v8, 1, v3
	s_delay_alu instid0(VALU_DEP_1) | instskip(NEXT) | instid1(VALU_DEP_2)
	v_cndmask_b32_e32 v3, v3, v8, vcc_lo
	v_cmp_le_u32_e32 vcc_lo, s43, v5
	s_delay_alu instid0(VALU_DEP_2) | instskip(NEXT) | instid1(VALU_DEP_1)
	v_add_nc_u32_e32 v8, 1, v3
	v_cndmask_b32_e32 v11, v3, v8, vcc_lo
.LBB44_32:                              ;   in Loop: Header=BB44_24 Depth=2
	s_or_b32 exec_lo, exec_lo, s0
	s_add_u32 s20, s30, s18
	s_addc_u32 s21, s1, s19
	s_add_i32 s14, s16, 5
                                        ; implicit-def: $vgpr13_vgpr14
	s_delay_alu instid0(SALU_CYCLE_1)
	s_lshl_b64 s[18:19], s[14:15], 2
	s_mov_b32 s14, exec_lo
	s_add_u32 s22, s26, s18
	s_addc_u32 s23, s27, s19
	s_clause 0x1
	s_load_b32 s45, s[22:23], 0x0
	s_load_b32 s44, s[20:21], 0x0
	s_waitcnt lgkmcnt(0)
	s_ashr_i32 s0, s45, 31
	s_delay_alu instid0(SALU_CYCLE_1) | instskip(NEXT) | instid1(VALU_DEP_1)
	v_or_b32_e32 v3, s0, v12
	v_cmpx_ne_u64_e32 0, v[2:3]
	s_xor_b32 s14, exec_lo, s14
	s_cbranch_execz .LBB44_34
; %bb.33:                               ;   in Loop: Header=BB44_24 Depth=2
	s_add_u32 s22, s45, s0
	s_mov_b32 s20, s0
	s_mov_b32 s21, s0
	s_addc_u32 s23, s0, s0
	v_ashrrev_i32_e32 v18, 31, v12
	s_xor_b64 s[22:23], s[22:23], s[20:21]
	s_delay_alu instid0(SALU_CYCLE_1) | instskip(SKIP_3) | instid1(VALU_DEP_1)
	v_cvt_f32_u32_e32 v3, s22
	v_cvt_f32_u32_e32 v5, s23
	s_sub_u32 s0, 0, s22
	s_subb_u32 s17, 0, s23
	v_fmac_f32_e32 v3, 0x4f800000, v5
	s_delay_alu instid0(VALU_DEP_1) | instskip(SKIP_2) | instid1(VALU_DEP_1)
	v_rcp_f32_e32 v3, v3
	s_waitcnt_depctr 0xfff
	v_mul_f32_e32 v3, 0x5f7ffffc, v3
	v_mul_f32_e32 v5, 0x2f800000, v3
	s_delay_alu instid0(VALU_DEP_1) | instskip(NEXT) | instid1(VALU_DEP_1)
	v_trunc_f32_e32 v5, v5
	v_fmac_f32_e32 v3, 0xcf800000, v5
	v_cvt_u32_f32_e32 v5, v5
	s_delay_alu instid0(VALU_DEP_2) | instskip(NEXT) | instid1(VALU_DEP_2)
	v_cvt_u32_f32_e32 v3, v3
	v_mul_lo_u32 v8, s0, v5
	s_delay_alu instid0(VALU_DEP_2) | instskip(SKIP_1) | instid1(VALU_DEP_2)
	v_mul_hi_u32 v10, s0, v3
	v_mul_lo_u32 v13, s17, v3
	v_add_nc_u32_e32 v8, v10, v8
	v_mul_lo_u32 v10, s0, v3
	s_delay_alu instid0(VALU_DEP_2) | instskip(NEXT) | instid1(VALU_DEP_2)
	v_add_nc_u32_e32 v8, v8, v13
	v_mul_hi_u32 v13, v3, v10
	s_delay_alu instid0(VALU_DEP_2)
	v_mul_lo_u32 v14, v3, v8
	v_mul_hi_u32 v15, v3, v8
	v_mul_hi_u32 v16, v5, v10
	v_mul_lo_u32 v10, v5, v10
	v_mul_hi_u32 v17, v5, v8
	v_mul_lo_u32 v8, v5, v8
	v_add_co_u32 v13, vcc_lo, v13, v14
	v_add_co_ci_u32_e32 v14, vcc_lo, 0, v15, vcc_lo
	s_delay_alu instid0(VALU_DEP_2) | instskip(NEXT) | instid1(VALU_DEP_2)
	v_add_co_u32 v10, vcc_lo, v13, v10
	v_add_co_ci_u32_e32 v10, vcc_lo, v14, v16, vcc_lo
	v_add_co_ci_u32_e32 v13, vcc_lo, 0, v17, vcc_lo
	s_delay_alu instid0(VALU_DEP_2) | instskip(NEXT) | instid1(VALU_DEP_2)
	v_add_co_u32 v8, vcc_lo, v10, v8
	v_add_co_ci_u32_e32 v10, vcc_lo, 0, v13, vcc_lo
	s_delay_alu instid0(VALU_DEP_2) | instskip(NEXT) | instid1(VALU_DEP_2)
	v_add_co_u32 v3, vcc_lo, v3, v8
	v_add_co_ci_u32_e32 v5, vcc_lo, v5, v10, vcc_lo
	s_delay_alu instid0(VALU_DEP_2) | instskip(SKIP_1) | instid1(VALU_DEP_3)
	v_mul_hi_u32 v8, s0, v3
	v_mul_lo_u32 v13, s17, v3
	v_mul_lo_u32 v10, s0, v5
	s_delay_alu instid0(VALU_DEP_1) | instskip(SKIP_1) | instid1(VALU_DEP_2)
	v_add_nc_u32_e32 v8, v8, v10
	v_mul_lo_u32 v10, s0, v3
	v_add_nc_u32_e32 v8, v8, v13
	s_delay_alu instid0(VALU_DEP_2) | instskip(NEXT) | instid1(VALU_DEP_2)
	v_mul_hi_u32 v13, v3, v10
	v_mul_lo_u32 v14, v3, v8
	v_mul_hi_u32 v15, v3, v8
	v_mul_hi_u32 v16, v5, v10
	v_mul_lo_u32 v10, v5, v10
	v_mul_hi_u32 v17, v5, v8
	v_mul_lo_u32 v8, v5, v8
	v_add_co_u32 v13, vcc_lo, v13, v14
	v_add_co_ci_u32_e32 v14, vcc_lo, 0, v15, vcc_lo
	s_delay_alu instid0(VALU_DEP_2) | instskip(NEXT) | instid1(VALU_DEP_2)
	v_add_co_u32 v10, vcc_lo, v13, v10
	v_add_co_ci_u32_e32 v10, vcc_lo, v14, v16, vcc_lo
	v_add_co_ci_u32_e32 v13, vcc_lo, 0, v17, vcc_lo
	v_add_co_u32 v14, vcc_lo, v11, v18
	v_add_co_ci_u32_e32 v12, vcc_lo, v12, v18, vcc_lo
	s_delay_alu instid0(VALU_DEP_4) | instskip(NEXT) | instid1(VALU_DEP_4)
	v_add_co_u32 v8, vcc_lo, v10, v8
	v_add_co_ci_u32_e32 v10, vcc_lo, 0, v13, vcc_lo
	s_delay_alu instid0(VALU_DEP_4) | instskip(NEXT) | instid1(VALU_DEP_3)
	v_xor_b32_e32 v19, v14, v18
	v_add_co_u32 v3, vcc_lo, v3, v8
	s_delay_alu instid0(VALU_DEP_3) | instskip(SKIP_1) | instid1(VALU_DEP_3)
	v_add_co_ci_u32_e32 v5, vcc_lo, v5, v10, vcc_lo
	v_xor_b32_e32 v8, v12, v18
	v_mul_hi_u32 v10, v19, v3
	s_delay_alu instid0(VALU_DEP_3) | instskip(NEXT) | instid1(VALU_DEP_3)
	v_mad_u64_u32 v[12:13], null, v19, v5, 0
	v_mad_u64_u32 v[14:15], null, v8, v3, 0
	;; [unrolled: 1-line block ×3, first 2 shown]
	s_delay_alu instid0(VALU_DEP_3) | instskip(NEXT) | instid1(VALU_DEP_4)
	v_add_co_u32 v3, vcc_lo, v10, v12
	v_add_co_ci_u32_e32 v5, vcc_lo, 0, v13, vcc_lo
	s_delay_alu instid0(VALU_DEP_2) | instskip(NEXT) | instid1(VALU_DEP_2)
	v_add_co_u32 v3, vcc_lo, v3, v14
	v_add_co_ci_u32_e32 v3, vcc_lo, v5, v15, vcc_lo
	v_add_co_ci_u32_e32 v5, vcc_lo, 0, v17, vcc_lo
	s_delay_alu instid0(VALU_DEP_2) | instskip(NEXT) | instid1(VALU_DEP_2)
	v_add_co_u32 v3, vcc_lo, v3, v16
	v_add_co_ci_u32_e32 v5, vcc_lo, 0, v5, vcc_lo
	s_delay_alu instid0(VALU_DEP_2) | instskip(SKIP_1) | instid1(VALU_DEP_3)
	v_mul_lo_u32 v10, s23, v3
	v_mad_u64_u32 v[12:13], null, s22, v3, 0
	v_mul_lo_u32 v14, s22, v5
	s_delay_alu instid0(VALU_DEP_2) | instskip(NEXT) | instid1(VALU_DEP_2)
	v_sub_co_u32 v12, vcc_lo, v19, v12
	v_add3_u32 v10, v13, v14, v10
	s_delay_alu instid0(VALU_DEP_1) | instskip(NEXT) | instid1(VALU_DEP_1)
	v_sub_nc_u32_e32 v13, v8, v10
	v_subrev_co_ci_u32_e64 v13, s0, s23, v13, vcc_lo
	v_add_co_u32 v14, s0, v3, 2
	s_delay_alu instid0(VALU_DEP_1) | instskip(SKIP_3) | instid1(VALU_DEP_3)
	v_add_co_ci_u32_e64 v15, s0, 0, v5, s0
	v_sub_co_u32 v16, s0, v12, s22
	v_sub_co_ci_u32_e32 v8, vcc_lo, v8, v10, vcc_lo
	v_subrev_co_ci_u32_e64 v13, s0, 0, v13, s0
	v_cmp_le_u32_e32 vcc_lo, s22, v16
	s_delay_alu instid0(VALU_DEP_3) | instskip(SKIP_1) | instid1(VALU_DEP_4)
	v_cmp_eq_u32_e64 s0, s23, v8
	v_cndmask_b32_e64 v10, 0, -1, vcc_lo
	v_cmp_le_u32_e32 vcc_lo, s23, v13
	v_cndmask_b32_e64 v16, 0, -1, vcc_lo
	v_cmp_le_u32_e32 vcc_lo, s22, v12
	;; [unrolled: 2-line block ×3, first 2 shown]
	v_cndmask_b32_e64 v17, 0, -1, vcc_lo
	v_cmp_eq_u32_e32 vcc_lo, s23, v13
	s_delay_alu instid0(VALU_DEP_2) | instskip(SKIP_3) | instid1(VALU_DEP_3)
	v_cndmask_b32_e64 v8, v17, v12, s0
	v_cndmask_b32_e32 v10, v16, v10, vcc_lo
	v_add_co_u32 v13, vcc_lo, v3, 1
	v_add_co_ci_u32_e32 v16, vcc_lo, 0, v5, vcc_lo
	v_cmp_ne_u32_e32 vcc_lo, 0, v10
	s_delay_alu instid0(VALU_DEP_3) | instskip(NEXT) | instid1(VALU_DEP_3)
	v_cndmask_b32_e32 v12, v13, v14, vcc_lo
	v_cndmask_b32_e32 v10, v16, v15, vcc_lo
	v_cmp_ne_u32_e32 vcc_lo, 0, v8
	v_xor_b32_e32 v8, s20, v18
	s_delay_alu instid0(VALU_DEP_4) | instskip(NEXT) | instid1(VALU_DEP_4)
	v_cndmask_b32_e32 v3, v3, v12, vcc_lo
	v_cndmask_b32_e32 v5, v5, v10, vcc_lo
	v_xor_b32_e32 v10, s21, v18
	s_delay_alu instid0(VALU_DEP_3) | instskip(NEXT) | instid1(VALU_DEP_2)
	v_xor_b32_e32 v3, v3, v8
	v_xor_b32_e32 v5, v5, v10
	s_delay_alu instid0(VALU_DEP_2) | instskip(NEXT) | instid1(VALU_DEP_2)
	v_sub_co_u32 v13, vcc_lo, v3, v8
	v_sub_co_ci_u32_e32 v14, vcc_lo, v5, v10, vcc_lo
.LBB44_34:                              ;   in Loop: Header=BB44_24 Depth=2
	s_and_not1_saveexec_b32 s0, s14
	s_cbranch_execz .LBB44_36
; %bb.35:                               ;   in Loop: Header=BB44_24 Depth=2
	v_cvt_f32_u32_e32 v3, s45
	s_sub_i32 s14, 0, s45
	v_mov_b32_e32 v14, v2
	s_delay_alu instid0(VALU_DEP_2) | instskip(SKIP_2) | instid1(VALU_DEP_1)
	v_rcp_iflag_f32_e32 v3, v3
	s_waitcnt_depctr 0xfff
	v_mul_f32_e32 v3, 0x4f7ffffe, v3
	v_cvt_u32_f32_e32 v3, v3
	s_delay_alu instid0(VALU_DEP_1) | instskip(NEXT) | instid1(VALU_DEP_1)
	v_mul_lo_u32 v5, s14, v3
	v_mul_hi_u32 v5, v3, v5
	s_delay_alu instid0(VALU_DEP_1) | instskip(NEXT) | instid1(VALU_DEP_1)
	v_add_nc_u32_e32 v3, v3, v5
	v_mul_hi_u32 v3, v11, v3
	s_delay_alu instid0(VALU_DEP_1) | instskip(NEXT) | instid1(VALU_DEP_1)
	v_mul_lo_u32 v5, v3, s45
	v_sub_nc_u32_e32 v5, v11, v5
	s_delay_alu instid0(VALU_DEP_1) | instskip(SKIP_1) | instid1(VALU_DEP_2)
	v_subrev_nc_u32_e32 v10, s45, v5
	v_cmp_le_u32_e32 vcc_lo, s45, v5
	v_dual_cndmask_b32 v5, v5, v10 :: v_dual_add_nc_u32 v8, 1, v3
	s_delay_alu instid0(VALU_DEP_1) | instskip(NEXT) | instid1(VALU_DEP_2)
	v_cndmask_b32_e32 v3, v3, v8, vcc_lo
	v_cmp_le_u32_e32 vcc_lo, s45, v5
	s_delay_alu instid0(VALU_DEP_2) | instskip(NEXT) | instid1(VALU_DEP_1)
	v_add_nc_u32_e32 v8, 1, v3
	v_cndmask_b32_e32 v13, v3, v8, vcc_lo
.LBB44_36:                              ;   in Loop: Header=BB44_24 Depth=2
	s_or_b32 exec_lo, exec_lo, s0
	s_add_u32 s20, s30, s18
	s_addc_u32 s21, s1, s19
	s_add_i32 s14, s16, 4
                                        ; implicit-def: $vgpr15_vgpr16
	s_delay_alu instid0(SALU_CYCLE_1)
	s_lshl_b64 s[18:19], s[14:15], 2
	s_mov_b32 s14, exec_lo
	s_add_u32 s22, s26, s18
	s_addc_u32 s23, s27, s19
	s_clause 0x1
	s_load_b32 s47, s[22:23], 0x0
	s_load_b32 s46, s[20:21], 0x0
	s_waitcnt lgkmcnt(0)
	s_ashr_i32 s0, s47, 31
	s_delay_alu instid0(SALU_CYCLE_1) | instskip(NEXT) | instid1(VALU_DEP_1)
	v_or_b32_e32 v3, s0, v14
	v_cmpx_ne_u64_e32 0, v[2:3]
	s_xor_b32 s14, exec_lo, s14
	s_cbranch_execz .LBB44_38
; %bb.37:                               ;   in Loop: Header=BB44_24 Depth=2
	s_add_u32 s22, s47, s0
	s_mov_b32 s20, s0
	s_mov_b32 s21, s0
	s_addc_u32 s23, s0, s0
	v_ashrrev_i32_e32 v20, 31, v14
	s_xor_b64 s[22:23], s[22:23], s[20:21]
	s_delay_alu instid0(SALU_CYCLE_1) | instskip(SKIP_3) | instid1(VALU_DEP_1)
	v_cvt_f32_u32_e32 v3, s22
	v_cvt_f32_u32_e32 v5, s23
	s_sub_u32 s0, 0, s22
	s_subb_u32 s17, 0, s23
	v_fmac_f32_e32 v3, 0x4f800000, v5
	s_delay_alu instid0(VALU_DEP_1) | instskip(SKIP_2) | instid1(VALU_DEP_1)
	v_rcp_f32_e32 v3, v3
	s_waitcnt_depctr 0xfff
	v_mul_f32_e32 v3, 0x5f7ffffc, v3
	v_mul_f32_e32 v5, 0x2f800000, v3
	s_delay_alu instid0(VALU_DEP_1) | instskip(NEXT) | instid1(VALU_DEP_1)
	v_trunc_f32_e32 v5, v5
	v_fmac_f32_e32 v3, 0xcf800000, v5
	v_cvt_u32_f32_e32 v5, v5
	s_delay_alu instid0(VALU_DEP_2) | instskip(NEXT) | instid1(VALU_DEP_2)
	v_cvt_u32_f32_e32 v3, v3
	v_mul_lo_u32 v8, s0, v5
	s_delay_alu instid0(VALU_DEP_2) | instskip(SKIP_1) | instid1(VALU_DEP_2)
	v_mul_hi_u32 v10, s0, v3
	v_mul_lo_u32 v12, s17, v3
	v_add_nc_u32_e32 v8, v10, v8
	v_mul_lo_u32 v10, s0, v3
	s_delay_alu instid0(VALU_DEP_2) | instskip(NEXT) | instid1(VALU_DEP_2)
	v_add_nc_u32_e32 v8, v8, v12
	v_mul_hi_u32 v12, v3, v10
	s_delay_alu instid0(VALU_DEP_2)
	v_mul_lo_u32 v15, v3, v8
	v_mul_hi_u32 v16, v3, v8
	v_mul_hi_u32 v17, v5, v10
	v_mul_lo_u32 v10, v5, v10
	v_mul_hi_u32 v18, v5, v8
	v_mul_lo_u32 v8, v5, v8
	v_add_co_u32 v12, vcc_lo, v12, v15
	v_add_co_ci_u32_e32 v15, vcc_lo, 0, v16, vcc_lo
	s_delay_alu instid0(VALU_DEP_2) | instskip(NEXT) | instid1(VALU_DEP_2)
	v_add_co_u32 v10, vcc_lo, v12, v10
	v_add_co_ci_u32_e32 v10, vcc_lo, v15, v17, vcc_lo
	v_add_co_ci_u32_e32 v12, vcc_lo, 0, v18, vcc_lo
	s_delay_alu instid0(VALU_DEP_2) | instskip(NEXT) | instid1(VALU_DEP_2)
	v_add_co_u32 v8, vcc_lo, v10, v8
	v_add_co_ci_u32_e32 v10, vcc_lo, 0, v12, vcc_lo
	s_delay_alu instid0(VALU_DEP_2) | instskip(NEXT) | instid1(VALU_DEP_2)
	v_add_co_u32 v3, vcc_lo, v3, v8
	v_add_co_ci_u32_e32 v5, vcc_lo, v5, v10, vcc_lo
	s_delay_alu instid0(VALU_DEP_2) | instskip(SKIP_1) | instid1(VALU_DEP_3)
	v_mul_hi_u32 v8, s0, v3
	v_mul_lo_u32 v12, s17, v3
	v_mul_lo_u32 v10, s0, v5
	s_delay_alu instid0(VALU_DEP_1) | instskip(SKIP_1) | instid1(VALU_DEP_2)
	v_add_nc_u32_e32 v8, v8, v10
	v_mul_lo_u32 v10, s0, v3
	v_add_nc_u32_e32 v8, v8, v12
	s_delay_alu instid0(VALU_DEP_2) | instskip(NEXT) | instid1(VALU_DEP_2)
	v_mul_hi_u32 v12, v3, v10
	v_mul_lo_u32 v15, v3, v8
	v_mul_hi_u32 v16, v3, v8
	v_mul_hi_u32 v17, v5, v10
	v_mul_lo_u32 v10, v5, v10
	v_mul_hi_u32 v18, v5, v8
	v_mul_lo_u32 v8, v5, v8
	v_add_co_u32 v12, vcc_lo, v12, v15
	v_add_co_ci_u32_e32 v15, vcc_lo, 0, v16, vcc_lo
	s_delay_alu instid0(VALU_DEP_2) | instskip(NEXT) | instid1(VALU_DEP_2)
	v_add_co_u32 v10, vcc_lo, v12, v10
	v_add_co_ci_u32_e32 v10, vcc_lo, v15, v17, vcc_lo
	v_add_co_ci_u32_e32 v12, vcc_lo, 0, v18, vcc_lo
	v_add_co_u32 v15, vcc_lo, v13, v20
	v_add_co_ci_u32_e32 v14, vcc_lo, v14, v20, vcc_lo
	s_delay_alu instid0(VALU_DEP_4) | instskip(NEXT) | instid1(VALU_DEP_4)
	v_add_co_u32 v8, vcc_lo, v10, v8
	v_add_co_ci_u32_e32 v10, vcc_lo, 0, v12, vcc_lo
	s_delay_alu instid0(VALU_DEP_4) | instskip(NEXT) | instid1(VALU_DEP_3)
	v_xor_b32_e32 v12, v15, v20
	v_add_co_u32 v3, vcc_lo, v3, v8
	s_delay_alu instid0(VALU_DEP_3) | instskip(SKIP_1) | instid1(VALU_DEP_3)
	v_add_co_ci_u32_e32 v5, vcc_lo, v5, v10, vcc_lo
	v_xor_b32_e32 v8, v14, v20
	v_mul_hi_u32 v10, v12, v3
	s_delay_alu instid0(VALU_DEP_3) | instskip(NEXT) | instid1(VALU_DEP_3)
	v_mad_u64_u32 v[14:15], null, v12, v5, 0
	v_mad_u64_u32 v[16:17], null, v8, v3, 0
	;; [unrolled: 1-line block ×3, first 2 shown]
	s_delay_alu instid0(VALU_DEP_3) | instskip(NEXT) | instid1(VALU_DEP_4)
	v_add_co_u32 v3, vcc_lo, v10, v14
	v_add_co_ci_u32_e32 v5, vcc_lo, 0, v15, vcc_lo
	s_delay_alu instid0(VALU_DEP_2) | instskip(NEXT) | instid1(VALU_DEP_2)
	v_add_co_u32 v3, vcc_lo, v3, v16
	v_add_co_ci_u32_e32 v3, vcc_lo, v5, v17, vcc_lo
	v_add_co_ci_u32_e32 v5, vcc_lo, 0, v19, vcc_lo
	s_delay_alu instid0(VALU_DEP_2) | instskip(NEXT) | instid1(VALU_DEP_2)
	v_add_co_u32 v3, vcc_lo, v3, v18
	v_add_co_ci_u32_e32 v5, vcc_lo, 0, v5, vcc_lo
	s_delay_alu instid0(VALU_DEP_2) | instskip(SKIP_1) | instid1(VALU_DEP_3)
	v_mul_lo_u32 v10, s23, v3
	v_mad_u64_u32 v[14:15], null, s22, v3, 0
	v_mul_lo_u32 v16, s22, v5
	s_delay_alu instid0(VALU_DEP_2) | instskip(NEXT) | instid1(VALU_DEP_2)
	v_sub_co_u32 v12, vcc_lo, v12, v14
	v_add3_u32 v10, v15, v16, v10
	s_delay_alu instid0(VALU_DEP_1) | instskip(NEXT) | instid1(VALU_DEP_1)
	v_sub_nc_u32_e32 v15, v8, v10
	v_subrev_co_ci_u32_e64 v14, s0, s23, v15, vcc_lo
	v_add_co_u32 v15, s0, v3, 2
	s_delay_alu instid0(VALU_DEP_1) | instskip(SKIP_3) | instid1(VALU_DEP_3)
	v_add_co_ci_u32_e64 v16, s0, 0, v5, s0
	v_sub_co_u32 v17, s0, v12, s22
	v_sub_co_ci_u32_e32 v8, vcc_lo, v8, v10, vcc_lo
	v_subrev_co_ci_u32_e64 v14, s0, 0, v14, s0
	v_cmp_le_u32_e32 vcc_lo, s22, v17
	s_delay_alu instid0(VALU_DEP_3) | instskip(SKIP_1) | instid1(VALU_DEP_4)
	v_cmp_eq_u32_e64 s0, s23, v8
	v_cndmask_b32_e64 v10, 0, -1, vcc_lo
	v_cmp_le_u32_e32 vcc_lo, s23, v14
	v_cndmask_b32_e64 v17, 0, -1, vcc_lo
	v_cmp_le_u32_e32 vcc_lo, s22, v12
	;; [unrolled: 2-line block ×3, first 2 shown]
	v_cndmask_b32_e64 v18, 0, -1, vcc_lo
	v_cmp_eq_u32_e32 vcc_lo, s23, v14
	s_delay_alu instid0(VALU_DEP_2) | instskip(SKIP_3) | instid1(VALU_DEP_3)
	v_cndmask_b32_e64 v8, v18, v12, s0
	v_cndmask_b32_e32 v10, v17, v10, vcc_lo
	v_add_co_u32 v14, vcc_lo, v3, 1
	v_add_co_ci_u32_e32 v17, vcc_lo, 0, v5, vcc_lo
	v_cmp_ne_u32_e32 vcc_lo, 0, v10
	s_delay_alu instid0(VALU_DEP_2) | instskip(NEXT) | instid1(VALU_DEP_4)
	v_cndmask_b32_e32 v10, v17, v16, vcc_lo
	v_cndmask_b32_e32 v12, v14, v15, vcc_lo
	v_cmp_ne_u32_e32 vcc_lo, 0, v8
	v_xor_b32_e32 v8, s20, v20
	s_delay_alu instid0(VALU_DEP_4) | instskip(NEXT) | instid1(VALU_DEP_4)
	v_cndmask_b32_e32 v5, v5, v10, vcc_lo
	v_cndmask_b32_e32 v3, v3, v12, vcc_lo
	v_xor_b32_e32 v10, s21, v20
	s_delay_alu instid0(VALU_DEP_2) | instskip(NEXT) | instid1(VALU_DEP_2)
	v_xor_b32_e32 v3, v3, v8
	v_xor_b32_e32 v5, v5, v10
	s_delay_alu instid0(VALU_DEP_2) | instskip(NEXT) | instid1(VALU_DEP_2)
	v_sub_co_u32 v15, vcc_lo, v3, v8
	v_sub_co_ci_u32_e32 v16, vcc_lo, v5, v10, vcc_lo
.LBB44_38:                              ;   in Loop: Header=BB44_24 Depth=2
	s_and_not1_saveexec_b32 s0, s14
	s_cbranch_execz .LBB44_40
; %bb.39:                               ;   in Loop: Header=BB44_24 Depth=2
	v_cvt_f32_u32_e32 v3, s47
	s_sub_i32 s14, 0, s47
	v_mov_b32_e32 v16, v2
	s_delay_alu instid0(VALU_DEP_2) | instskip(SKIP_2) | instid1(VALU_DEP_1)
	v_rcp_iflag_f32_e32 v3, v3
	s_waitcnt_depctr 0xfff
	v_mul_f32_e32 v3, 0x4f7ffffe, v3
	v_cvt_u32_f32_e32 v3, v3
	s_delay_alu instid0(VALU_DEP_1) | instskip(NEXT) | instid1(VALU_DEP_1)
	v_mul_lo_u32 v5, s14, v3
	v_mul_hi_u32 v5, v3, v5
	s_delay_alu instid0(VALU_DEP_1) | instskip(NEXT) | instid1(VALU_DEP_1)
	v_add_nc_u32_e32 v3, v3, v5
	v_mul_hi_u32 v3, v13, v3
	s_delay_alu instid0(VALU_DEP_1) | instskip(NEXT) | instid1(VALU_DEP_1)
	v_mul_lo_u32 v5, v3, s47
	v_sub_nc_u32_e32 v5, v13, v5
	s_delay_alu instid0(VALU_DEP_1) | instskip(SKIP_1) | instid1(VALU_DEP_2)
	v_subrev_nc_u32_e32 v10, s47, v5
	v_cmp_le_u32_e32 vcc_lo, s47, v5
	v_dual_cndmask_b32 v5, v5, v10 :: v_dual_add_nc_u32 v8, 1, v3
	s_delay_alu instid0(VALU_DEP_1) | instskip(NEXT) | instid1(VALU_DEP_2)
	v_cndmask_b32_e32 v3, v3, v8, vcc_lo
	v_cmp_le_u32_e32 vcc_lo, s47, v5
	s_delay_alu instid0(VALU_DEP_2) | instskip(NEXT) | instid1(VALU_DEP_1)
	v_add_nc_u32_e32 v8, 1, v3
	v_cndmask_b32_e32 v15, v3, v8, vcc_lo
.LBB44_40:                              ;   in Loop: Header=BB44_24 Depth=2
	s_or_b32 exec_lo, exec_lo, s0
	s_add_u32 s20, s30, s18
	s_addc_u32 s21, s1, s19
	s_add_i32 s14, s16, 3
                                        ; implicit-def: $vgpr17_vgpr18
	s_delay_alu instid0(SALU_CYCLE_1)
	s_lshl_b64 s[18:19], s[14:15], 2
	s_mov_b32 s14, exec_lo
	s_add_u32 s22, s26, s18
	s_addc_u32 s23, s27, s19
	s_clause 0x1
	s_load_b32 s49, s[22:23], 0x0
	s_load_b32 s48, s[20:21], 0x0
	s_waitcnt lgkmcnt(0)
	s_ashr_i32 s0, s49, 31
	s_delay_alu instid0(SALU_CYCLE_1) | instskip(NEXT) | instid1(VALU_DEP_1)
	v_or_b32_e32 v3, s0, v16
	v_cmpx_ne_u64_e32 0, v[2:3]
	s_xor_b32 s14, exec_lo, s14
	s_cbranch_execz .LBB44_42
; %bb.41:                               ;   in Loop: Header=BB44_24 Depth=2
	s_add_u32 s22, s49, s0
	s_mov_b32 s20, s0
	s_mov_b32 s21, s0
	s_addc_u32 s23, s0, s0
	v_ashrrev_i32_e32 v22, 31, v16
	s_xor_b64 s[22:23], s[22:23], s[20:21]
	s_delay_alu instid0(SALU_CYCLE_1) | instskip(SKIP_3) | instid1(VALU_DEP_1)
	v_cvt_f32_u32_e32 v3, s22
	v_cvt_f32_u32_e32 v5, s23
	s_sub_u32 s0, 0, s22
	s_subb_u32 s17, 0, s23
	v_fmac_f32_e32 v3, 0x4f800000, v5
	s_delay_alu instid0(VALU_DEP_1) | instskip(SKIP_2) | instid1(VALU_DEP_1)
	v_rcp_f32_e32 v3, v3
	s_waitcnt_depctr 0xfff
	v_mul_f32_e32 v3, 0x5f7ffffc, v3
	v_mul_f32_e32 v5, 0x2f800000, v3
	s_delay_alu instid0(VALU_DEP_1) | instskip(NEXT) | instid1(VALU_DEP_1)
	v_trunc_f32_e32 v5, v5
	v_fmac_f32_e32 v3, 0xcf800000, v5
	v_cvt_u32_f32_e32 v5, v5
	s_delay_alu instid0(VALU_DEP_2) | instskip(NEXT) | instid1(VALU_DEP_2)
	v_cvt_u32_f32_e32 v3, v3
	v_mul_lo_u32 v8, s0, v5
	s_delay_alu instid0(VALU_DEP_2) | instskip(SKIP_1) | instid1(VALU_DEP_2)
	v_mul_hi_u32 v10, s0, v3
	v_mul_lo_u32 v12, s17, v3
	v_add_nc_u32_e32 v8, v10, v8
	v_mul_lo_u32 v10, s0, v3
	s_delay_alu instid0(VALU_DEP_2) | instskip(NEXT) | instid1(VALU_DEP_2)
	v_add_nc_u32_e32 v8, v8, v12
	v_mul_hi_u32 v12, v3, v10
	s_delay_alu instid0(VALU_DEP_2)
	v_mul_lo_u32 v14, v3, v8
	v_mul_hi_u32 v17, v3, v8
	v_mul_hi_u32 v18, v5, v10
	v_mul_lo_u32 v10, v5, v10
	v_mul_hi_u32 v19, v5, v8
	v_mul_lo_u32 v8, v5, v8
	v_add_co_u32 v12, vcc_lo, v12, v14
	v_add_co_ci_u32_e32 v14, vcc_lo, 0, v17, vcc_lo
	s_delay_alu instid0(VALU_DEP_2) | instskip(NEXT) | instid1(VALU_DEP_2)
	v_add_co_u32 v10, vcc_lo, v12, v10
	v_add_co_ci_u32_e32 v10, vcc_lo, v14, v18, vcc_lo
	v_add_co_ci_u32_e32 v12, vcc_lo, 0, v19, vcc_lo
	s_delay_alu instid0(VALU_DEP_2) | instskip(NEXT) | instid1(VALU_DEP_2)
	v_add_co_u32 v8, vcc_lo, v10, v8
	v_add_co_ci_u32_e32 v10, vcc_lo, 0, v12, vcc_lo
	s_delay_alu instid0(VALU_DEP_2) | instskip(NEXT) | instid1(VALU_DEP_2)
	v_add_co_u32 v3, vcc_lo, v3, v8
	v_add_co_ci_u32_e32 v5, vcc_lo, v5, v10, vcc_lo
	s_delay_alu instid0(VALU_DEP_2) | instskip(SKIP_1) | instid1(VALU_DEP_3)
	v_mul_hi_u32 v8, s0, v3
	v_mul_lo_u32 v12, s17, v3
	v_mul_lo_u32 v10, s0, v5
	s_delay_alu instid0(VALU_DEP_1) | instskip(SKIP_1) | instid1(VALU_DEP_2)
	v_add_nc_u32_e32 v8, v8, v10
	v_mul_lo_u32 v10, s0, v3
	v_add_nc_u32_e32 v8, v8, v12
	s_delay_alu instid0(VALU_DEP_2) | instskip(NEXT) | instid1(VALU_DEP_2)
	v_mul_hi_u32 v12, v3, v10
	v_mul_lo_u32 v14, v3, v8
	v_mul_hi_u32 v17, v3, v8
	v_mul_hi_u32 v18, v5, v10
	v_mul_lo_u32 v10, v5, v10
	v_mul_hi_u32 v19, v5, v8
	v_mul_lo_u32 v8, v5, v8
	v_add_co_u32 v12, vcc_lo, v12, v14
	v_add_co_ci_u32_e32 v14, vcc_lo, 0, v17, vcc_lo
	s_delay_alu instid0(VALU_DEP_2) | instskip(NEXT) | instid1(VALU_DEP_2)
	v_add_co_u32 v10, vcc_lo, v12, v10
	v_add_co_ci_u32_e32 v10, vcc_lo, v14, v18, vcc_lo
	v_add_co_ci_u32_e32 v12, vcc_lo, 0, v19, vcc_lo
	v_add_co_u32 v14, vcc_lo, v15, v22
	v_add_co_ci_u32_e32 v16, vcc_lo, v16, v22, vcc_lo
	s_delay_alu instid0(VALU_DEP_4) | instskip(NEXT) | instid1(VALU_DEP_4)
	v_add_co_u32 v8, vcc_lo, v10, v8
	v_add_co_ci_u32_e32 v10, vcc_lo, 0, v12, vcc_lo
	s_delay_alu instid0(VALU_DEP_4) | instskip(NEXT) | instid1(VALU_DEP_3)
	v_xor_b32_e32 v12, v14, v22
	v_add_co_u32 v3, vcc_lo, v3, v8
	s_delay_alu instid0(VALU_DEP_3) | instskip(SKIP_1) | instid1(VALU_DEP_3)
	v_add_co_ci_u32_e32 v5, vcc_lo, v5, v10, vcc_lo
	v_xor_b32_e32 v8, v16, v22
	v_mul_hi_u32 v10, v12, v3
	s_delay_alu instid0(VALU_DEP_3) | instskip(NEXT) | instid1(VALU_DEP_3)
	v_mad_u64_u32 v[16:17], null, v12, v5, 0
	v_mad_u64_u32 v[18:19], null, v8, v3, 0
	;; [unrolled: 1-line block ×3, first 2 shown]
	s_delay_alu instid0(VALU_DEP_3) | instskip(NEXT) | instid1(VALU_DEP_4)
	v_add_co_u32 v3, vcc_lo, v10, v16
	v_add_co_ci_u32_e32 v5, vcc_lo, 0, v17, vcc_lo
	s_delay_alu instid0(VALU_DEP_2) | instskip(NEXT) | instid1(VALU_DEP_2)
	v_add_co_u32 v3, vcc_lo, v3, v18
	v_add_co_ci_u32_e32 v3, vcc_lo, v5, v19, vcc_lo
	v_add_co_ci_u32_e32 v5, vcc_lo, 0, v21, vcc_lo
	s_delay_alu instid0(VALU_DEP_2) | instskip(NEXT) | instid1(VALU_DEP_2)
	v_add_co_u32 v3, vcc_lo, v3, v20
	v_add_co_ci_u32_e32 v5, vcc_lo, 0, v5, vcc_lo
	s_delay_alu instid0(VALU_DEP_2) | instskip(SKIP_1) | instid1(VALU_DEP_3)
	v_mul_lo_u32 v10, s23, v3
	v_mad_u64_u32 v[16:17], null, s22, v3, 0
	v_mul_lo_u32 v14, s22, v5
	s_delay_alu instid0(VALU_DEP_2) | instskip(NEXT) | instid1(VALU_DEP_2)
	v_sub_co_u32 v12, vcc_lo, v12, v16
	v_add3_u32 v10, v17, v14, v10
	s_delay_alu instid0(VALU_DEP_1) | instskip(NEXT) | instid1(VALU_DEP_1)
	v_sub_nc_u32_e32 v14, v8, v10
	v_subrev_co_ci_u32_e64 v14, s0, s23, v14, vcc_lo
	v_add_co_u32 v16, s0, v3, 2
	s_delay_alu instid0(VALU_DEP_1) | instskip(SKIP_3) | instid1(VALU_DEP_3)
	v_add_co_ci_u32_e64 v17, s0, 0, v5, s0
	v_sub_co_u32 v18, s0, v12, s22
	v_sub_co_ci_u32_e32 v8, vcc_lo, v8, v10, vcc_lo
	v_subrev_co_ci_u32_e64 v14, s0, 0, v14, s0
	v_cmp_le_u32_e32 vcc_lo, s22, v18
	s_delay_alu instid0(VALU_DEP_3) | instskip(SKIP_1) | instid1(VALU_DEP_4)
	v_cmp_eq_u32_e64 s0, s23, v8
	v_cndmask_b32_e64 v10, 0, -1, vcc_lo
	v_cmp_le_u32_e32 vcc_lo, s23, v14
	v_cndmask_b32_e64 v18, 0, -1, vcc_lo
	v_cmp_le_u32_e32 vcc_lo, s22, v12
	;; [unrolled: 2-line block ×3, first 2 shown]
	v_cndmask_b32_e64 v19, 0, -1, vcc_lo
	v_cmp_eq_u32_e32 vcc_lo, s23, v14
	s_delay_alu instid0(VALU_DEP_2) | instskip(SKIP_3) | instid1(VALU_DEP_3)
	v_cndmask_b32_e64 v8, v19, v12, s0
	v_cndmask_b32_e32 v10, v18, v10, vcc_lo
	v_add_co_u32 v14, vcc_lo, v3, 1
	v_add_co_ci_u32_e32 v18, vcc_lo, 0, v5, vcc_lo
	v_cmp_ne_u32_e32 vcc_lo, 0, v10
	s_delay_alu instid0(VALU_DEP_2) | instskip(NEXT) | instid1(VALU_DEP_4)
	v_cndmask_b32_e32 v10, v18, v17, vcc_lo
	v_cndmask_b32_e32 v12, v14, v16, vcc_lo
	v_cmp_ne_u32_e32 vcc_lo, 0, v8
	v_xor_b32_e32 v8, s20, v22
	s_delay_alu instid0(VALU_DEP_4) | instskip(NEXT) | instid1(VALU_DEP_4)
	v_cndmask_b32_e32 v5, v5, v10, vcc_lo
	v_cndmask_b32_e32 v3, v3, v12, vcc_lo
	v_xor_b32_e32 v10, s21, v22
	s_delay_alu instid0(VALU_DEP_2) | instskip(NEXT) | instid1(VALU_DEP_2)
	v_xor_b32_e32 v3, v3, v8
	v_xor_b32_e32 v5, v5, v10
	s_delay_alu instid0(VALU_DEP_2) | instskip(NEXT) | instid1(VALU_DEP_2)
	v_sub_co_u32 v17, vcc_lo, v3, v8
	v_sub_co_ci_u32_e32 v18, vcc_lo, v5, v10, vcc_lo
.LBB44_42:                              ;   in Loop: Header=BB44_24 Depth=2
	s_and_not1_saveexec_b32 s0, s14
	s_cbranch_execz .LBB44_44
; %bb.43:                               ;   in Loop: Header=BB44_24 Depth=2
	v_cvt_f32_u32_e32 v3, s49
	s_sub_i32 s14, 0, s49
	v_mov_b32_e32 v18, v2
	s_delay_alu instid0(VALU_DEP_2) | instskip(SKIP_2) | instid1(VALU_DEP_1)
	v_rcp_iflag_f32_e32 v3, v3
	s_waitcnt_depctr 0xfff
	v_mul_f32_e32 v3, 0x4f7ffffe, v3
	v_cvt_u32_f32_e32 v3, v3
	s_delay_alu instid0(VALU_DEP_1) | instskip(NEXT) | instid1(VALU_DEP_1)
	v_mul_lo_u32 v5, s14, v3
	v_mul_hi_u32 v5, v3, v5
	s_delay_alu instid0(VALU_DEP_1) | instskip(NEXT) | instid1(VALU_DEP_1)
	v_add_nc_u32_e32 v3, v3, v5
	v_mul_hi_u32 v3, v15, v3
	s_delay_alu instid0(VALU_DEP_1) | instskip(NEXT) | instid1(VALU_DEP_1)
	v_mul_lo_u32 v5, v3, s49
	v_sub_nc_u32_e32 v5, v15, v5
	s_delay_alu instid0(VALU_DEP_1) | instskip(SKIP_1) | instid1(VALU_DEP_2)
	v_subrev_nc_u32_e32 v10, s49, v5
	v_cmp_le_u32_e32 vcc_lo, s49, v5
	v_dual_cndmask_b32 v5, v5, v10 :: v_dual_add_nc_u32 v8, 1, v3
	s_delay_alu instid0(VALU_DEP_1) | instskip(NEXT) | instid1(VALU_DEP_2)
	v_cndmask_b32_e32 v3, v3, v8, vcc_lo
	v_cmp_le_u32_e32 vcc_lo, s49, v5
	s_delay_alu instid0(VALU_DEP_2) | instskip(NEXT) | instid1(VALU_DEP_1)
	v_add_nc_u32_e32 v8, 1, v3
	v_cndmask_b32_e32 v17, v3, v8, vcc_lo
.LBB44_44:                              ;   in Loop: Header=BB44_24 Depth=2
	s_or_b32 exec_lo, exec_lo, s0
	s_add_u32 s20, s30, s18
	s_addc_u32 s21, s1, s19
	s_add_i32 s14, s16, 2
                                        ; implicit-def: $vgpr19_vgpr20
	s_delay_alu instid0(SALU_CYCLE_1)
	s_lshl_b64 s[18:19], s[14:15], 2
	s_mov_b32 s14, exec_lo
	s_add_u32 s22, s26, s18
	s_addc_u32 s23, s27, s19
	s_clause 0x1
	s_load_b32 s51, s[22:23], 0x0
	s_load_b32 s50, s[20:21], 0x0
	s_waitcnt lgkmcnt(0)
	s_ashr_i32 s0, s51, 31
	s_delay_alu instid0(SALU_CYCLE_1) | instskip(NEXT) | instid1(VALU_DEP_1)
	v_or_b32_e32 v3, s0, v18
	v_cmpx_ne_u64_e32 0, v[2:3]
	s_xor_b32 s14, exec_lo, s14
	s_cbranch_execz .LBB44_46
; %bb.45:                               ;   in Loop: Header=BB44_24 Depth=2
	s_add_u32 s22, s51, s0
	s_mov_b32 s20, s0
	s_mov_b32 s21, s0
	s_addc_u32 s23, s0, s0
	v_ashrrev_i32_e32 v24, 31, v18
	s_xor_b64 s[22:23], s[22:23], s[20:21]
	s_delay_alu instid0(SALU_CYCLE_1) | instskip(SKIP_3) | instid1(VALU_DEP_1)
	v_cvt_f32_u32_e32 v3, s22
	v_cvt_f32_u32_e32 v5, s23
	s_sub_u32 s0, 0, s22
	s_subb_u32 s17, 0, s23
	v_fmac_f32_e32 v3, 0x4f800000, v5
	s_delay_alu instid0(VALU_DEP_1) | instskip(SKIP_2) | instid1(VALU_DEP_1)
	v_rcp_f32_e32 v3, v3
	s_waitcnt_depctr 0xfff
	v_mul_f32_e32 v3, 0x5f7ffffc, v3
	v_mul_f32_e32 v5, 0x2f800000, v3
	s_delay_alu instid0(VALU_DEP_1) | instskip(NEXT) | instid1(VALU_DEP_1)
	v_trunc_f32_e32 v5, v5
	v_fmac_f32_e32 v3, 0xcf800000, v5
	v_cvt_u32_f32_e32 v5, v5
	s_delay_alu instid0(VALU_DEP_2) | instskip(NEXT) | instid1(VALU_DEP_2)
	v_cvt_u32_f32_e32 v3, v3
	v_mul_lo_u32 v8, s0, v5
	s_delay_alu instid0(VALU_DEP_2) | instskip(SKIP_1) | instid1(VALU_DEP_2)
	v_mul_hi_u32 v10, s0, v3
	v_mul_lo_u32 v12, s17, v3
	v_add_nc_u32_e32 v8, v10, v8
	v_mul_lo_u32 v10, s0, v3
	s_delay_alu instid0(VALU_DEP_2) | instskip(NEXT) | instid1(VALU_DEP_2)
	v_add_nc_u32_e32 v8, v8, v12
	v_mul_hi_u32 v12, v3, v10
	s_delay_alu instid0(VALU_DEP_2)
	v_mul_lo_u32 v14, v3, v8
	v_mul_hi_u32 v16, v3, v8
	v_mul_hi_u32 v19, v5, v10
	v_mul_lo_u32 v10, v5, v10
	v_mul_hi_u32 v20, v5, v8
	v_mul_lo_u32 v8, v5, v8
	v_add_co_u32 v12, vcc_lo, v12, v14
	v_add_co_ci_u32_e32 v14, vcc_lo, 0, v16, vcc_lo
	s_delay_alu instid0(VALU_DEP_2) | instskip(NEXT) | instid1(VALU_DEP_2)
	v_add_co_u32 v10, vcc_lo, v12, v10
	v_add_co_ci_u32_e32 v10, vcc_lo, v14, v19, vcc_lo
	v_add_co_ci_u32_e32 v12, vcc_lo, 0, v20, vcc_lo
	s_delay_alu instid0(VALU_DEP_2) | instskip(NEXT) | instid1(VALU_DEP_2)
	v_add_co_u32 v8, vcc_lo, v10, v8
	v_add_co_ci_u32_e32 v10, vcc_lo, 0, v12, vcc_lo
	s_delay_alu instid0(VALU_DEP_2) | instskip(NEXT) | instid1(VALU_DEP_2)
	v_add_co_u32 v3, vcc_lo, v3, v8
	v_add_co_ci_u32_e32 v5, vcc_lo, v5, v10, vcc_lo
	s_delay_alu instid0(VALU_DEP_2) | instskip(SKIP_1) | instid1(VALU_DEP_3)
	v_mul_hi_u32 v8, s0, v3
	v_mul_lo_u32 v12, s17, v3
	v_mul_lo_u32 v10, s0, v5
	s_delay_alu instid0(VALU_DEP_1) | instskip(SKIP_1) | instid1(VALU_DEP_2)
	v_add_nc_u32_e32 v8, v8, v10
	v_mul_lo_u32 v10, s0, v3
	v_add_nc_u32_e32 v8, v8, v12
	s_delay_alu instid0(VALU_DEP_2) | instskip(NEXT) | instid1(VALU_DEP_2)
	v_mul_hi_u32 v12, v3, v10
	v_mul_lo_u32 v14, v3, v8
	v_mul_hi_u32 v16, v3, v8
	v_mul_hi_u32 v19, v5, v10
	v_mul_lo_u32 v10, v5, v10
	v_mul_hi_u32 v20, v5, v8
	v_mul_lo_u32 v8, v5, v8
	v_add_co_u32 v12, vcc_lo, v12, v14
	v_add_co_ci_u32_e32 v14, vcc_lo, 0, v16, vcc_lo
	s_delay_alu instid0(VALU_DEP_2) | instskip(NEXT) | instid1(VALU_DEP_2)
	v_add_co_u32 v10, vcc_lo, v12, v10
	v_add_co_ci_u32_e32 v10, vcc_lo, v14, v19, vcc_lo
	v_add_co_ci_u32_e32 v12, vcc_lo, 0, v20, vcc_lo
	v_add_co_u32 v14, vcc_lo, v17, v24
	v_add_co_ci_u32_e32 v16, vcc_lo, v18, v24, vcc_lo
	s_delay_alu instid0(VALU_DEP_4) | instskip(NEXT) | instid1(VALU_DEP_4)
	v_add_co_u32 v8, vcc_lo, v10, v8
	v_add_co_ci_u32_e32 v10, vcc_lo, 0, v12, vcc_lo
	s_delay_alu instid0(VALU_DEP_4) | instskip(NEXT) | instid1(VALU_DEP_3)
	v_xor_b32_e32 v12, v14, v24
	v_add_co_u32 v3, vcc_lo, v3, v8
	s_delay_alu instid0(VALU_DEP_3) | instskip(SKIP_1) | instid1(VALU_DEP_3)
	v_add_co_ci_u32_e32 v5, vcc_lo, v5, v10, vcc_lo
	v_xor_b32_e32 v8, v16, v24
	v_mul_hi_u32 v10, v12, v3
	s_delay_alu instid0(VALU_DEP_3) | instskip(NEXT) | instid1(VALU_DEP_3)
	v_mad_u64_u32 v[18:19], null, v12, v5, 0
	v_mad_u64_u32 v[20:21], null, v8, v3, 0
	;; [unrolled: 1-line block ×3, first 2 shown]
	s_delay_alu instid0(VALU_DEP_3) | instskip(NEXT) | instid1(VALU_DEP_4)
	v_add_co_u32 v3, vcc_lo, v10, v18
	v_add_co_ci_u32_e32 v5, vcc_lo, 0, v19, vcc_lo
	s_delay_alu instid0(VALU_DEP_2) | instskip(NEXT) | instid1(VALU_DEP_2)
	v_add_co_u32 v3, vcc_lo, v3, v20
	v_add_co_ci_u32_e32 v3, vcc_lo, v5, v21, vcc_lo
	v_add_co_ci_u32_e32 v5, vcc_lo, 0, v23, vcc_lo
	s_delay_alu instid0(VALU_DEP_2) | instskip(NEXT) | instid1(VALU_DEP_2)
	v_add_co_u32 v3, vcc_lo, v3, v22
	v_add_co_ci_u32_e32 v5, vcc_lo, 0, v5, vcc_lo
	s_delay_alu instid0(VALU_DEP_2) | instskip(SKIP_1) | instid1(VALU_DEP_3)
	v_mul_lo_u32 v10, s23, v3
	v_mad_u64_u32 v[18:19], null, s22, v3, 0
	v_mul_lo_u32 v14, s22, v5
	s_delay_alu instid0(VALU_DEP_2) | instskip(NEXT) | instid1(VALU_DEP_2)
	v_sub_co_u32 v12, vcc_lo, v12, v18
	v_add3_u32 v10, v19, v14, v10
	s_delay_alu instid0(VALU_DEP_1) | instskip(NEXT) | instid1(VALU_DEP_1)
	v_sub_nc_u32_e32 v14, v8, v10
	v_subrev_co_ci_u32_e64 v14, s0, s23, v14, vcc_lo
	v_add_co_u32 v16, s0, v3, 2
	s_delay_alu instid0(VALU_DEP_1) | instskip(SKIP_3) | instid1(VALU_DEP_3)
	v_add_co_ci_u32_e64 v18, s0, 0, v5, s0
	v_sub_co_u32 v19, s0, v12, s22
	v_sub_co_ci_u32_e32 v8, vcc_lo, v8, v10, vcc_lo
	v_subrev_co_ci_u32_e64 v14, s0, 0, v14, s0
	v_cmp_le_u32_e32 vcc_lo, s22, v19
	s_delay_alu instid0(VALU_DEP_3) | instskip(SKIP_1) | instid1(VALU_DEP_4)
	v_cmp_eq_u32_e64 s0, s23, v8
	v_cndmask_b32_e64 v10, 0, -1, vcc_lo
	v_cmp_le_u32_e32 vcc_lo, s23, v14
	v_cndmask_b32_e64 v19, 0, -1, vcc_lo
	v_cmp_le_u32_e32 vcc_lo, s22, v12
	;; [unrolled: 2-line block ×3, first 2 shown]
	v_cndmask_b32_e64 v20, 0, -1, vcc_lo
	v_cmp_eq_u32_e32 vcc_lo, s23, v14
	s_delay_alu instid0(VALU_DEP_2) | instskip(SKIP_3) | instid1(VALU_DEP_3)
	v_cndmask_b32_e64 v8, v20, v12, s0
	v_cndmask_b32_e32 v10, v19, v10, vcc_lo
	v_add_co_u32 v14, vcc_lo, v3, 1
	v_add_co_ci_u32_e32 v19, vcc_lo, 0, v5, vcc_lo
	v_cmp_ne_u32_e32 vcc_lo, 0, v10
	s_delay_alu instid0(VALU_DEP_2) | instskip(NEXT) | instid1(VALU_DEP_4)
	v_cndmask_b32_e32 v10, v19, v18, vcc_lo
	v_cndmask_b32_e32 v12, v14, v16, vcc_lo
	v_cmp_ne_u32_e32 vcc_lo, 0, v8
	v_xor_b32_e32 v8, s20, v24
	s_delay_alu instid0(VALU_DEP_4) | instskip(NEXT) | instid1(VALU_DEP_4)
	v_cndmask_b32_e32 v5, v5, v10, vcc_lo
	v_cndmask_b32_e32 v3, v3, v12, vcc_lo
	v_xor_b32_e32 v10, s21, v24
	s_delay_alu instid0(VALU_DEP_2) | instskip(NEXT) | instid1(VALU_DEP_2)
	v_xor_b32_e32 v3, v3, v8
	v_xor_b32_e32 v5, v5, v10
	s_delay_alu instid0(VALU_DEP_2) | instskip(NEXT) | instid1(VALU_DEP_2)
	v_sub_co_u32 v19, vcc_lo, v3, v8
	v_sub_co_ci_u32_e32 v20, vcc_lo, v5, v10, vcc_lo
.LBB44_46:                              ;   in Loop: Header=BB44_24 Depth=2
	s_and_not1_saveexec_b32 s0, s14
	s_cbranch_execz .LBB44_48
; %bb.47:                               ;   in Loop: Header=BB44_24 Depth=2
	v_cvt_f32_u32_e32 v3, s51
	s_sub_i32 s14, 0, s51
	v_mov_b32_e32 v20, v2
	s_delay_alu instid0(VALU_DEP_2) | instskip(SKIP_2) | instid1(VALU_DEP_1)
	v_rcp_iflag_f32_e32 v3, v3
	s_waitcnt_depctr 0xfff
	v_mul_f32_e32 v3, 0x4f7ffffe, v3
	v_cvt_u32_f32_e32 v3, v3
	s_delay_alu instid0(VALU_DEP_1) | instskip(NEXT) | instid1(VALU_DEP_1)
	v_mul_lo_u32 v5, s14, v3
	v_mul_hi_u32 v5, v3, v5
	s_delay_alu instid0(VALU_DEP_1) | instskip(NEXT) | instid1(VALU_DEP_1)
	v_add_nc_u32_e32 v3, v3, v5
	v_mul_hi_u32 v3, v17, v3
	s_delay_alu instid0(VALU_DEP_1) | instskip(NEXT) | instid1(VALU_DEP_1)
	v_mul_lo_u32 v5, v3, s51
	v_sub_nc_u32_e32 v5, v17, v5
	s_delay_alu instid0(VALU_DEP_1) | instskip(SKIP_1) | instid1(VALU_DEP_2)
	v_subrev_nc_u32_e32 v10, s51, v5
	v_cmp_le_u32_e32 vcc_lo, s51, v5
	v_dual_cndmask_b32 v5, v5, v10 :: v_dual_add_nc_u32 v8, 1, v3
	s_delay_alu instid0(VALU_DEP_1) | instskip(NEXT) | instid1(VALU_DEP_2)
	v_cndmask_b32_e32 v3, v3, v8, vcc_lo
	v_cmp_le_u32_e32 vcc_lo, s51, v5
	s_delay_alu instid0(VALU_DEP_2) | instskip(NEXT) | instid1(VALU_DEP_1)
	v_add_nc_u32_e32 v8, 1, v3
	v_cndmask_b32_e32 v19, v3, v8, vcc_lo
.LBB44_48:                              ;   in Loop: Header=BB44_24 Depth=2
	s_or_b32 exec_lo, exec_lo, s0
	s_add_u32 s20, s30, s18
	s_addc_u32 s21, s1, s19
	s_add_i32 s14, s16, 1
	s_mov_b32 s17, exec_lo
	s_lshl_b64 s[18:19], s[14:15], 2
                                        ; implicit-def: $vgpr21_vgpr22
	s_delay_alu instid0(SALU_CYCLE_1)
	s_add_u32 s22, s26, s18
	s_addc_u32 s23, s27, s19
	s_clause 0x1
	s_load_b32 s52, s[22:23], 0x0
	s_load_b32 s14, s[20:21], 0x0
	s_waitcnt lgkmcnt(0)
	s_ashr_i32 s0, s52, 31
	s_delay_alu instid0(SALU_CYCLE_1) | instskip(NEXT) | instid1(VALU_DEP_1)
	v_or_b32_e32 v3, s0, v20
	v_cmpx_ne_u64_e32 0, v[2:3]
	s_xor_b32 s17, exec_lo, s17
	s_cbranch_execz .LBB44_50
; %bb.49:                               ;   in Loop: Header=BB44_24 Depth=2
	s_add_u32 s22, s52, s0
	s_mov_b32 s20, s0
	s_mov_b32 s21, s0
	s_addc_u32 s23, s0, s0
	s_delay_alu instid0(SALU_CYCLE_1) | instskip(NEXT) | instid1(SALU_CYCLE_1)
	s_xor_b64 s[22:23], s[22:23], s[20:21]
	v_cvt_f32_u32_e32 v3, s22
	v_cvt_f32_u32_e32 v5, s23
	s_sub_u32 s0, 0, s22
	s_subb_u32 s53, 0, s23
	s_delay_alu instid0(VALU_DEP_1) | instskip(NEXT) | instid1(VALU_DEP_1)
	v_fmac_f32_e32 v3, 0x4f800000, v5
	v_rcp_f32_e32 v3, v3
	s_waitcnt_depctr 0xfff
	v_mul_f32_e32 v3, 0x5f7ffffc, v3
	s_delay_alu instid0(VALU_DEP_1) | instskip(NEXT) | instid1(VALU_DEP_1)
	v_mul_f32_e32 v5, 0x2f800000, v3
	v_trunc_f32_e32 v5, v5
	s_delay_alu instid0(VALU_DEP_1) | instskip(SKIP_1) | instid1(VALU_DEP_2)
	v_fmac_f32_e32 v3, 0xcf800000, v5
	v_cvt_u32_f32_e32 v5, v5
	v_cvt_u32_f32_e32 v3, v3
	s_delay_alu instid0(VALU_DEP_2) | instskip(NEXT) | instid1(VALU_DEP_2)
	v_mul_lo_u32 v8, s0, v5
	v_mul_hi_u32 v10, s0, v3
	v_mul_lo_u32 v12, s53, v3
	s_delay_alu instid0(VALU_DEP_2) | instskip(SKIP_1) | instid1(VALU_DEP_2)
	v_add_nc_u32_e32 v8, v10, v8
	v_mul_lo_u32 v10, s0, v3
	v_add_nc_u32_e32 v8, v8, v12
	s_delay_alu instid0(VALU_DEP_2) | instskip(NEXT) | instid1(VALU_DEP_2)
	v_mul_hi_u32 v12, v3, v10
	v_mul_lo_u32 v14, v3, v8
	v_mul_hi_u32 v16, v3, v8
	v_mul_hi_u32 v18, v5, v10
	v_mul_lo_u32 v10, v5, v10
	v_mul_hi_u32 v21, v5, v8
	v_mul_lo_u32 v8, v5, v8
	v_add_co_u32 v12, vcc_lo, v12, v14
	v_add_co_ci_u32_e32 v14, vcc_lo, 0, v16, vcc_lo
	s_delay_alu instid0(VALU_DEP_2) | instskip(NEXT) | instid1(VALU_DEP_2)
	v_add_co_u32 v10, vcc_lo, v12, v10
	v_add_co_ci_u32_e32 v10, vcc_lo, v14, v18, vcc_lo
	v_add_co_ci_u32_e32 v12, vcc_lo, 0, v21, vcc_lo
	v_ashrrev_i32_e32 v18, 31, v20
	s_delay_alu instid0(VALU_DEP_3) | instskip(NEXT) | instid1(VALU_DEP_3)
	v_add_co_u32 v8, vcc_lo, v10, v8
	v_add_co_ci_u32_e32 v10, vcc_lo, 0, v12, vcc_lo
	s_delay_alu instid0(VALU_DEP_2) | instskip(NEXT) | instid1(VALU_DEP_2)
	v_add_co_u32 v3, vcc_lo, v3, v8
	v_add_co_ci_u32_e32 v5, vcc_lo, v5, v10, vcc_lo
	s_delay_alu instid0(VALU_DEP_2) | instskip(SKIP_1) | instid1(VALU_DEP_3)
	v_mul_hi_u32 v8, s0, v3
	v_mul_lo_u32 v12, s53, v3
	v_mul_lo_u32 v10, s0, v5
	s_delay_alu instid0(VALU_DEP_1) | instskip(SKIP_1) | instid1(VALU_DEP_2)
	v_add_nc_u32_e32 v8, v8, v10
	v_mul_lo_u32 v10, s0, v3
	v_add_nc_u32_e32 v8, v8, v12
	s_delay_alu instid0(VALU_DEP_2) | instskip(NEXT) | instid1(VALU_DEP_2)
	v_mul_hi_u32 v12, v3, v10
	v_mul_lo_u32 v14, v3, v8
	v_mul_hi_u32 v16, v3, v8
	v_mul_hi_u32 v21, v5, v10
	v_mul_lo_u32 v10, v5, v10
	v_mul_hi_u32 v22, v5, v8
	v_mul_lo_u32 v8, v5, v8
	v_add_co_u32 v12, vcc_lo, v12, v14
	v_add_co_ci_u32_e32 v14, vcc_lo, 0, v16, vcc_lo
	s_delay_alu instid0(VALU_DEP_2) | instskip(NEXT) | instid1(VALU_DEP_2)
	v_add_co_u32 v10, vcc_lo, v12, v10
	v_add_co_ci_u32_e32 v10, vcc_lo, v14, v21, vcc_lo
	v_add_co_ci_u32_e32 v12, vcc_lo, 0, v22, vcc_lo
	v_add_co_u32 v14, vcc_lo, v19, v18
	v_add_co_ci_u32_e32 v16, vcc_lo, v20, v18, vcc_lo
	s_delay_alu instid0(VALU_DEP_4) | instskip(NEXT) | instid1(VALU_DEP_4)
	v_add_co_u32 v8, vcc_lo, v10, v8
	v_add_co_ci_u32_e32 v10, vcc_lo, 0, v12, vcc_lo
	s_delay_alu instid0(VALU_DEP_4) | instskip(NEXT) | instid1(VALU_DEP_3)
	v_xor_b32_e32 v12, v14, v18
	v_add_co_u32 v3, vcc_lo, v3, v8
	s_delay_alu instid0(VALU_DEP_3) | instskip(SKIP_1) | instid1(VALU_DEP_3)
	v_add_co_ci_u32_e32 v5, vcc_lo, v5, v10, vcc_lo
	v_xor_b32_e32 v8, v16, v18
	v_mul_hi_u32 v10, v12, v3
	s_delay_alu instid0(VALU_DEP_3) | instskip(NEXT) | instid1(VALU_DEP_3)
	v_mad_u64_u32 v[20:21], null, v12, v5, 0
	v_mad_u64_u32 v[22:23], null, v8, v3, 0
	;; [unrolled: 1-line block ×3, first 2 shown]
	s_delay_alu instid0(VALU_DEP_3) | instskip(NEXT) | instid1(VALU_DEP_4)
	v_add_co_u32 v3, vcc_lo, v10, v20
	v_add_co_ci_u32_e32 v5, vcc_lo, 0, v21, vcc_lo
	s_delay_alu instid0(VALU_DEP_2) | instskip(NEXT) | instid1(VALU_DEP_2)
	v_add_co_u32 v3, vcc_lo, v3, v22
	v_add_co_ci_u32_e32 v3, vcc_lo, v5, v23, vcc_lo
	v_add_co_ci_u32_e32 v5, vcc_lo, 0, v29, vcc_lo
	s_delay_alu instid0(VALU_DEP_2) | instskip(NEXT) | instid1(VALU_DEP_2)
	v_add_co_u32 v3, vcc_lo, v3, v28
	v_add_co_ci_u32_e32 v5, vcc_lo, 0, v5, vcc_lo
	s_delay_alu instid0(VALU_DEP_2) | instskip(SKIP_1) | instid1(VALU_DEP_3)
	v_mul_lo_u32 v10, s23, v3
	v_mad_u64_u32 v[20:21], null, s22, v3, 0
	v_mul_lo_u32 v14, s22, v5
	s_delay_alu instid0(VALU_DEP_2) | instskip(NEXT) | instid1(VALU_DEP_2)
	v_sub_co_u32 v12, vcc_lo, v12, v20
	v_add3_u32 v10, v21, v14, v10
	s_delay_alu instid0(VALU_DEP_1) | instskip(NEXT) | instid1(VALU_DEP_1)
	v_sub_nc_u32_e32 v14, v8, v10
	v_subrev_co_ci_u32_e64 v14, s0, s23, v14, vcc_lo
	v_add_co_u32 v16, s0, v3, 2
	s_delay_alu instid0(VALU_DEP_1) | instskip(SKIP_3) | instid1(VALU_DEP_3)
	v_add_co_ci_u32_e64 v20, s0, 0, v5, s0
	v_sub_co_u32 v21, s0, v12, s22
	v_sub_co_ci_u32_e32 v8, vcc_lo, v8, v10, vcc_lo
	v_subrev_co_ci_u32_e64 v14, s0, 0, v14, s0
	v_cmp_le_u32_e32 vcc_lo, s22, v21
	s_delay_alu instid0(VALU_DEP_3) | instskip(SKIP_1) | instid1(VALU_DEP_4)
	v_cmp_eq_u32_e64 s0, s23, v8
	v_cndmask_b32_e64 v10, 0, -1, vcc_lo
	v_cmp_le_u32_e32 vcc_lo, s23, v14
	v_cndmask_b32_e64 v21, 0, -1, vcc_lo
	v_cmp_le_u32_e32 vcc_lo, s22, v12
	;; [unrolled: 2-line block ×3, first 2 shown]
	v_cndmask_b32_e64 v22, 0, -1, vcc_lo
	v_cmp_eq_u32_e32 vcc_lo, s23, v14
	s_delay_alu instid0(VALU_DEP_2) | instskip(SKIP_3) | instid1(VALU_DEP_3)
	v_cndmask_b32_e64 v8, v22, v12, s0
	v_cndmask_b32_e32 v10, v21, v10, vcc_lo
	v_add_co_u32 v14, vcc_lo, v3, 1
	v_add_co_ci_u32_e32 v21, vcc_lo, 0, v5, vcc_lo
	v_cmp_ne_u32_e32 vcc_lo, 0, v10
	s_delay_alu instid0(VALU_DEP_2) | instskip(NEXT) | instid1(VALU_DEP_4)
	v_cndmask_b32_e32 v10, v21, v20, vcc_lo
	v_cndmask_b32_e32 v12, v14, v16, vcc_lo
	v_cmp_ne_u32_e32 vcc_lo, 0, v8
	v_xor_b32_e32 v8, s20, v18
	s_delay_alu instid0(VALU_DEP_4) | instskip(NEXT) | instid1(VALU_DEP_4)
	v_cndmask_b32_e32 v5, v5, v10, vcc_lo
	v_cndmask_b32_e32 v3, v3, v12, vcc_lo
	v_xor_b32_e32 v10, s21, v18
	s_delay_alu instid0(VALU_DEP_2) | instskip(NEXT) | instid1(VALU_DEP_2)
	v_xor_b32_e32 v3, v3, v8
	v_xor_b32_e32 v5, v5, v10
	s_delay_alu instid0(VALU_DEP_2) | instskip(NEXT) | instid1(VALU_DEP_2)
	v_sub_co_u32 v21, vcc_lo, v3, v8
	v_sub_co_ci_u32_e32 v22, vcc_lo, v5, v10, vcc_lo
.LBB44_50:                              ;   in Loop: Header=BB44_24 Depth=2
	s_and_not1_saveexec_b32 s0, s17
	s_cbranch_execz .LBB44_52
; %bb.51:                               ;   in Loop: Header=BB44_24 Depth=2
	v_cvt_f32_u32_e32 v3, s52
	s_sub_i32 s17, 0, s52
	v_mov_b32_e32 v22, v2
	s_delay_alu instid0(VALU_DEP_2) | instskip(SKIP_2) | instid1(VALU_DEP_1)
	v_rcp_iflag_f32_e32 v3, v3
	s_waitcnt_depctr 0xfff
	v_mul_f32_e32 v3, 0x4f7ffffe, v3
	v_cvt_u32_f32_e32 v3, v3
	s_delay_alu instid0(VALU_DEP_1) | instskip(NEXT) | instid1(VALU_DEP_1)
	v_mul_lo_u32 v5, s17, v3
	v_mul_hi_u32 v5, v3, v5
	s_delay_alu instid0(VALU_DEP_1) | instskip(NEXT) | instid1(VALU_DEP_1)
	v_add_nc_u32_e32 v3, v3, v5
	v_mul_hi_u32 v3, v19, v3
	s_delay_alu instid0(VALU_DEP_1) | instskip(NEXT) | instid1(VALU_DEP_1)
	v_mul_lo_u32 v5, v3, s52
	v_sub_nc_u32_e32 v5, v19, v5
	s_delay_alu instid0(VALU_DEP_1) | instskip(SKIP_1) | instid1(VALU_DEP_2)
	v_subrev_nc_u32_e32 v10, s52, v5
	v_cmp_le_u32_e32 vcc_lo, s52, v5
	v_dual_cndmask_b32 v5, v5, v10 :: v_dual_add_nc_u32 v8, 1, v3
	s_delay_alu instid0(VALU_DEP_1) | instskip(NEXT) | instid1(VALU_DEP_2)
	v_cndmask_b32_e32 v3, v3, v8, vcc_lo
	v_cmp_le_u32_e32 vcc_lo, s52, v5
	s_delay_alu instid0(VALU_DEP_2) | instskip(NEXT) | instid1(VALU_DEP_1)
	v_add_nc_u32_e32 v8, 1, v3
	v_cndmask_b32_e32 v21, v3, v8, vcc_lo
.LBB44_52:                              ;   in Loop: Header=BB44_24 Depth=2
	s_or_b32 exec_lo, exec_lo, s0
	s_mov_b32 s17, s15
	s_add_u32 s20, s30, s18
	s_addc_u32 s21, s1, s19
	s_lshl_b64 s[18:19], s[16:17], 2
                                        ; implicit-def: $vgpr23_vgpr24
	s_delay_alu instid0(SALU_CYCLE_1)
	s_add_u32 s22, s26, s18
	s_addc_u32 s23, s27, s19
	s_clause 0x1
	s_load_b32 s53, s[22:23], 0x0
	s_load_b32 s17, s[20:21], 0x0
	s_mov_b32 s20, exec_lo
	s_waitcnt lgkmcnt(0)
	s_ashr_i32 s0, s53, 31
	s_delay_alu instid0(SALU_CYCLE_1) | instskip(NEXT) | instid1(VALU_DEP_1)
	v_or_b32_e32 v3, s0, v22
	v_cmpx_ne_u64_e32 0, v[2:3]
	s_xor_b32 s54, exec_lo, s20
	s_cbranch_execz .LBB44_54
; %bb.53:                               ;   in Loop: Header=BB44_24 Depth=2
	s_add_u32 s22, s53, s0
	s_mov_b32 s20, s0
	s_mov_b32 s21, s0
	s_addc_u32 s23, s0, s0
	s_delay_alu instid0(SALU_CYCLE_1) | instskip(NEXT) | instid1(SALU_CYCLE_1)
	s_xor_b64 s[22:23], s[22:23], s[20:21]
	v_cvt_f32_u32_e32 v3, s22
	v_cvt_f32_u32_e32 v5, s23
	s_sub_u32 s0, 0, s22
	s_subb_u32 s55, 0, s23
	s_delay_alu instid0(VALU_DEP_1) | instskip(NEXT) | instid1(VALU_DEP_1)
	v_fmac_f32_e32 v3, 0x4f800000, v5
	v_rcp_f32_e32 v3, v3
	s_waitcnt_depctr 0xfff
	v_mul_f32_e32 v3, 0x5f7ffffc, v3
	s_delay_alu instid0(VALU_DEP_1) | instskip(NEXT) | instid1(VALU_DEP_1)
	v_mul_f32_e32 v5, 0x2f800000, v3
	v_trunc_f32_e32 v5, v5
	s_delay_alu instid0(VALU_DEP_1) | instskip(SKIP_1) | instid1(VALU_DEP_2)
	v_fmac_f32_e32 v3, 0xcf800000, v5
	v_cvt_u32_f32_e32 v5, v5
	v_cvt_u32_f32_e32 v3, v3
	s_delay_alu instid0(VALU_DEP_2) | instskip(NEXT) | instid1(VALU_DEP_2)
	v_mul_lo_u32 v8, s0, v5
	v_mul_hi_u32 v10, s0, v3
	v_mul_lo_u32 v12, s55, v3
	s_delay_alu instid0(VALU_DEP_2) | instskip(SKIP_1) | instid1(VALU_DEP_2)
	v_add_nc_u32_e32 v8, v10, v8
	v_mul_lo_u32 v10, s0, v3
	v_add_nc_u32_e32 v8, v8, v12
	s_delay_alu instid0(VALU_DEP_2) | instskip(NEXT) | instid1(VALU_DEP_2)
	v_mul_hi_u32 v12, v3, v10
	v_mul_lo_u32 v14, v3, v8
	v_mul_hi_u32 v16, v3, v8
	v_mul_hi_u32 v18, v5, v10
	v_mul_lo_u32 v10, v5, v10
	v_mul_hi_u32 v20, v5, v8
	v_mul_lo_u32 v8, v5, v8
	v_add_co_u32 v12, vcc_lo, v12, v14
	v_add_co_ci_u32_e32 v14, vcc_lo, 0, v16, vcc_lo
	s_delay_alu instid0(VALU_DEP_2) | instskip(NEXT) | instid1(VALU_DEP_2)
	v_add_co_u32 v10, vcc_lo, v12, v10
	v_add_co_ci_u32_e32 v10, vcc_lo, v14, v18, vcc_lo
	v_add_co_ci_u32_e32 v12, vcc_lo, 0, v20, vcc_lo
	v_ashrrev_i32_e32 v18, 31, v22
	s_delay_alu instid0(VALU_DEP_3) | instskip(NEXT) | instid1(VALU_DEP_3)
	v_add_co_u32 v8, vcc_lo, v10, v8
	v_add_co_ci_u32_e32 v10, vcc_lo, 0, v12, vcc_lo
	s_delay_alu instid0(VALU_DEP_2) | instskip(NEXT) | instid1(VALU_DEP_2)
	v_add_co_u32 v3, vcc_lo, v3, v8
	v_add_co_ci_u32_e32 v5, vcc_lo, v5, v10, vcc_lo
	s_delay_alu instid0(VALU_DEP_2) | instskip(SKIP_1) | instid1(VALU_DEP_3)
	v_mul_hi_u32 v8, s0, v3
	v_mul_lo_u32 v12, s55, v3
	v_mul_lo_u32 v10, s0, v5
	s_delay_alu instid0(VALU_DEP_1) | instskip(SKIP_1) | instid1(VALU_DEP_2)
	v_add_nc_u32_e32 v8, v8, v10
	v_mul_lo_u32 v10, s0, v3
	v_add_nc_u32_e32 v8, v8, v12
	s_delay_alu instid0(VALU_DEP_2) | instskip(NEXT) | instid1(VALU_DEP_2)
	v_mul_hi_u32 v12, v3, v10
	v_mul_lo_u32 v14, v3, v8
	v_mul_hi_u32 v16, v3, v8
	v_mul_hi_u32 v20, v5, v10
	v_mul_lo_u32 v10, v5, v10
	v_mul_hi_u32 v23, v5, v8
	v_mul_lo_u32 v8, v5, v8
	v_add_co_u32 v12, vcc_lo, v12, v14
	v_add_co_ci_u32_e32 v14, vcc_lo, 0, v16, vcc_lo
	s_delay_alu instid0(VALU_DEP_2) | instskip(NEXT) | instid1(VALU_DEP_2)
	v_add_co_u32 v10, vcc_lo, v12, v10
	v_add_co_ci_u32_e32 v10, vcc_lo, v14, v20, vcc_lo
	v_add_co_ci_u32_e32 v12, vcc_lo, 0, v23, vcc_lo
	v_add_co_u32 v14, vcc_lo, v21, v18
	v_add_co_ci_u32_e32 v16, vcc_lo, v22, v18, vcc_lo
	s_delay_alu instid0(VALU_DEP_4) | instskip(NEXT) | instid1(VALU_DEP_4)
	v_add_co_u32 v8, vcc_lo, v10, v8
	v_add_co_ci_u32_e32 v10, vcc_lo, 0, v12, vcc_lo
	s_delay_alu instid0(VALU_DEP_4) | instskip(NEXT) | instid1(VALU_DEP_3)
	v_xor_b32_e32 v12, v14, v18
	v_add_co_u32 v3, vcc_lo, v3, v8
	s_delay_alu instid0(VALU_DEP_3) | instskip(SKIP_1) | instid1(VALU_DEP_3)
	v_add_co_ci_u32_e32 v5, vcc_lo, v5, v10, vcc_lo
	v_xor_b32_e32 v8, v16, v18
	v_mul_hi_u32 v10, v12, v3
	s_delay_alu instid0(VALU_DEP_3) | instskip(NEXT) | instid1(VALU_DEP_3)
	v_mad_u64_u32 v[22:23], null, v12, v5, 0
	v_mad_u64_u32 v[28:29], null, v8, v3, 0
	;; [unrolled: 1-line block ×3, first 2 shown]
	s_delay_alu instid0(VALU_DEP_3) | instskip(NEXT) | instid1(VALU_DEP_4)
	v_add_co_u32 v3, vcc_lo, v10, v22
	v_add_co_ci_u32_e32 v5, vcc_lo, 0, v23, vcc_lo
	s_delay_alu instid0(VALU_DEP_2) | instskip(NEXT) | instid1(VALU_DEP_2)
	v_add_co_u32 v3, vcc_lo, v3, v28
	v_add_co_ci_u32_e32 v3, vcc_lo, v5, v29, vcc_lo
	v_add_co_ci_u32_e32 v5, vcc_lo, 0, v31, vcc_lo
	s_delay_alu instid0(VALU_DEP_2) | instskip(NEXT) | instid1(VALU_DEP_2)
	v_add_co_u32 v3, vcc_lo, v3, v30
	v_add_co_ci_u32_e32 v5, vcc_lo, 0, v5, vcc_lo
	s_delay_alu instid0(VALU_DEP_2) | instskip(SKIP_1) | instid1(VALU_DEP_3)
	v_mul_lo_u32 v10, s23, v3
	v_mad_u64_u32 v[22:23], null, s22, v3, 0
	v_mul_lo_u32 v14, s22, v5
	s_delay_alu instid0(VALU_DEP_2) | instskip(NEXT) | instid1(VALU_DEP_2)
	v_sub_co_u32 v12, vcc_lo, v12, v22
	v_add3_u32 v10, v23, v14, v10
	s_delay_alu instid0(VALU_DEP_1) | instskip(NEXT) | instid1(VALU_DEP_1)
	v_sub_nc_u32_e32 v14, v8, v10
	v_subrev_co_ci_u32_e64 v14, s0, s23, v14, vcc_lo
	v_add_co_u32 v16, s0, v3, 2
	s_delay_alu instid0(VALU_DEP_1) | instskip(SKIP_3) | instid1(VALU_DEP_3)
	v_add_co_ci_u32_e64 v20, s0, 0, v5, s0
	v_sub_co_u32 v22, s0, v12, s22
	v_sub_co_ci_u32_e32 v8, vcc_lo, v8, v10, vcc_lo
	v_subrev_co_ci_u32_e64 v14, s0, 0, v14, s0
	v_cmp_le_u32_e32 vcc_lo, s22, v22
	s_delay_alu instid0(VALU_DEP_3) | instskip(SKIP_1) | instid1(VALU_DEP_4)
	v_cmp_eq_u32_e64 s0, s23, v8
	v_cndmask_b32_e64 v10, 0, -1, vcc_lo
	v_cmp_le_u32_e32 vcc_lo, s23, v14
	v_cndmask_b32_e64 v22, 0, -1, vcc_lo
	v_cmp_le_u32_e32 vcc_lo, s22, v12
	;; [unrolled: 2-line block ×3, first 2 shown]
	v_cndmask_b32_e64 v23, 0, -1, vcc_lo
	v_cmp_eq_u32_e32 vcc_lo, s23, v14
	s_delay_alu instid0(VALU_DEP_2) | instskip(SKIP_3) | instid1(VALU_DEP_3)
	v_cndmask_b32_e64 v8, v23, v12, s0
	v_cndmask_b32_e32 v10, v22, v10, vcc_lo
	v_add_co_u32 v14, vcc_lo, v3, 1
	v_add_co_ci_u32_e32 v22, vcc_lo, 0, v5, vcc_lo
	v_cmp_ne_u32_e32 vcc_lo, 0, v10
	s_delay_alu instid0(VALU_DEP_2) | instskip(NEXT) | instid1(VALU_DEP_4)
	v_cndmask_b32_e32 v10, v22, v20, vcc_lo
	v_cndmask_b32_e32 v12, v14, v16, vcc_lo
	v_cmp_ne_u32_e32 vcc_lo, 0, v8
	v_xor_b32_e32 v8, s20, v18
	s_delay_alu instid0(VALU_DEP_4) | instskip(NEXT) | instid1(VALU_DEP_4)
	v_cndmask_b32_e32 v5, v5, v10, vcc_lo
	v_cndmask_b32_e32 v3, v3, v12, vcc_lo
	v_xor_b32_e32 v10, s21, v18
	s_delay_alu instid0(VALU_DEP_2) | instskip(NEXT) | instid1(VALU_DEP_2)
	v_xor_b32_e32 v3, v3, v8
	v_xor_b32_e32 v5, v5, v10
	s_delay_alu instid0(VALU_DEP_2) | instskip(NEXT) | instid1(VALU_DEP_2)
	v_sub_co_u32 v23, vcc_lo, v3, v8
	v_sub_co_ci_u32_e32 v24, vcc_lo, v5, v10, vcc_lo
.LBB44_54:                              ;   in Loop: Header=BB44_24 Depth=2
	s_and_not1_saveexec_b32 s0, s54
	s_cbranch_execz .LBB44_56
; %bb.55:                               ;   in Loop: Header=BB44_24 Depth=2
	v_cvt_f32_u32_e32 v3, s53
	s_sub_i32 s20, 0, s53
	v_mov_b32_e32 v24, v2
	s_delay_alu instid0(VALU_DEP_2) | instskip(SKIP_2) | instid1(VALU_DEP_1)
	v_rcp_iflag_f32_e32 v3, v3
	s_waitcnt_depctr 0xfff
	v_mul_f32_e32 v3, 0x4f7ffffe, v3
	v_cvt_u32_f32_e32 v3, v3
	s_delay_alu instid0(VALU_DEP_1) | instskip(NEXT) | instid1(VALU_DEP_1)
	v_mul_lo_u32 v5, s20, v3
	v_mul_hi_u32 v5, v3, v5
	s_delay_alu instid0(VALU_DEP_1) | instskip(NEXT) | instid1(VALU_DEP_1)
	v_add_nc_u32_e32 v3, v3, v5
	v_mul_hi_u32 v3, v21, v3
	s_delay_alu instid0(VALU_DEP_1) | instskip(NEXT) | instid1(VALU_DEP_1)
	v_mul_lo_u32 v5, v3, s53
	v_sub_nc_u32_e32 v5, v21, v5
	s_delay_alu instid0(VALU_DEP_1) | instskip(SKIP_1) | instid1(VALU_DEP_2)
	v_subrev_nc_u32_e32 v10, s53, v5
	v_cmp_le_u32_e32 vcc_lo, s53, v5
	v_dual_cndmask_b32 v5, v5, v10 :: v_dual_add_nc_u32 v8, 1, v3
	s_delay_alu instid0(VALU_DEP_1) | instskip(NEXT) | instid1(VALU_DEP_2)
	v_cndmask_b32_e32 v3, v3, v8, vcc_lo
	v_cmp_le_u32_e32 vcc_lo, s53, v5
	s_delay_alu instid0(VALU_DEP_2) | instskip(NEXT) | instid1(VALU_DEP_1)
	v_add_nc_u32_e32 v8, 1, v3
	v_cndmask_b32_e32 v23, v3, v8, vcc_lo
.LBB44_56:                              ;   in Loop: Header=BB44_24 Depth=2
	s_or_b32 exec_lo, exec_lo, s0
	v_mul_lo_u32 v3, v9, s41
	v_mul_lo_u32 v5, v11, s43
	;; [unrolled: 1-line block ×4, first 2 shown]
	s_add_u32 s18, s30, s18
	s_addc_u32 s19, s1, s19
	v_mul_lo_u32 v12, v17, s49
	s_load_b32 s0, s[18:19], 0x0
	v_sub_nc_u32_e32 v3, v7, v3
	v_sub_nc_u32_e32 v5, v9, v5
	v_mul_lo_u32 v7, v19, s51
	v_sub_nc_u32_e32 v8, v11, v8
	v_sub_nc_u32_e32 v10, v13, v10
	v_mul_lo_u32 v3, s42, v3
	v_mul_lo_u32 v5, s44, v5
	v_mul_lo_u32 v9, v21, s52
	v_mul_lo_u32 v11, v23, s53
	v_sub_nc_u32_e32 v12, v15, v12
	v_sub_nc_u32_e32 v7, v17, v7
	v_mul_lo_u32 v8, s46, v8
	v_mul_lo_u32 v10, s48, v10
	s_add_i32 s16, s16, -8
	v_add3_u32 v3, v3, v4, v5
	v_mul_lo_u32 v4, s50, v12
	v_sub_nc_u32_e32 v5, v19, v9
	v_sub_nc_u32_e32 v9, v21, v11
	v_mul_lo_u32 v7, s14, v7
	s_cmp_eq_u32 s16, -8
	v_add3_u32 v3, v8, v3, v10
	v_mul_lo_u32 v5, s17, v5
	s_waitcnt lgkmcnt(0)
	v_mul_lo_u32 v8, s0, v9
	s_delay_alu instid0(VALU_DEP_3) | instskip(NEXT) | instid1(VALU_DEP_1)
	v_add3_u32 v3, v4, v3, v7
	v_add3_u32 v4, v5, v3, v8
	s_cbranch_scc1 .LBB44_58
; %bb.57:                               ;   in Loop: Header=BB44_24 Depth=2
	v_dual_mov_b32 v7, v23 :: v_dual_mov_b32 v8, v24
	s_branch .LBB44_24
.LBB44_58:                              ;   in Loop: Header=BB44_3 Depth=1
	s_load_b32 s0, s[12:13], 0x0
	s_waitcnt lgkmcnt(0)
	v_cmp_gt_i32_e32 vcc_lo, s0, v27
	s_and_b32 exec_lo, exec_lo, vcc_lo
	s_cbranch_execz .LBB44_2
; %bb.59:                               ;   in Loop: Header=BB44_3 Depth=1
	v_ashrrev_i32_e32 v7, 31, v6
	s_mov_b32 s14, exec_lo
	s_delay_alu instid0(VALU_DEP_1)
	v_cmpx_lt_i64_e64 s[4:5], v[6:7]
	s_cbranch_execz .LBB44_61
; %bb.60:                               ;   in Loop: Header=BB44_3 Depth=1
	v_ashrrev_i32_e32 v5, 31, v4
	s_delay_alu instid0(VALU_DEP_1) | instskip(NEXT) | instid1(VALU_DEP_1)
	v_lshlrev_b64 v[5:6], 1, v[4:5]
	v_add_co_u32 v5, vcc_lo, s2, v5
	s_delay_alu instid0(VALU_DEP_2)
	v_add_co_ci_u32_e32 v6, vcc_lo, s3, v6, vcc_lo
	global_store_b16 v[5:6], v2, off
.LBB44_61:                              ;   in Loop: Header=BB44_3 Depth=1
	s_or_b32 exec_lo, exec_lo, s14
	v_add_nc_u32_e32 v3, 1, v27
	s_delay_alu instid0(VALU_DEP_1)
	v_cmp_gt_i32_e32 vcc_lo, s0, v3
	s_and_b32 exec_lo, exec_lo, vcc_lo
	s_cbranch_execz .LBB44_2
; %bb.62:                               ;   in Loop: Header=BB44_3 Depth=1
	v_sub_nc_u32_e32 v5, v3, v26
	s_mov_b32 s14, exec_lo
	s_delay_alu instid0(VALU_DEP_1) | instskip(NEXT) | instid1(VALU_DEP_1)
	v_ashrrev_i32_e32 v6, 31, v5
	v_cmpx_lt_i64_e64 s[4:5], v[5:6]
	s_cbranch_execz .LBB44_64
; %bb.63:                               ;   in Loop: Header=BB44_3 Depth=1
	v_add_nc_u32_e32 v5, s40, v4
	s_delay_alu instid0(VALU_DEP_1) | instskip(NEXT) | instid1(VALU_DEP_1)
	v_ashrrev_i32_e32 v6, 31, v5
	v_lshlrev_b64 v[5:6], 1, v[5:6]
	s_delay_alu instid0(VALU_DEP_1) | instskip(NEXT) | instid1(VALU_DEP_2)
	v_add_co_u32 v5, vcc_lo, s2, v5
	v_add_co_ci_u32_e32 v6, vcc_lo, s3, v6, vcc_lo
	global_store_b16 v[5:6], v2, off
.LBB44_64:                              ;   in Loop: Header=BB44_3 Depth=1
	s_or_b32 exec_lo, exec_lo, s14
	v_add_nc_u32_e32 v3, 2, v27
	s_delay_alu instid0(VALU_DEP_1)
	v_cmp_gt_i32_e32 vcc_lo, s0, v3
	s_and_b32 exec_lo, exec_lo, vcc_lo
	s_cbranch_execz .LBB44_2
; %bb.65:                               ;   in Loop: Header=BB44_3 Depth=1
	v_sub_nc_u32_e32 v5, v3, v26
	s_mov_b32 s14, exec_lo
	s_delay_alu instid0(VALU_DEP_1) | instskip(NEXT) | instid1(VALU_DEP_1)
	v_ashrrev_i32_e32 v6, 31, v5
	v_cmpx_lt_i64_e64 s[4:5], v[5:6]
	s_cbranch_execz .LBB44_67
; %bb.66:                               ;   in Loop: Header=BB44_3 Depth=1
	v_lshl_add_u32 v5, s40, 1, v4
	s_delay_alu instid0(VALU_DEP_1) | instskip(NEXT) | instid1(VALU_DEP_1)
	v_ashrrev_i32_e32 v6, 31, v5
	v_lshlrev_b64 v[5:6], 1, v[5:6]
	s_delay_alu instid0(VALU_DEP_1) | instskip(NEXT) | instid1(VALU_DEP_2)
	v_add_co_u32 v5, vcc_lo, s2, v5
	v_add_co_ci_u32_e32 v6, vcc_lo, s3, v6, vcc_lo
	global_store_b16 v[5:6], v2, off
.LBB44_67:                              ;   in Loop: Header=BB44_3 Depth=1
	s_or_b32 exec_lo, exec_lo, s14
	v_add_nc_u32_e32 v3, 3, v27
	s_delay_alu instid0(VALU_DEP_1)
	v_cmp_gt_i32_e32 vcc_lo, s0, v3
	s_and_b32 exec_lo, exec_lo, vcc_lo
	s_cbranch_execz .LBB44_2
; %bb.68:                               ;   in Loop: Header=BB44_3 Depth=1
	v_sub_nc_u32_e32 v5, v3, v26
	s_delay_alu instid0(VALU_DEP_1) | instskip(NEXT) | instid1(VALU_DEP_1)
	v_ashrrev_i32_e32 v6, 31, v5
	v_cmp_lt_i64_e32 vcc_lo, s[4:5], v[5:6]
	s_and_b32 exec_lo, exec_lo, vcc_lo
	s_cbranch_execz .LBB44_2
; %bb.69:                               ;   in Loop: Header=BB44_3 Depth=1
	v_mad_u64_u32 v[5:6], null, s40, 3, v[4:5]
	s_delay_alu instid0(VALU_DEP_1) | instskip(NEXT) | instid1(VALU_DEP_1)
	v_ashrrev_i32_e32 v6, 31, v5
	v_lshlrev_b64 v[3:4], 1, v[5:6]
	s_delay_alu instid0(VALU_DEP_1) | instskip(NEXT) | instid1(VALU_DEP_2)
	v_add_co_u32 v3, vcc_lo, s2, v3
	v_add_co_ci_u32_e32 v4, vcc_lo, s3, v4, vcc_lo
	global_store_b16 v[3:4], v2, off
	s_branch .LBB44_2
.LBB44_70:
	s_nop 0
	s_sendmsg sendmsg(MSG_DEALLOC_VGPRS)
	s_endpgm
	.section	.rodata,"a",@progbits
	.p2align	6, 0x0
	.amdhsa_kernel _ZN2at6native16triu_tril_kernelIN3c108BFloat16EiLb0ELi4ELb1EEEvNS_4cuda6detail10TensorInfoIT_T0_EENS6_IKS7_S8_EEllS8_
		.amdhsa_group_segment_fixed_size 0
		.amdhsa_private_segment_fixed_size 0
		.amdhsa_kernarg_size 712
		.amdhsa_user_sgpr_count 15
		.amdhsa_user_sgpr_dispatch_ptr 0
		.amdhsa_user_sgpr_queue_ptr 0
		.amdhsa_user_sgpr_kernarg_segment_ptr 1
		.amdhsa_user_sgpr_dispatch_id 0
		.amdhsa_user_sgpr_private_segment_size 0
		.amdhsa_wavefront_size32 1
		.amdhsa_uses_dynamic_stack 0
		.amdhsa_enable_private_segment 0
		.amdhsa_system_sgpr_workgroup_id_x 1
		.amdhsa_system_sgpr_workgroup_id_y 0
		.amdhsa_system_sgpr_workgroup_id_z 0
		.amdhsa_system_sgpr_workgroup_info 0
		.amdhsa_system_vgpr_workitem_id 0
		.amdhsa_next_free_vgpr 32
		.amdhsa_next_free_sgpr 56
		.amdhsa_reserve_vcc 1
		.amdhsa_float_round_mode_32 0
		.amdhsa_float_round_mode_16_64 0
		.amdhsa_float_denorm_mode_32 3
		.amdhsa_float_denorm_mode_16_64 3
		.amdhsa_dx10_clamp 1
		.amdhsa_ieee_mode 1
		.amdhsa_fp16_overflow 0
		.amdhsa_workgroup_processor_mode 1
		.amdhsa_memory_ordered 1
		.amdhsa_forward_progress 0
		.amdhsa_shared_vgpr_count 0
		.amdhsa_exception_fp_ieee_invalid_op 0
		.amdhsa_exception_fp_denorm_src 0
		.amdhsa_exception_fp_ieee_div_zero 0
		.amdhsa_exception_fp_ieee_overflow 0
		.amdhsa_exception_fp_ieee_underflow 0
		.amdhsa_exception_fp_ieee_inexact 0
		.amdhsa_exception_int_div_zero 0
	.end_amdhsa_kernel
	.section	.text._ZN2at6native16triu_tril_kernelIN3c108BFloat16EiLb0ELi4ELb1EEEvNS_4cuda6detail10TensorInfoIT_T0_EENS6_IKS7_S8_EEllS8_,"axG",@progbits,_ZN2at6native16triu_tril_kernelIN3c108BFloat16EiLb0ELi4ELb1EEEvNS_4cuda6detail10TensorInfoIT_T0_EENS6_IKS7_S8_EEllS8_,comdat
.Lfunc_end44:
	.size	_ZN2at6native16triu_tril_kernelIN3c108BFloat16EiLb0ELi4ELb1EEEvNS_4cuda6detail10TensorInfoIT_T0_EENS6_IKS7_S8_EEllS8_, .Lfunc_end44-_ZN2at6native16triu_tril_kernelIN3c108BFloat16EiLb0ELi4ELb1EEEvNS_4cuda6detail10TensorInfoIT_T0_EENS6_IKS7_S8_EEllS8_
                                        ; -- End function
	.section	.AMDGPU.csdata,"",@progbits
; Kernel info:
; codeLenInByte = 12616
; NumSgprs: 58
; NumVgprs: 32
; ScratchSize: 0
; MemoryBound: 0
; FloatMode: 240
; IeeeMode: 1
; LDSByteSize: 0 bytes/workgroup (compile time only)
; SGPRBlocks: 7
; VGPRBlocks: 3
; NumSGPRsForWavesPerEU: 58
; NumVGPRsForWavesPerEU: 32
; Occupancy: 16
; WaveLimiterHint : 0
; COMPUTE_PGM_RSRC2:SCRATCH_EN: 0
; COMPUTE_PGM_RSRC2:USER_SGPR: 15
; COMPUTE_PGM_RSRC2:TRAP_HANDLER: 0
; COMPUTE_PGM_RSRC2:TGID_X_EN: 1
; COMPUTE_PGM_RSRC2:TGID_Y_EN: 0
; COMPUTE_PGM_RSRC2:TGID_Z_EN: 0
; COMPUTE_PGM_RSRC2:TIDIG_COMP_CNT: 0
	.section	.text._ZN2at6native16triu_tril_kernelIN3c108BFloat16EiLb0ELi4ELb0EEEvNS_4cuda6detail10TensorInfoIT_T0_EENS6_IKS7_S8_EEllS8_,"axG",@progbits,_ZN2at6native16triu_tril_kernelIN3c108BFloat16EiLb0ELi4ELb0EEEvNS_4cuda6detail10TensorInfoIT_T0_EENS6_IKS7_S8_EEllS8_,comdat
	.protected	_ZN2at6native16triu_tril_kernelIN3c108BFloat16EiLb0ELi4ELb0EEEvNS_4cuda6detail10TensorInfoIT_T0_EENS6_IKS7_S8_EEllS8_ ; -- Begin function _ZN2at6native16triu_tril_kernelIN3c108BFloat16EiLb0ELi4ELb0EEEvNS_4cuda6detail10TensorInfoIT_T0_EENS6_IKS7_S8_EEllS8_
	.globl	_ZN2at6native16triu_tril_kernelIN3c108BFloat16EiLb0ELi4ELb0EEEvNS_4cuda6detail10TensorInfoIT_T0_EENS6_IKS7_S8_EEllS8_
	.p2align	8
	.type	_ZN2at6native16triu_tril_kernelIN3c108BFloat16EiLb0ELi4ELb0EEEvNS_4cuda6detail10TensorInfoIT_T0_EENS6_IKS7_S8_EEllS8_,@function
_ZN2at6native16triu_tril_kernelIN3c108BFloat16EiLb0ELi4ELb0EEEvNS_4cuda6detail10TensorInfoIT_T0_EENS6_IKS7_S8_EEllS8_: ; @_ZN2at6native16triu_tril_kernelIN3c108BFloat16EiLb0ELi4ELb0EEEvNS_4cuda6detail10TensorInfoIT_T0_EENS6_IKS7_S8_EEllS8_
; %bb.0:
	s_clause 0x1
	s_load_b32 s2, s[0:1], 0x1d4
	s_load_b128 s[4:7], s[0:1], 0x1b0
	v_mov_b32_e32 v2, 0
	s_add_u32 s8, s0, 0x1c8
	s_addc_u32 s9, s1, 0
	s_delay_alu instid0(VALU_DEP_1) | instskip(SKIP_3) | instid1(VALU_DEP_1)
	v_mov_b32_e32 v1, v2
	s_waitcnt lgkmcnt(0)
	s_and_b32 s10, s2, 0xffff
	s_mov_b32 s2, exec_lo
	v_mad_u64_u32 v[3:4], null, s10, s15, v[0:1]
	s_delay_alu instid0(VALU_DEP_1) | instskip(NEXT) | instid1(VALU_DEP_1)
	v_lshlrev_b64 v[0:1], 2, v[3:4]
	v_cmpx_gt_i64_e64 s[6:7], v[0:1]
	s_cbranch_execz .LBB45_55
; %bb.1:
	s_clause 0x1
	s_load_b32 s16, s[0:1], 0x1a8
	s_load_b32 s30, s[0:1], 0x1c0
	s_add_u32 s31, s0, 0xd8
	s_addc_u32 s33, s1, 0
	s_load_b32 s11, s[8:9], 0x0
	s_load_b64 s[2:3], s[0:1], 0xd8
	s_waitcnt lgkmcnt(0)
	s_ashr_i32 s17, s16, 31
	s_ashr_i32 s34, s30, 31
	s_lshl_b64 s[8:9], s[16:17], 2
	v_cvt_f32_u32_e32 v3, s30
	s_add_u32 s14, s8, -8
	s_addc_u32 s15, s9, -1
	s_add_u32 s12, s31, s14
	s_addc_u32 s13, s33, s15
	v_rcp_iflag_f32_e32 v3, v3
	s_load_b64 s[8:9], s[12:13], 0x8
	s_mul_i32 s18, s11, s10
	s_load_b64 s[10:11], s[12:13], 0x6c
	s_waitcnt_depctr 0xfff
	v_mul_f32_e32 v3, 0x4f7ffffe, v3
	s_delay_alu instid0(VALU_DEP_1)
	v_cvt_u32_f32_e32 v3, v3
	s_waitcnt lgkmcnt(0)
	s_ashr_i32 s35, s8, 31
	s_add_u32 s36, s0, 0x6c
	s_addc_u32 s37, s1, 0
	s_add_u32 s12, s36, s14
	s_addc_u32 s13, s37, s15
	s_and_b32 s39, s16, 3
	s_add_i32 s38, s16, -3
	s_lshl_b32 s40, s18, 2
	s_cmp_lg_u32 s39, 2
	s_load_b64 s[12:13], s[12:13], 0x0
	s_cselect_b32 s41, -1, 0
	s_cmp_gt_u32 s38, 2
	s_mov_b32 s18, s11
	s_cselect_b32 s42, -1, 0
	s_sub_i32 s14, 0, s30
	s_ashr_i32 s19, s11, 31
	v_mul_lo_u32 v4, s14, v3
	s_load_b64 s[14:15], s[0:1], 0x0
	v_cmp_gt_i64_e64 s1, s[16:17], 2
	s_mov_b32 s17, 0
	s_mov_b32 s11, 0
	s_delay_alu instid0(VALU_DEP_2) | instskip(SKIP_3) | instid1(VALU_DEP_1)
	v_mul_hi_u32 v4, v3, v4
	s_waitcnt lgkmcnt(0)
	s_ashr_i32 s21, s13, 31
	s_mov_b32 s20, s13
	v_add_nc_u32_e32 v18, v3, v4
	s_branch .LBB45_3
.LBB45_2:                               ;   in Loop: Header=BB45_3 Depth=1
	s_or_b32 exec_lo, exec_lo, s0
	v_add_co_u32 v0, vcc_lo, v0, s40
	v_add_co_ci_u32_e32 v1, vcc_lo, 0, v1, vcc_lo
	s_delay_alu instid0(VALU_DEP_1) | instskip(SKIP_1) | instid1(SALU_CYCLE_1)
	v_cmp_le_i64_e32 vcc_lo, s[6:7], v[0:1]
	s_or_b32 s11, vcc_lo, s11
	s_and_not1_b32 exec_lo, exec_lo, s11
	s_cbranch_execz .LBB45_55
.LBB45_3:                               ; =>This Loop Header: Depth=1
                                        ;     Child Loop BB45_14 Depth 2
                                        ;     Child Loop BB45_22 Depth 2
	v_or_b32_e32 v3, s34, v1
                                        ; implicit-def: $vgpr4_vgpr5
	s_mov_b32 s0, exec_lo
	s_delay_alu instid0(VALU_DEP_1)
	v_cmpx_ne_u64_e32 0, v[2:3]
	s_xor_b32 s13, exec_lo, s0
	s_cbranch_execz .LBB45_5
; %bb.4:                                ;   in Loop: Header=BB45_3 Depth=1
	s_add_u32 s24, s30, s34
	s_mov_b32 s22, s34
	s_mov_b32 s23, s34
	s_addc_u32 s25, s34, s34
	s_delay_alu instid0(SALU_CYCLE_1) | instskip(NEXT) | instid1(SALU_CYCLE_1)
	s_xor_b64 s[24:25], s[24:25], s[22:23]
	v_cvt_f32_u32_e32 v3, s24
	v_cvt_f32_u32_e32 v4, s25
	s_sub_u32 s0, 0, s24
	s_subb_u32 s16, 0, s25
	s_delay_alu instid0(VALU_DEP_1) | instskip(NEXT) | instid1(VALU_DEP_1)
	v_fmac_f32_e32 v3, 0x4f800000, v4
	v_rcp_f32_e32 v3, v3
	s_waitcnt_depctr 0xfff
	v_mul_f32_e32 v3, 0x5f7ffffc, v3
	s_delay_alu instid0(VALU_DEP_1) | instskip(NEXT) | instid1(VALU_DEP_1)
	v_mul_f32_e32 v4, 0x2f800000, v3
	v_trunc_f32_e32 v4, v4
	s_delay_alu instid0(VALU_DEP_1) | instskip(SKIP_1) | instid1(VALU_DEP_2)
	v_fmac_f32_e32 v3, 0xcf800000, v4
	v_cvt_u32_f32_e32 v4, v4
	v_cvt_u32_f32_e32 v3, v3
	s_delay_alu instid0(VALU_DEP_2) | instskip(NEXT) | instid1(VALU_DEP_2)
	v_mul_lo_u32 v5, s0, v4
	v_mul_hi_u32 v6, s0, v3
	v_mul_lo_u32 v7, s16, v3
	s_delay_alu instid0(VALU_DEP_2) | instskip(SKIP_1) | instid1(VALU_DEP_2)
	v_add_nc_u32_e32 v5, v6, v5
	v_mul_lo_u32 v6, s0, v3
	v_add_nc_u32_e32 v5, v5, v7
	s_delay_alu instid0(VALU_DEP_2) | instskip(NEXT) | instid1(VALU_DEP_2)
	v_mul_hi_u32 v7, v3, v6
	v_mul_lo_u32 v8, v3, v5
	v_mul_hi_u32 v9, v3, v5
	v_mul_hi_u32 v10, v4, v6
	v_mul_lo_u32 v6, v4, v6
	v_mul_hi_u32 v11, v4, v5
	v_mul_lo_u32 v5, v4, v5
	v_add_co_u32 v7, vcc_lo, v7, v8
	v_add_co_ci_u32_e32 v8, vcc_lo, 0, v9, vcc_lo
	s_delay_alu instid0(VALU_DEP_2) | instskip(NEXT) | instid1(VALU_DEP_2)
	v_add_co_u32 v6, vcc_lo, v7, v6
	v_add_co_ci_u32_e32 v6, vcc_lo, v8, v10, vcc_lo
	v_add_co_ci_u32_e32 v7, vcc_lo, 0, v11, vcc_lo
	v_ashrrev_i32_e32 v10, 31, v1
	s_delay_alu instid0(VALU_DEP_3) | instskip(NEXT) | instid1(VALU_DEP_3)
	v_add_co_u32 v5, vcc_lo, v6, v5
	v_add_co_ci_u32_e32 v6, vcc_lo, 0, v7, vcc_lo
	s_delay_alu instid0(VALU_DEP_2) | instskip(NEXT) | instid1(VALU_DEP_2)
	v_add_co_u32 v3, vcc_lo, v3, v5
	v_add_co_ci_u32_e32 v4, vcc_lo, v4, v6, vcc_lo
	s_delay_alu instid0(VALU_DEP_2) | instskip(SKIP_1) | instid1(VALU_DEP_3)
	v_mul_hi_u32 v5, s0, v3
	v_mul_lo_u32 v7, s16, v3
	v_mul_lo_u32 v6, s0, v4
	s_delay_alu instid0(VALU_DEP_1) | instskip(SKIP_1) | instid1(VALU_DEP_2)
	v_add_nc_u32_e32 v5, v5, v6
	v_mul_lo_u32 v6, s0, v3
	v_add_nc_u32_e32 v5, v5, v7
	s_delay_alu instid0(VALU_DEP_2) | instskip(NEXT) | instid1(VALU_DEP_2)
	v_mul_hi_u32 v7, v3, v6
	v_mul_lo_u32 v8, v3, v5
	v_mul_hi_u32 v9, v3, v5
	v_mul_hi_u32 v11, v4, v6
	v_mul_lo_u32 v6, v4, v6
	v_mul_hi_u32 v12, v4, v5
	v_mul_lo_u32 v5, v4, v5
	v_add_co_u32 v7, vcc_lo, v7, v8
	v_add_co_ci_u32_e32 v8, vcc_lo, 0, v9, vcc_lo
	s_delay_alu instid0(VALU_DEP_2) | instskip(NEXT) | instid1(VALU_DEP_2)
	v_add_co_u32 v6, vcc_lo, v7, v6
	v_add_co_ci_u32_e32 v6, vcc_lo, v8, v11, vcc_lo
	v_add_co_ci_u32_e32 v7, vcc_lo, 0, v12, vcc_lo
	v_add_co_u32 v8, vcc_lo, v0, v10
	v_add_co_ci_u32_e32 v9, vcc_lo, v1, v10, vcc_lo
	s_delay_alu instid0(VALU_DEP_4) | instskip(NEXT) | instid1(VALU_DEP_4)
	v_add_co_u32 v5, vcc_lo, v6, v5
	v_add_co_ci_u32_e32 v6, vcc_lo, 0, v7, vcc_lo
	s_delay_alu instid0(VALU_DEP_4) | instskip(NEXT) | instid1(VALU_DEP_3)
	v_xor_b32_e32 v11, v8, v10
	v_add_co_u32 v7, vcc_lo, v3, v5
	s_delay_alu instid0(VALU_DEP_3) | instskip(SKIP_1) | instid1(VALU_DEP_3)
	v_add_co_ci_u32_e32 v12, vcc_lo, v4, v6, vcc_lo
	v_xor_b32_e32 v9, v9, v10
	v_mul_hi_u32 v13, v11, v7
	s_delay_alu instid0(VALU_DEP_3) | instskip(NEXT) | instid1(VALU_DEP_3)
	v_mad_u64_u32 v[3:4], null, v11, v12, 0
	v_mad_u64_u32 v[5:6], null, v9, v7, 0
	;; [unrolled: 1-line block ×3, first 2 shown]
	s_delay_alu instid0(VALU_DEP_3) | instskip(NEXT) | instid1(VALU_DEP_4)
	v_add_co_u32 v3, vcc_lo, v13, v3
	v_add_co_ci_u32_e32 v4, vcc_lo, 0, v4, vcc_lo
	s_delay_alu instid0(VALU_DEP_2) | instskip(NEXT) | instid1(VALU_DEP_2)
	v_add_co_u32 v3, vcc_lo, v3, v5
	v_add_co_ci_u32_e32 v3, vcc_lo, v4, v6, vcc_lo
	v_add_co_ci_u32_e32 v4, vcc_lo, 0, v8, vcc_lo
	s_delay_alu instid0(VALU_DEP_2) | instskip(NEXT) | instid1(VALU_DEP_2)
	v_add_co_u32 v5, vcc_lo, v3, v7
	v_add_co_ci_u32_e32 v6, vcc_lo, 0, v4, vcc_lo
	s_delay_alu instid0(VALU_DEP_2) | instskip(SKIP_1) | instid1(VALU_DEP_3)
	v_mul_lo_u32 v7, s25, v5
	v_mad_u64_u32 v[3:4], null, s24, v5, 0
	v_mul_lo_u32 v8, s24, v6
	s_delay_alu instid0(VALU_DEP_2) | instskip(NEXT) | instid1(VALU_DEP_2)
	v_sub_co_u32 v3, vcc_lo, v11, v3
	v_add3_u32 v4, v4, v8, v7
	s_delay_alu instid0(VALU_DEP_1) | instskip(NEXT) | instid1(VALU_DEP_1)
	v_sub_nc_u32_e32 v7, v9, v4
	v_subrev_co_ci_u32_e64 v7, s0, s25, v7, vcc_lo
	v_add_co_u32 v8, s0, v5, 2
	s_delay_alu instid0(VALU_DEP_1) | instskip(SKIP_3) | instid1(VALU_DEP_3)
	v_add_co_ci_u32_e64 v11, s0, 0, v6, s0
	v_sub_co_u32 v12, s0, v3, s24
	v_sub_co_ci_u32_e32 v4, vcc_lo, v9, v4, vcc_lo
	v_subrev_co_ci_u32_e64 v7, s0, 0, v7, s0
	v_cmp_le_u32_e32 vcc_lo, s24, v12
	s_delay_alu instid0(VALU_DEP_3) | instskip(SKIP_1) | instid1(VALU_DEP_4)
	v_cmp_eq_u32_e64 s0, s25, v4
	v_cndmask_b32_e64 v9, 0, -1, vcc_lo
	v_cmp_le_u32_e32 vcc_lo, s25, v7
	v_cndmask_b32_e64 v12, 0, -1, vcc_lo
	v_cmp_le_u32_e32 vcc_lo, s24, v3
	v_cndmask_b32_e64 v3, 0, -1, vcc_lo
	v_cmp_le_u32_e32 vcc_lo, s25, v4
	v_cndmask_b32_e64 v13, 0, -1, vcc_lo
	v_cmp_eq_u32_e32 vcc_lo, s25, v7
	s_delay_alu instid0(VALU_DEP_2) | instskip(SKIP_3) | instid1(VALU_DEP_3)
	v_cndmask_b32_e64 v3, v13, v3, s0
	v_cndmask_b32_e32 v7, v12, v9, vcc_lo
	v_add_co_u32 v9, vcc_lo, v5, 1
	v_add_co_ci_u32_e32 v12, vcc_lo, 0, v6, vcc_lo
	v_cmp_ne_u32_e32 vcc_lo, 0, v7
	s_delay_alu instid0(VALU_DEP_2) | instskip(SKIP_2) | instid1(VALU_DEP_3)
	v_dual_cndmask_b32 v4, v12, v11 :: v_dual_cndmask_b32 v7, v9, v8
	v_cmp_ne_u32_e32 vcc_lo, 0, v3
	v_xor_b32_e32 v3, s22, v10
	v_dual_cndmask_b32 v5, v5, v7 :: v_dual_cndmask_b32 v4, v6, v4
	v_xor_b32_e32 v6, s23, v10
	s_delay_alu instid0(VALU_DEP_2) | instskip(NEXT) | instid1(VALU_DEP_2)
	v_xor_b32_e32 v5, v5, v3
	v_xor_b32_e32 v7, v4, v6
	s_delay_alu instid0(VALU_DEP_2) | instskip(NEXT) | instid1(VALU_DEP_2)
	v_sub_co_u32 v4, vcc_lo, v5, v3
	v_sub_co_ci_u32_e32 v5, vcc_lo, v7, v6, vcc_lo
.LBB45_5:                               ;   in Loop: Header=BB45_3 Depth=1
	s_and_not1_saveexec_b32 s0, s13
; %bb.6:                                ;   in Loop: Header=BB45_3 Depth=1
	v_mul_hi_u32 v3, v0, v18
	s_delay_alu instid0(VALU_DEP_1) | instskip(NEXT) | instid1(VALU_DEP_1)
	v_mul_lo_u32 v4, v3, s30
	v_sub_nc_u32_e32 v4, v0, v4
	s_delay_alu instid0(VALU_DEP_1) | instskip(SKIP_1) | instid1(VALU_DEP_2)
	v_subrev_nc_u32_e32 v6, s30, v4
	v_cmp_le_u32_e32 vcc_lo, s30, v4
	v_dual_cndmask_b32 v4, v4, v6 :: v_dual_add_nc_u32 v5, 1, v3
	s_delay_alu instid0(VALU_DEP_1) | instskip(NEXT) | instid1(VALU_DEP_2)
	v_cndmask_b32_e32 v3, v3, v5, vcc_lo
	v_cmp_le_u32_e32 vcc_lo, s30, v4
	s_delay_alu instid0(VALU_DEP_2) | instskip(NEXT) | instid1(VALU_DEP_1)
	v_add_nc_u32_e32 v5, 1, v3
	v_dual_cndmask_b32 v4, v3, v5 :: v_dual_mov_b32 v5, v2
; %bb.7:                                ;   in Loop: Header=BB45_3 Depth=1
	s_or_b32 exec_lo, exec_lo, s0
	s_delay_alu instid0(VALU_DEP_1) | instskip(SKIP_1) | instid1(VALU_DEP_1)
	v_or_b32_e32 v3, s35, v5
                                        ; implicit-def: $vgpr8_vgpr9
	s_mov_b32 s0, exec_lo
	v_cmpx_ne_u64_e32 0, v[2:3]
	s_xor_b32 s13, exec_lo, s0
	s_cbranch_execz .LBB45_9
; %bb.8:                                ;   in Loop: Header=BB45_3 Depth=1
	s_add_u32 s24, s8, s35
	s_mov_b32 s22, s35
	s_mov_b32 s23, s35
	s_addc_u32 s25, s35, s35
	s_delay_alu instid0(SALU_CYCLE_1) | instskip(NEXT) | instid1(SALU_CYCLE_1)
	s_xor_b64 s[24:25], s[24:25], s[22:23]
	v_cvt_f32_u32_e32 v3, s24
	v_cvt_f32_u32_e32 v6, s25
	s_sub_u32 s0, 0, s24
	s_subb_u32 s16, 0, s25
	s_delay_alu instid0(VALU_DEP_1) | instskip(NEXT) | instid1(VALU_DEP_1)
	v_fmac_f32_e32 v3, 0x4f800000, v6
	v_rcp_f32_e32 v3, v3
	s_waitcnt_depctr 0xfff
	v_mul_f32_e32 v3, 0x5f7ffffc, v3
	s_delay_alu instid0(VALU_DEP_1) | instskip(NEXT) | instid1(VALU_DEP_1)
	v_mul_f32_e32 v6, 0x2f800000, v3
	v_trunc_f32_e32 v6, v6
	s_delay_alu instid0(VALU_DEP_1) | instskip(SKIP_1) | instid1(VALU_DEP_2)
	v_fmac_f32_e32 v3, 0xcf800000, v6
	v_cvt_u32_f32_e32 v6, v6
	v_cvt_u32_f32_e32 v3, v3
	s_delay_alu instid0(VALU_DEP_2) | instskip(NEXT) | instid1(VALU_DEP_2)
	v_mul_lo_u32 v7, s0, v6
	v_mul_hi_u32 v8, s0, v3
	v_mul_lo_u32 v9, s16, v3
	s_delay_alu instid0(VALU_DEP_2) | instskip(SKIP_1) | instid1(VALU_DEP_2)
	v_add_nc_u32_e32 v7, v8, v7
	v_mul_lo_u32 v8, s0, v3
	v_add_nc_u32_e32 v7, v7, v9
	s_delay_alu instid0(VALU_DEP_2) | instskip(NEXT) | instid1(VALU_DEP_2)
	v_mul_hi_u32 v9, v3, v8
	v_mul_lo_u32 v10, v3, v7
	v_mul_hi_u32 v11, v3, v7
	v_mul_hi_u32 v12, v6, v8
	v_mul_lo_u32 v8, v6, v8
	v_mul_hi_u32 v13, v6, v7
	v_mul_lo_u32 v7, v6, v7
	v_add_co_u32 v9, vcc_lo, v9, v10
	v_add_co_ci_u32_e32 v10, vcc_lo, 0, v11, vcc_lo
	s_delay_alu instid0(VALU_DEP_2) | instskip(NEXT) | instid1(VALU_DEP_2)
	v_add_co_u32 v8, vcc_lo, v9, v8
	v_add_co_ci_u32_e32 v8, vcc_lo, v10, v12, vcc_lo
	v_add_co_ci_u32_e32 v9, vcc_lo, 0, v13, vcc_lo
	v_ashrrev_i32_e32 v12, 31, v5
	s_delay_alu instid0(VALU_DEP_3) | instskip(NEXT) | instid1(VALU_DEP_3)
	v_add_co_u32 v7, vcc_lo, v8, v7
	v_add_co_ci_u32_e32 v8, vcc_lo, 0, v9, vcc_lo
	s_delay_alu instid0(VALU_DEP_2) | instskip(NEXT) | instid1(VALU_DEP_2)
	v_add_co_u32 v3, vcc_lo, v3, v7
	v_add_co_ci_u32_e32 v6, vcc_lo, v6, v8, vcc_lo
	s_delay_alu instid0(VALU_DEP_2) | instskip(SKIP_1) | instid1(VALU_DEP_3)
	v_mul_hi_u32 v7, s0, v3
	v_mul_lo_u32 v9, s16, v3
	v_mul_lo_u32 v8, s0, v6
	s_delay_alu instid0(VALU_DEP_1) | instskip(SKIP_1) | instid1(VALU_DEP_2)
	v_add_nc_u32_e32 v7, v7, v8
	v_mul_lo_u32 v8, s0, v3
	v_add_nc_u32_e32 v7, v7, v9
	s_delay_alu instid0(VALU_DEP_2) | instskip(NEXT) | instid1(VALU_DEP_2)
	v_mul_hi_u32 v9, v3, v8
	v_mul_lo_u32 v10, v3, v7
	v_mul_hi_u32 v11, v3, v7
	v_mul_hi_u32 v13, v6, v8
	v_mul_lo_u32 v8, v6, v8
	v_mul_hi_u32 v14, v6, v7
	v_mul_lo_u32 v7, v6, v7
	v_add_co_u32 v9, vcc_lo, v9, v10
	v_add_co_ci_u32_e32 v10, vcc_lo, 0, v11, vcc_lo
	s_delay_alu instid0(VALU_DEP_2) | instskip(NEXT) | instid1(VALU_DEP_2)
	v_add_co_u32 v8, vcc_lo, v9, v8
	v_add_co_ci_u32_e32 v8, vcc_lo, v10, v13, vcc_lo
	v_add_co_ci_u32_e32 v9, vcc_lo, 0, v14, vcc_lo
	v_add_co_u32 v10, vcc_lo, v4, v12
	v_add_co_ci_u32_e32 v5, vcc_lo, v5, v12, vcc_lo
	s_delay_alu instid0(VALU_DEP_4) | instskip(NEXT) | instid1(VALU_DEP_4)
	v_add_co_u32 v7, vcc_lo, v8, v7
	v_add_co_ci_u32_e32 v8, vcc_lo, 0, v9, vcc_lo
	s_delay_alu instid0(VALU_DEP_4) | instskip(NEXT) | instid1(VALU_DEP_3)
	v_xor_b32_e32 v11, v10, v12
	v_add_co_u32 v3, vcc_lo, v3, v7
	s_delay_alu instid0(VALU_DEP_3) | instskip(SKIP_1) | instid1(VALU_DEP_3)
	v_add_co_ci_u32_e32 v13, vcc_lo, v6, v8, vcc_lo
	v_xor_b32_e32 v14, v5, v12
	v_mul_hi_u32 v15, v11, v3
	s_delay_alu instid0(VALU_DEP_3) | instskip(NEXT) | instid1(VALU_DEP_3)
	v_mad_u64_u32 v[5:6], null, v11, v13, 0
	v_mad_u64_u32 v[7:8], null, v14, v3, 0
	;; [unrolled: 1-line block ×3, first 2 shown]
	s_delay_alu instid0(VALU_DEP_3) | instskip(NEXT) | instid1(VALU_DEP_4)
	v_add_co_u32 v3, vcc_lo, v15, v5
	v_add_co_ci_u32_e32 v5, vcc_lo, 0, v6, vcc_lo
	s_delay_alu instid0(VALU_DEP_2) | instskip(NEXT) | instid1(VALU_DEP_2)
	v_add_co_u32 v3, vcc_lo, v3, v7
	v_add_co_ci_u32_e32 v3, vcc_lo, v5, v8, vcc_lo
	v_add_co_ci_u32_e32 v5, vcc_lo, 0, v10, vcc_lo
	s_delay_alu instid0(VALU_DEP_2) | instskip(NEXT) | instid1(VALU_DEP_2)
	v_add_co_u32 v3, vcc_lo, v3, v9
	v_add_co_ci_u32_e32 v7, vcc_lo, 0, v5, vcc_lo
	s_delay_alu instid0(VALU_DEP_2) | instskip(SKIP_1) | instid1(VALU_DEP_3)
	v_mul_lo_u32 v8, s25, v3
	v_mad_u64_u32 v[5:6], null, s24, v3, 0
	v_mul_lo_u32 v9, s24, v7
	s_delay_alu instid0(VALU_DEP_2) | instskip(NEXT) | instid1(VALU_DEP_2)
	v_sub_co_u32 v5, vcc_lo, v11, v5
	v_add3_u32 v6, v6, v9, v8
	s_delay_alu instid0(VALU_DEP_1) | instskip(NEXT) | instid1(VALU_DEP_1)
	v_sub_nc_u32_e32 v8, v14, v6
	v_subrev_co_ci_u32_e64 v8, s0, s25, v8, vcc_lo
	v_add_co_u32 v9, s0, v3, 2
	s_delay_alu instid0(VALU_DEP_1) | instskip(SKIP_3) | instid1(VALU_DEP_3)
	v_add_co_ci_u32_e64 v10, s0, 0, v7, s0
	v_sub_co_u32 v11, s0, v5, s24
	v_sub_co_ci_u32_e32 v6, vcc_lo, v14, v6, vcc_lo
	v_subrev_co_ci_u32_e64 v8, s0, 0, v8, s0
	v_cmp_le_u32_e32 vcc_lo, s24, v11
	s_delay_alu instid0(VALU_DEP_3) | instskip(SKIP_1) | instid1(VALU_DEP_4)
	v_cmp_eq_u32_e64 s0, s25, v6
	v_cndmask_b32_e64 v11, 0, -1, vcc_lo
	v_cmp_le_u32_e32 vcc_lo, s25, v8
	v_cndmask_b32_e64 v13, 0, -1, vcc_lo
	v_cmp_le_u32_e32 vcc_lo, s24, v5
	;; [unrolled: 2-line block ×3, first 2 shown]
	v_cndmask_b32_e64 v14, 0, -1, vcc_lo
	v_cmp_eq_u32_e32 vcc_lo, s25, v8
	s_delay_alu instid0(VALU_DEP_2) | instskip(SKIP_3) | instid1(VALU_DEP_3)
	v_cndmask_b32_e64 v5, v14, v5, s0
	v_cndmask_b32_e32 v8, v13, v11, vcc_lo
	v_add_co_u32 v11, vcc_lo, v3, 1
	v_add_co_ci_u32_e32 v13, vcc_lo, 0, v7, vcc_lo
	v_cmp_ne_u32_e32 vcc_lo, 0, v8
	s_delay_alu instid0(VALU_DEP_3) | instskip(NEXT) | instid1(VALU_DEP_3)
	v_cndmask_b32_e32 v8, v11, v9, vcc_lo
	v_cndmask_b32_e32 v6, v13, v10, vcc_lo
	v_cmp_ne_u32_e32 vcc_lo, 0, v5
	v_xor_b32_e32 v5, s22, v12
	s_delay_alu instid0(VALU_DEP_4) | instskip(NEXT) | instid1(VALU_DEP_4)
	v_cndmask_b32_e32 v3, v3, v8, vcc_lo
	v_cndmask_b32_e32 v6, v7, v6, vcc_lo
	v_xor_b32_e32 v7, s23, v12
	s_delay_alu instid0(VALU_DEP_3) | instskip(NEXT) | instid1(VALU_DEP_2)
	v_xor_b32_e32 v3, v3, v5
	v_xor_b32_e32 v6, v6, v7
	s_delay_alu instid0(VALU_DEP_2) | instskip(NEXT) | instid1(VALU_DEP_2)
	v_sub_co_u32 v8, vcc_lo, v3, v5
	v_sub_co_ci_u32_e32 v9, vcc_lo, v6, v7, vcc_lo
.LBB45_9:                               ;   in Loop: Header=BB45_3 Depth=1
	s_and_not1_saveexec_b32 s0, s13
	s_cbranch_execz .LBB45_11
; %bb.10:                               ;   in Loop: Header=BB45_3 Depth=1
	v_cvt_f32_u32_e32 v3, s8
	s_sub_i32 s13, 0, s8
	v_mov_b32_e32 v9, v2
	s_delay_alu instid0(VALU_DEP_2) | instskip(SKIP_2) | instid1(VALU_DEP_1)
	v_rcp_iflag_f32_e32 v3, v3
	s_waitcnt_depctr 0xfff
	v_mul_f32_e32 v3, 0x4f7ffffe, v3
	v_cvt_u32_f32_e32 v3, v3
	s_delay_alu instid0(VALU_DEP_1) | instskip(NEXT) | instid1(VALU_DEP_1)
	v_mul_lo_u32 v5, s13, v3
	v_mul_hi_u32 v5, v3, v5
	s_delay_alu instid0(VALU_DEP_1) | instskip(NEXT) | instid1(VALU_DEP_1)
	v_add_nc_u32_e32 v3, v3, v5
	v_mul_hi_u32 v3, v4, v3
	s_delay_alu instid0(VALU_DEP_1) | instskip(SKIP_1) | instid1(VALU_DEP_2)
	v_mul_lo_u32 v5, v3, s8
	v_add_nc_u32_e32 v6, 1, v3
	v_sub_nc_u32_e32 v5, v4, v5
	s_delay_alu instid0(VALU_DEP_1) | instskip(SKIP_1) | instid1(VALU_DEP_4)
	v_cmp_le_u32_e32 vcc_lo, s8, v5
	v_subrev_nc_u32_e32 v7, s8, v5
	v_cndmask_b32_e32 v3, v3, v6, vcc_lo
	s_delay_alu instid0(VALU_DEP_1) | instskip(NEXT) | instid1(VALU_DEP_3)
	v_add_nc_u32_e32 v6, 1, v3
	v_cndmask_b32_e32 v5, v5, v7, vcc_lo
	s_delay_alu instid0(VALU_DEP_1) | instskip(NEXT) | instid1(VALU_DEP_3)
	v_cmp_le_u32_e32 vcc_lo, s8, v5
	v_cndmask_b32_e32 v8, v3, v6, vcc_lo
.LBB45_11:                              ;   in Loop: Header=BB45_3 Depth=1
	s_or_b32 exec_lo, exec_lo, s0
	v_mad_u64_u32 v[5:6], null, v4, s30, 0
	s_delay_alu instid0(VALU_DEP_2) | instskip(SKIP_1) | instid1(VALU_DEP_2)
	v_mad_u64_u32 v[6:7], null, v8, s8, 0
	s_and_not1_b32 vcc_lo, exec_lo, s1
	v_sub_co_u32 v19, null, v0, v5
	s_delay_alu instid0(VALU_DEP_2) | instskip(NEXT) | instid1(VALU_DEP_2)
	v_sub_co_u32 v20, null, v4, v6
	v_mul_lo_u32 v3, s18, v19
	v_mul_lo_u32 v10, s20, v19
	s_delay_alu instid0(VALU_DEP_2) | instskip(NEXT) | instid1(VALU_DEP_2)
	v_mad_u64_u32 v[6:7], null, s10, v20, v[3:4]
	v_mad_u64_u32 v[4:5], null, s12, v20, v[10:11]
	s_cbranch_vccnz .LBB45_40
; %bb.12:                               ;   in Loop: Header=BB45_3 Depth=1
	s_and_not1_b32 vcc_lo, exec_lo, s41
	s_mov_b32 s13, 1
	s_cbranch_vccnz .LBB45_20
; %bb.13:                               ;   in Loop: Header=BB45_3 Depth=1
	v_dual_mov_b32 v11, v9 :: v_dual_mov_b32 v10, v8
	s_mov_b32 s16, s38
.LBB45_14:                              ;   Parent Loop BB45_3 Depth=1
                                        ; =>  This Inner Loop Header: Depth=2
	s_delay_alu instid0(SALU_CYCLE_1)
	s_lshl_b64 s[24:25], s[16:17], 2
                                        ; implicit-def: $vgpr8_vgpr9
	s_mov_b32 s26, exec_lo
	s_add_u32 s22, s31, s24
	s_addc_u32 s23, s33, s25
	s_load_b32 s43, s[22:23], 0x8
	s_waitcnt lgkmcnt(0)
	s_ashr_i32 s0, s43, 31
	s_delay_alu instid0(SALU_CYCLE_1) | instskip(NEXT) | instid1(VALU_DEP_1)
	v_or_b32_e32 v3, s0, v11
	v_cmpx_ne_u64_e32 0, v[2:3]
	s_xor_b32 s44, exec_lo, s26
	s_cbranch_execz .LBB45_16
; %bb.15:                               ;   in Loop: Header=BB45_14 Depth=2
	s_add_u32 s28, s43, s0
	s_mov_b32 s26, s0
	s_mov_b32 s27, s0
	s_addc_u32 s29, s0, s0
	s_delay_alu instid0(SALU_CYCLE_1) | instskip(NEXT) | instid1(SALU_CYCLE_1)
	s_xor_b64 s[28:29], s[28:29], s[26:27]
	v_cvt_f32_u32_e32 v3, s28
	v_cvt_f32_u32_e32 v5, s29
	s_sub_u32 s0, 0, s28
	s_subb_u32 s45, 0, s29
	s_delay_alu instid0(VALU_DEP_1) | instskip(NEXT) | instid1(VALU_DEP_1)
	v_fmac_f32_e32 v3, 0x4f800000, v5
	v_rcp_f32_e32 v3, v3
	s_waitcnt_depctr 0xfff
	v_mul_f32_e32 v3, 0x5f7ffffc, v3
	s_delay_alu instid0(VALU_DEP_1) | instskip(NEXT) | instid1(VALU_DEP_1)
	v_mul_f32_e32 v5, 0x2f800000, v3
	v_trunc_f32_e32 v5, v5
	s_delay_alu instid0(VALU_DEP_1) | instskip(SKIP_1) | instid1(VALU_DEP_2)
	v_fmac_f32_e32 v3, 0xcf800000, v5
	v_cvt_u32_f32_e32 v5, v5
	v_cvt_u32_f32_e32 v3, v3
	s_delay_alu instid0(VALU_DEP_2) | instskip(NEXT) | instid1(VALU_DEP_2)
	v_mul_lo_u32 v7, s0, v5
	v_mul_hi_u32 v8, s0, v3
	v_mul_lo_u32 v9, s45, v3
	s_delay_alu instid0(VALU_DEP_2) | instskip(SKIP_1) | instid1(VALU_DEP_2)
	v_add_nc_u32_e32 v7, v8, v7
	v_mul_lo_u32 v8, s0, v3
	v_add_nc_u32_e32 v7, v7, v9
	s_delay_alu instid0(VALU_DEP_2) | instskip(NEXT) | instid1(VALU_DEP_2)
	v_mul_hi_u32 v9, v3, v8
	v_mul_lo_u32 v12, v3, v7
	v_mul_hi_u32 v13, v3, v7
	v_mul_hi_u32 v14, v5, v8
	v_mul_lo_u32 v8, v5, v8
	v_mul_hi_u32 v15, v5, v7
	v_mul_lo_u32 v7, v5, v7
	v_add_co_u32 v9, vcc_lo, v9, v12
	v_add_co_ci_u32_e32 v12, vcc_lo, 0, v13, vcc_lo
	s_delay_alu instid0(VALU_DEP_2) | instskip(NEXT) | instid1(VALU_DEP_2)
	v_add_co_u32 v8, vcc_lo, v9, v8
	v_add_co_ci_u32_e32 v8, vcc_lo, v12, v14, vcc_lo
	v_add_co_ci_u32_e32 v9, vcc_lo, 0, v15, vcc_lo
	v_ashrrev_i32_e32 v15, 31, v11
	s_delay_alu instid0(VALU_DEP_3) | instskip(NEXT) | instid1(VALU_DEP_3)
	v_add_co_u32 v7, vcc_lo, v8, v7
	v_add_co_ci_u32_e32 v8, vcc_lo, 0, v9, vcc_lo
	s_delay_alu instid0(VALU_DEP_2) | instskip(NEXT) | instid1(VALU_DEP_2)
	v_add_co_u32 v3, vcc_lo, v3, v7
	v_add_co_ci_u32_e32 v5, vcc_lo, v5, v8, vcc_lo
	s_delay_alu instid0(VALU_DEP_2) | instskip(SKIP_1) | instid1(VALU_DEP_3)
	v_mul_hi_u32 v7, s0, v3
	v_mul_lo_u32 v9, s45, v3
	v_mul_lo_u32 v8, s0, v5
	s_delay_alu instid0(VALU_DEP_1) | instskip(SKIP_1) | instid1(VALU_DEP_2)
	v_add_nc_u32_e32 v7, v7, v8
	v_mul_lo_u32 v8, s0, v3
	v_add_nc_u32_e32 v7, v7, v9
	s_delay_alu instid0(VALU_DEP_2) | instskip(NEXT) | instid1(VALU_DEP_2)
	v_mul_hi_u32 v9, v3, v8
	v_mul_lo_u32 v12, v3, v7
	v_mul_hi_u32 v13, v3, v7
	v_mul_hi_u32 v14, v5, v8
	v_mul_lo_u32 v8, v5, v8
	v_mul_hi_u32 v16, v5, v7
	v_mul_lo_u32 v7, v5, v7
	v_add_co_u32 v9, vcc_lo, v9, v12
	v_add_co_ci_u32_e32 v12, vcc_lo, 0, v13, vcc_lo
	s_delay_alu instid0(VALU_DEP_2) | instskip(NEXT) | instid1(VALU_DEP_2)
	v_add_co_u32 v8, vcc_lo, v9, v8
	v_add_co_ci_u32_e32 v8, vcc_lo, v12, v14, vcc_lo
	v_add_co_ci_u32_e32 v9, vcc_lo, 0, v16, vcc_lo
	v_add_co_u32 v12, vcc_lo, v10, v15
	v_add_co_ci_u32_e32 v11, vcc_lo, v11, v15, vcc_lo
	s_delay_alu instid0(VALU_DEP_4) | instskip(NEXT) | instid1(VALU_DEP_4)
	v_add_co_u32 v7, vcc_lo, v8, v7
	v_add_co_ci_u32_e32 v8, vcc_lo, 0, v9, vcc_lo
	s_delay_alu instid0(VALU_DEP_4) | instskip(NEXT) | instid1(VALU_DEP_3)
	v_xor_b32_e32 v9, v12, v15
	v_add_co_u32 v3, vcc_lo, v3, v7
	s_delay_alu instid0(VALU_DEP_3) | instskip(SKIP_1) | instid1(VALU_DEP_3)
	v_add_co_ci_u32_e32 v5, vcc_lo, v5, v8, vcc_lo
	v_xor_b32_e32 v16, v11, v15
	v_mul_hi_u32 v17, v9, v3
	s_delay_alu instid0(VALU_DEP_3) | instskip(NEXT) | instid1(VALU_DEP_3)
	v_mad_u64_u32 v[7:8], null, v9, v5, 0
	v_mad_u64_u32 v[11:12], null, v16, v3, 0
	;; [unrolled: 1-line block ×3, first 2 shown]
	s_delay_alu instid0(VALU_DEP_3) | instskip(NEXT) | instid1(VALU_DEP_4)
	v_add_co_u32 v3, vcc_lo, v17, v7
	v_add_co_ci_u32_e32 v5, vcc_lo, 0, v8, vcc_lo
	s_delay_alu instid0(VALU_DEP_2) | instskip(NEXT) | instid1(VALU_DEP_2)
	v_add_co_u32 v3, vcc_lo, v3, v11
	v_add_co_ci_u32_e32 v3, vcc_lo, v5, v12, vcc_lo
	v_add_co_ci_u32_e32 v5, vcc_lo, 0, v14, vcc_lo
	s_delay_alu instid0(VALU_DEP_2) | instskip(NEXT) | instid1(VALU_DEP_2)
	v_add_co_u32 v3, vcc_lo, v3, v13
	v_add_co_ci_u32_e32 v5, vcc_lo, 0, v5, vcc_lo
	s_delay_alu instid0(VALU_DEP_2) | instskip(SKIP_1) | instid1(VALU_DEP_3)
	v_mul_lo_u32 v11, s29, v3
	v_mad_u64_u32 v[7:8], null, s28, v3, 0
	v_mul_lo_u32 v12, s28, v5
	s_delay_alu instid0(VALU_DEP_2) | instskip(NEXT) | instid1(VALU_DEP_2)
	v_sub_co_u32 v7, vcc_lo, v9, v7
	v_add3_u32 v8, v8, v12, v11
	s_delay_alu instid0(VALU_DEP_1) | instskip(NEXT) | instid1(VALU_DEP_1)
	v_sub_nc_u32_e32 v11, v16, v8
	v_subrev_co_ci_u32_e64 v9, s0, s29, v11, vcc_lo
	v_add_co_u32 v11, s0, v3, 2
	s_delay_alu instid0(VALU_DEP_1) | instskip(SKIP_3) | instid1(VALU_DEP_3)
	v_add_co_ci_u32_e64 v12, s0, 0, v5, s0
	v_sub_co_u32 v13, s0, v7, s28
	v_sub_co_ci_u32_e32 v8, vcc_lo, v16, v8, vcc_lo
	v_subrev_co_ci_u32_e64 v9, s0, 0, v9, s0
	v_cmp_le_u32_e32 vcc_lo, s28, v13
	s_delay_alu instid0(VALU_DEP_3) | instskip(SKIP_1) | instid1(VALU_DEP_4)
	v_cmp_eq_u32_e64 s0, s29, v8
	v_cndmask_b32_e64 v13, 0, -1, vcc_lo
	v_cmp_le_u32_e32 vcc_lo, s29, v9
	v_cndmask_b32_e64 v14, 0, -1, vcc_lo
	v_cmp_le_u32_e32 vcc_lo, s28, v7
	;; [unrolled: 2-line block ×3, first 2 shown]
	v_cndmask_b32_e64 v16, 0, -1, vcc_lo
	v_cmp_eq_u32_e32 vcc_lo, s29, v9
	s_delay_alu instid0(VALU_DEP_2) | instskip(SKIP_3) | instid1(VALU_DEP_3)
	v_cndmask_b32_e64 v7, v16, v7, s0
	v_cndmask_b32_e32 v9, v14, v13, vcc_lo
	v_add_co_u32 v13, vcc_lo, v3, 1
	v_add_co_ci_u32_e32 v14, vcc_lo, 0, v5, vcc_lo
	v_cmp_ne_u32_e32 vcc_lo, 0, v9
	s_delay_alu instid0(VALU_DEP_2) | instskip(SKIP_2) | instid1(VALU_DEP_3)
	v_dual_cndmask_b32 v8, v14, v12 :: v_dual_cndmask_b32 v9, v13, v11
	v_cmp_ne_u32_e32 vcc_lo, 0, v7
	v_xor_b32_e32 v7, s26, v15
	v_cndmask_b32_e32 v3, v3, v9, vcc_lo
	s_delay_alu instid0(VALU_DEP_4) | instskip(SKIP_1) | instid1(VALU_DEP_3)
	v_cndmask_b32_e32 v5, v5, v8, vcc_lo
	v_xor_b32_e32 v9, s27, v15
	v_xor_b32_e32 v3, v3, v7
	s_delay_alu instid0(VALU_DEP_2) | instskip(NEXT) | instid1(VALU_DEP_2)
	v_xor_b32_e32 v5, v5, v9
	v_sub_co_u32 v8, vcc_lo, v3, v7
	s_delay_alu instid0(VALU_DEP_2)
	v_sub_co_ci_u32_e32 v9, vcc_lo, v5, v9, vcc_lo
.LBB45_16:                              ;   in Loop: Header=BB45_14 Depth=2
	s_and_not1_saveexec_b32 s0, s44
	s_cbranch_execz .LBB45_18
; %bb.17:                               ;   in Loop: Header=BB45_14 Depth=2
	v_cvt_f32_u32_e32 v3, s43
	s_sub_i32 s26, 0, s43
	v_mov_b32_e32 v9, v2
	s_delay_alu instid0(VALU_DEP_2) | instskip(SKIP_2) | instid1(VALU_DEP_1)
	v_rcp_iflag_f32_e32 v3, v3
	s_waitcnt_depctr 0xfff
	v_mul_f32_e32 v3, 0x4f7ffffe, v3
	v_cvt_u32_f32_e32 v3, v3
	s_delay_alu instid0(VALU_DEP_1) | instskip(NEXT) | instid1(VALU_DEP_1)
	v_mul_lo_u32 v5, s26, v3
	v_mul_hi_u32 v5, v3, v5
	s_delay_alu instid0(VALU_DEP_1) | instskip(NEXT) | instid1(VALU_DEP_1)
	v_add_nc_u32_e32 v3, v3, v5
	v_mul_hi_u32 v3, v10, v3
	s_delay_alu instid0(VALU_DEP_1) | instskip(SKIP_1) | instid1(VALU_DEP_2)
	v_mul_lo_u32 v5, v3, s43
	v_add_nc_u32_e32 v7, 1, v3
	v_sub_nc_u32_e32 v5, v10, v5
	s_delay_alu instid0(VALU_DEP_1) | instskip(SKIP_1) | instid1(VALU_DEP_4)
	v_cmp_le_u32_e32 vcc_lo, s43, v5
	v_subrev_nc_u32_e32 v8, s43, v5
	v_cndmask_b32_e32 v3, v3, v7, vcc_lo
	s_delay_alu instid0(VALU_DEP_1) | instskip(NEXT) | instid1(VALU_DEP_3)
	v_add_nc_u32_e32 v7, 1, v3
	v_cndmask_b32_e32 v5, v5, v8, vcc_lo
	s_delay_alu instid0(VALU_DEP_1) | instskip(NEXT) | instid1(VALU_DEP_3)
	v_cmp_le_u32_e32 vcc_lo, s43, v5
	v_cndmask_b32_e32 v8, v3, v7, vcc_lo
.LBB45_18:                              ;   in Loop: Header=BB45_14 Depth=2
	s_or_b32 exec_lo, exec_lo, s0
	s_add_u32 s24, s36, s24
	s_addc_u32 s25, s37, s25
	s_clause 0x1
	s_load_b32 s0, s[22:23], 0x6c
	s_load_b32 s22, s[24:25], 0x0
	v_mul_lo_u32 v3, v8, s43
	s_add_i32 s16, s16, -1
	s_delay_alu instid0(VALU_DEP_1) | instskip(SKIP_1) | instid1(VALU_DEP_1)
	v_sub_nc_u32_e32 v3, v10, v3
	s_waitcnt lgkmcnt(0)
	v_mad_u64_u32 v[10:11], null, s0, v3, v[6:7]
	v_mad_u64_u32 v[5:6], null, s22, v3, v[4:5]
	s_xor_b32 s0, s39, s13
	s_add_i32 s13, s13, 1
	s_cmp_lg_u32 s0, 2
	s_delay_alu instid0(VALU_DEP_2) | instskip(NEXT) | instid1(VALU_DEP_2)
	v_mov_b32_e32 v6, v10
	v_mov_b32_e32 v4, v5
	s_cbranch_scc0 .LBB45_21
; %bb.19:                               ;   in Loop: Header=BB45_14 Depth=2
	v_dual_mov_b32 v11, v9 :: v_dual_mov_b32 v10, v8
	s_branch .LBB45_14
.LBB45_20:                              ;   in Loop: Header=BB45_3 Depth=1
	s_mov_b32 s16, s38
.LBB45_21:                              ;   in Loop: Header=BB45_3 Depth=1
	s_and_b32 vcc_lo, exec_lo, s42
	s_cbranch_vccz .LBB45_40
.LBB45_22:                              ;   Parent Loop BB45_3 Depth=1
                                        ; =>  This Inner Loop Header: Depth=2
	s_lshl_b64 s[22:23], s[16:17], 2
                                        ; implicit-def: $vgpr10_vgpr11
	s_mov_b32 s26, exec_lo
	s_add_u32 s24, s31, s22
	s_addc_u32 s25, s33, s23
	s_load_b32 s13, s[24:25], 0x8
	s_waitcnt lgkmcnt(0)
	s_ashr_i32 s0, s13, 31
	s_delay_alu instid0(SALU_CYCLE_1) | instskip(NEXT) | instid1(VALU_DEP_1)
	v_or_b32_e32 v3, s0, v9
	v_cmpx_ne_u64_e32 0, v[2:3]
	s_xor_b32 s43, exec_lo, s26
	s_cbranch_execz .LBB45_24
; %bb.23:                               ;   in Loop: Header=BB45_22 Depth=2
	s_add_u32 s28, s13, s0
	s_mov_b32 s26, s0
	s_mov_b32 s27, s0
	s_addc_u32 s29, s0, s0
	s_delay_alu instid0(SALU_CYCLE_1) | instskip(NEXT) | instid1(SALU_CYCLE_1)
	s_xor_b64 s[28:29], s[28:29], s[26:27]
	v_cvt_f32_u32_e32 v3, s28
	v_cvt_f32_u32_e32 v5, s29
	s_sub_u32 s0, 0, s28
	s_subb_u32 s44, 0, s29
	s_delay_alu instid0(VALU_DEP_1) | instskip(NEXT) | instid1(VALU_DEP_1)
	v_fmac_f32_e32 v3, 0x4f800000, v5
	v_rcp_f32_e32 v3, v3
	s_waitcnt_depctr 0xfff
	v_mul_f32_e32 v3, 0x5f7ffffc, v3
	s_delay_alu instid0(VALU_DEP_1) | instskip(NEXT) | instid1(VALU_DEP_1)
	v_mul_f32_e32 v5, 0x2f800000, v3
	v_trunc_f32_e32 v5, v5
	s_delay_alu instid0(VALU_DEP_1) | instskip(SKIP_1) | instid1(VALU_DEP_2)
	v_fmac_f32_e32 v3, 0xcf800000, v5
	v_cvt_u32_f32_e32 v5, v5
	v_cvt_u32_f32_e32 v3, v3
	s_delay_alu instid0(VALU_DEP_2) | instskip(NEXT) | instid1(VALU_DEP_2)
	v_mul_lo_u32 v7, s0, v5
	v_mul_hi_u32 v10, s0, v3
	v_mul_lo_u32 v11, s44, v3
	s_delay_alu instid0(VALU_DEP_2) | instskip(SKIP_1) | instid1(VALU_DEP_2)
	v_add_nc_u32_e32 v7, v10, v7
	v_mul_lo_u32 v10, s0, v3
	v_add_nc_u32_e32 v7, v7, v11
	s_delay_alu instid0(VALU_DEP_2) | instskip(NEXT) | instid1(VALU_DEP_2)
	v_mul_hi_u32 v11, v3, v10
	v_mul_lo_u32 v12, v3, v7
	v_mul_hi_u32 v13, v3, v7
	v_mul_hi_u32 v14, v5, v10
	v_mul_lo_u32 v10, v5, v10
	v_mul_hi_u32 v15, v5, v7
	v_mul_lo_u32 v7, v5, v7
	v_add_co_u32 v11, vcc_lo, v11, v12
	v_add_co_ci_u32_e32 v12, vcc_lo, 0, v13, vcc_lo
	s_delay_alu instid0(VALU_DEP_2) | instskip(NEXT) | instid1(VALU_DEP_2)
	v_add_co_u32 v10, vcc_lo, v11, v10
	v_add_co_ci_u32_e32 v10, vcc_lo, v12, v14, vcc_lo
	v_add_co_ci_u32_e32 v11, vcc_lo, 0, v15, vcc_lo
	v_ashrrev_i32_e32 v15, 31, v9
	s_delay_alu instid0(VALU_DEP_3) | instskip(NEXT) | instid1(VALU_DEP_3)
	v_add_co_u32 v7, vcc_lo, v10, v7
	v_add_co_ci_u32_e32 v10, vcc_lo, 0, v11, vcc_lo
	s_delay_alu instid0(VALU_DEP_2) | instskip(NEXT) | instid1(VALU_DEP_2)
	v_add_co_u32 v3, vcc_lo, v3, v7
	v_add_co_ci_u32_e32 v5, vcc_lo, v5, v10, vcc_lo
	s_delay_alu instid0(VALU_DEP_2) | instskip(SKIP_1) | instid1(VALU_DEP_3)
	v_mul_hi_u32 v7, s0, v3
	v_mul_lo_u32 v11, s44, v3
	v_mul_lo_u32 v10, s0, v5
	s_delay_alu instid0(VALU_DEP_1) | instskip(SKIP_1) | instid1(VALU_DEP_2)
	v_add_nc_u32_e32 v7, v7, v10
	v_mul_lo_u32 v10, s0, v3
	v_add_nc_u32_e32 v7, v7, v11
	s_delay_alu instid0(VALU_DEP_2) | instskip(NEXT) | instid1(VALU_DEP_2)
	v_mul_hi_u32 v11, v3, v10
	v_mul_lo_u32 v12, v3, v7
	v_mul_hi_u32 v13, v3, v7
	v_mul_hi_u32 v14, v5, v10
	v_mul_lo_u32 v10, v5, v10
	v_mul_hi_u32 v16, v5, v7
	v_mul_lo_u32 v7, v5, v7
	v_add_co_u32 v11, vcc_lo, v11, v12
	v_add_co_ci_u32_e32 v12, vcc_lo, 0, v13, vcc_lo
	s_delay_alu instid0(VALU_DEP_2) | instskip(NEXT) | instid1(VALU_DEP_2)
	v_add_co_u32 v10, vcc_lo, v11, v10
	v_add_co_ci_u32_e32 v10, vcc_lo, v12, v14, vcc_lo
	v_add_co_ci_u32_e32 v11, vcc_lo, 0, v16, vcc_lo
	v_add_co_u32 v12, vcc_lo, v8, v15
	v_add_co_ci_u32_e32 v9, vcc_lo, v9, v15, vcc_lo
	s_delay_alu instid0(VALU_DEP_4) | instskip(NEXT) | instid1(VALU_DEP_4)
	v_add_co_u32 v7, vcc_lo, v10, v7
	v_add_co_ci_u32_e32 v10, vcc_lo, 0, v11, vcc_lo
	s_delay_alu instid0(VALU_DEP_4) | instskip(NEXT) | instid1(VALU_DEP_3)
	v_xor_b32_e32 v16, v12, v15
	v_add_co_u32 v3, vcc_lo, v3, v7
	s_delay_alu instid0(VALU_DEP_3) | instskip(SKIP_1) | instid1(VALU_DEP_3)
	v_add_co_ci_u32_e32 v5, vcc_lo, v5, v10, vcc_lo
	v_xor_b32_e32 v7, v9, v15
	v_mul_hi_u32 v17, v16, v3
	s_delay_alu instid0(VALU_DEP_3) | instskip(NEXT) | instid1(VALU_DEP_3)
	v_mad_u64_u32 v[9:10], null, v16, v5, 0
	v_mad_u64_u32 v[11:12], null, v7, v3, 0
	;; [unrolled: 1-line block ×3, first 2 shown]
	s_delay_alu instid0(VALU_DEP_3) | instskip(NEXT) | instid1(VALU_DEP_4)
	v_add_co_u32 v3, vcc_lo, v17, v9
	v_add_co_ci_u32_e32 v5, vcc_lo, 0, v10, vcc_lo
	s_delay_alu instid0(VALU_DEP_2) | instskip(NEXT) | instid1(VALU_DEP_2)
	v_add_co_u32 v3, vcc_lo, v3, v11
	v_add_co_ci_u32_e32 v3, vcc_lo, v5, v12, vcc_lo
	v_add_co_ci_u32_e32 v5, vcc_lo, 0, v14, vcc_lo
	s_delay_alu instid0(VALU_DEP_2) | instskip(NEXT) | instid1(VALU_DEP_2)
	v_add_co_u32 v3, vcc_lo, v3, v13
	v_add_co_ci_u32_e32 v5, vcc_lo, 0, v5, vcc_lo
	s_delay_alu instid0(VALU_DEP_2) | instskip(SKIP_1) | instid1(VALU_DEP_3)
	v_mul_lo_u32 v11, s29, v3
	v_mad_u64_u32 v[9:10], null, s28, v3, 0
	v_mul_lo_u32 v12, s28, v5
	s_delay_alu instid0(VALU_DEP_2) | instskip(NEXT) | instid1(VALU_DEP_2)
	v_sub_co_u32 v9, vcc_lo, v16, v9
	v_add3_u32 v10, v10, v12, v11
	s_delay_alu instid0(VALU_DEP_1) | instskip(NEXT) | instid1(VALU_DEP_1)
	v_sub_nc_u32_e32 v11, v7, v10
	v_subrev_co_ci_u32_e64 v11, s0, s29, v11, vcc_lo
	v_add_co_u32 v12, s0, v3, 2
	s_delay_alu instid0(VALU_DEP_1) | instskip(SKIP_3) | instid1(VALU_DEP_3)
	v_add_co_ci_u32_e64 v13, s0, 0, v5, s0
	v_sub_co_u32 v14, s0, v9, s28
	v_sub_co_ci_u32_e32 v7, vcc_lo, v7, v10, vcc_lo
	v_subrev_co_ci_u32_e64 v11, s0, 0, v11, s0
	v_cmp_le_u32_e32 vcc_lo, s28, v14
	s_delay_alu instid0(VALU_DEP_3) | instskip(SKIP_1) | instid1(VALU_DEP_4)
	v_cmp_eq_u32_e64 s0, s29, v7
	v_cndmask_b32_e64 v10, 0, -1, vcc_lo
	v_cmp_le_u32_e32 vcc_lo, s29, v11
	v_cndmask_b32_e64 v14, 0, -1, vcc_lo
	v_cmp_le_u32_e32 vcc_lo, s28, v9
	;; [unrolled: 2-line block ×3, first 2 shown]
	v_cndmask_b32_e64 v16, 0, -1, vcc_lo
	v_cmp_eq_u32_e32 vcc_lo, s29, v11
	s_delay_alu instid0(VALU_DEP_2) | instskip(SKIP_3) | instid1(VALU_DEP_3)
	v_cndmask_b32_e64 v7, v16, v9, s0
	v_cndmask_b32_e32 v10, v14, v10, vcc_lo
	v_add_co_u32 v11, vcc_lo, v3, 1
	v_add_co_ci_u32_e32 v14, vcc_lo, 0, v5, vcc_lo
	v_cmp_ne_u32_e32 vcc_lo, 0, v10
	s_delay_alu instid0(VALU_DEP_2) | instskip(SKIP_2) | instid1(VALU_DEP_3)
	v_dual_cndmask_b32 v10, v11, v12 :: v_dual_cndmask_b32 v9, v14, v13
	v_cmp_ne_u32_e32 vcc_lo, 0, v7
	v_xor_b32_e32 v7, s26, v15
	v_cndmask_b32_e32 v3, v3, v10, vcc_lo
	s_delay_alu instid0(VALU_DEP_4) | instskip(SKIP_1) | instid1(VALU_DEP_3)
	v_cndmask_b32_e32 v5, v5, v9, vcc_lo
	v_xor_b32_e32 v9, s27, v15
	v_xor_b32_e32 v3, v3, v7
	s_delay_alu instid0(VALU_DEP_2) | instskip(NEXT) | instid1(VALU_DEP_2)
	v_xor_b32_e32 v5, v5, v9
	v_sub_co_u32 v10, vcc_lo, v3, v7
	s_delay_alu instid0(VALU_DEP_2)
	v_sub_co_ci_u32_e32 v11, vcc_lo, v5, v9, vcc_lo
.LBB45_24:                              ;   in Loop: Header=BB45_22 Depth=2
	s_and_not1_saveexec_b32 s0, s43
	s_cbranch_execz .LBB45_26
; %bb.25:                               ;   in Loop: Header=BB45_22 Depth=2
	v_cvt_f32_u32_e32 v3, s13
	s_sub_i32 s26, 0, s13
	v_mov_b32_e32 v11, v2
	s_delay_alu instid0(VALU_DEP_2) | instskip(SKIP_2) | instid1(VALU_DEP_1)
	v_rcp_iflag_f32_e32 v3, v3
	s_waitcnt_depctr 0xfff
	v_mul_f32_e32 v3, 0x4f7ffffe, v3
	v_cvt_u32_f32_e32 v3, v3
	s_delay_alu instid0(VALU_DEP_1) | instskip(NEXT) | instid1(VALU_DEP_1)
	v_mul_lo_u32 v5, s26, v3
	v_mul_hi_u32 v5, v3, v5
	s_delay_alu instid0(VALU_DEP_1) | instskip(NEXT) | instid1(VALU_DEP_1)
	v_add_nc_u32_e32 v3, v3, v5
	v_mul_hi_u32 v3, v8, v3
	s_delay_alu instid0(VALU_DEP_1) | instskip(SKIP_1) | instid1(VALU_DEP_2)
	v_mul_lo_u32 v5, v3, s13
	v_add_nc_u32_e32 v7, 1, v3
	v_sub_nc_u32_e32 v5, v8, v5
	s_delay_alu instid0(VALU_DEP_1) | instskip(SKIP_1) | instid1(VALU_DEP_4)
	v_cmp_le_u32_e32 vcc_lo, s13, v5
	v_subrev_nc_u32_e32 v9, s13, v5
	v_cndmask_b32_e32 v3, v3, v7, vcc_lo
	s_delay_alu instid0(VALU_DEP_1) | instskip(NEXT) | instid1(VALU_DEP_3)
	v_add_nc_u32_e32 v7, 1, v3
	v_cndmask_b32_e32 v5, v5, v9, vcc_lo
	s_delay_alu instid0(VALU_DEP_1) | instskip(NEXT) | instid1(VALU_DEP_3)
	v_cmp_le_u32_e32 vcc_lo, s13, v5
	v_cndmask_b32_e32 v10, v3, v7, vcc_lo
.LBB45_26:                              ;   in Loop: Header=BB45_22 Depth=2
	s_or_b32 exec_lo, exec_lo, s0
	s_add_u32 s28, s36, s22
	s_addc_u32 s29, s37, s23
	s_add_i32 s22, s16, -1
	s_mov_b32 s23, s17
                                        ; implicit-def: $vgpr12_vgpr13
	s_delay_alu instid0(SALU_CYCLE_1) | instskip(NEXT) | instid1(SALU_CYCLE_1)
	s_lshl_b64 s[26:27], s[22:23], 2
	s_add_u32 s22, s31, s26
	s_addc_u32 s23, s33, s27
	s_clause 0x2
	s_load_b32 s45, s[22:23], 0x8
	s_load_b32 s43, s[24:25], 0x6c
	s_load_b32 s44, s[28:29], 0x0
	s_mov_b32 s24, exec_lo
	s_waitcnt lgkmcnt(0)
	s_ashr_i32 s0, s45, 31
	s_delay_alu instid0(SALU_CYCLE_1) | instskip(NEXT) | instid1(VALU_DEP_1)
	v_or_b32_e32 v3, s0, v11
	v_cmpx_ne_u64_e32 0, v[2:3]
	s_xor_b32 s46, exec_lo, s24
	s_cbranch_execz .LBB45_28
; %bb.27:                               ;   in Loop: Header=BB45_22 Depth=2
	s_add_u32 s28, s45, s0
	s_mov_b32 s24, s0
	s_mov_b32 s25, s0
	s_addc_u32 s29, s0, s0
	v_ashrrev_i32_e32 v17, 31, v11
	s_xor_b64 s[28:29], s[28:29], s[24:25]
	s_delay_alu instid0(SALU_CYCLE_1) | instskip(SKIP_3) | instid1(VALU_DEP_1)
	v_cvt_f32_u32_e32 v3, s28
	v_cvt_f32_u32_e32 v5, s29
	s_sub_u32 s0, 0, s28
	s_subb_u32 s47, 0, s29
	v_fmac_f32_e32 v3, 0x4f800000, v5
	s_delay_alu instid0(VALU_DEP_1) | instskip(SKIP_2) | instid1(VALU_DEP_1)
	v_rcp_f32_e32 v3, v3
	s_waitcnt_depctr 0xfff
	v_mul_f32_e32 v3, 0x5f7ffffc, v3
	v_mul_f32_e32 v5, 0x2f800000, v3
	s_delay_alu instid0(VALU_DEP_1) | instskip(NEXT) | instid1(VALU_DEP_1)
	v_trunc_f32_e32 v5, v5
	v_fmac_f32_e32 v3, 0xcf800000, v5
	v_cvt_u32_f32_e32 v5, v5
	s_delay_alu instid0(VALU_DEP_2) | instskip(NEXT) | instid1(VALU_DEP_2)
	v_cvt_u32_f32_e32 v3, v3
	v_mul_lo_u32 v7, s0, v5
	s_delay_alu instid0(VALU_DEP_2) | instskip(SKIP_1) | instid1(VALU_DEP_2)
	v_mul_hi_u32 v9, s0, v3
	v_mul_lo_u32 v12, s47, v3
	v_add_nc_u32_e32 v7, v9, v7
	v_mul_lo_u32 v9, s0, v3
	s_delay_alu instid0(VALU_DEP_2) | instskip(NEXT) | instid1(VALU_DEP_2)
	v_add_nc_u32_e32 v7, v7, v12
	v_mul_hi_u32 v12, v3, v9
	s_delay_alu instid0(VALU_DEP_2)
	v_mul_lo_u32 v13, v3, v7
	v_mul_hi_u32 v14, v3, v7
	v_mul_hi_u32 v15, v5, v9
	v_mul_lo_u32 v9, v5, v9
	v_mul_hi_u32 v16, v5, v7
	v_mul_lo_u32 v7, v5, v7
	v_add_co_u32 v12, vcc_lo, v12, v13
	v_add_co_ci_u32_e32 v13, vcc_lo, 0, v14, vcc_lo
	s_delay_alu instid0(VALU_DEP_2) | instskip(NEXT) | instid1(VALU_DEP_2)
	v_add_co_u32 v9, vcc_lo, v12, v9
	v_add_co_ci_u32_e32 v9, vcc_lo, v13, v15, vcc_lo
	v_add_co_ci_u32_e32 v12, vcc_lo, 0, v16, vcc_lo
	s_delay_alu instid0(VALU_DEP_2) | instskip(NEXT) | instid1(VALU_DEP_2)
	v_add_co_u32 v7, vcc_lo, v9, v7
	v_add_co_ci_u32_e32 v9, vcc_lo, 0, v12, vcc_lo
	s_delay_alu instid0(VALU_DEP_2) | instskip(NEXT) | instid1(VALU_DEP_2)
	v_add_co_u32 v3, vcc_lo, v3, v7
	v_add_co_ci_u32_e32 v5, vcc_lo, v5, v9, vcc_lo
	s_delay_alu instid0(VALU_DEP_2) | instskip(SKIP_1) | instid1(VALU_DEP_3)
	v_mul_hi_u32 v7, s0, v3
	v_mul_lo_u32 v12, s47, v3
	v_mul_lo_u32 v9, s0, v5
	s_delay_alu instid0(VALU_DEP_1) | instskip(SKIP_1) | instid1(VALU_DEP_2)
	v_add_nc_u32_e32 v7, v7, v9
	v_mul_lo_u32 v9, s0, v3
	v_add_nc_u32_e32 v7, v7, v12
	s_delay_alu instid0(VALU_DEP_2) | instskip(NEXT) | instid1(VALU_DEP_2)
	v_mul_hi_u32 v12, v3, v9
	v_mul_lo_u32 v13, v3, v7
	v_mul_hi_u32 v14, v3, v7
	v_mul_hi_u32 v15, v5, v9
	v_mul_lo_u32 v9, v5, v9
	v_mul_hi_u32 v16, v5, v7
	v_mul_lo_u32 v7, v5, v7
	v_add_co_u32 v12, vcc_lo, v12, v13
	v_add_co_ci_u32_e32 v13, vcc_lo, 0, v14, vcc_lo
	s_delay_alu instid0(VALU_DEP_2) | instskip(NEXT) | instid1(VALU_DEP_2)
	v_add_co_u32 v9, vcc_lo, v12, v9
	v_add_co_ci_u32_e32 v9, vcc_lo, v13, v15, vcc_lo
	v_add_co_ci_u32_e32 v12, vcc_lo, 0, v16, vcc_lo
	v_add_co_u32 v13, vcc_lo, v10, v17
	v_add_co_ci_u32_e32 v11, vcc_lo, v11, v17, vcc_lo
	s_delay_alu instid0(VALU_DEP_4) | instskip(NEXT) | instid1(VALU_DEP_4)
	v_add_co_u32 v7, vcc_lo, v9, v7
	v_add_co_ci_u32_e32 v9, vcc_lo, 0, v12, vcc_lo
	s_delay_alu instid0(VALU_DEP_4) | instskip(NEXT) | instid1(VALU_DEP_3)
	v_xor_b32_e32 v21, v13, v17
	v_add_co_u32 v3, vcc_lo, v3, v7
	s_delay_alu instid0(VALU_DEP_3) | instskip(SKIP_1) | instid1(VALU_DEP_3)
	v_add_co_ci_u32_e32 v5, vcc_lo, v5, v9, vcc_lo
	v_xor_b32_e32 v7, v11, v17
	v_mul_hi_u32 v9, v21, v3
	s_delay_alu instid0(VALU_DEP_3) | instskip(NEXT) | instid1(VALU_DEP_3)
	v_mad_u64_u32 v[11:12], null, v21, v5, 0
	v_mad_u64_u32 v[13:14], null, v7, v3, 0
	;; [unrolled: 1-line block ×3, first 2 shown]
	s_delay_alu instid0(VALU_DEP_3) | instskip(NEXT) | instid1(VALU_DEP_4)
	v_add_co_u32 v3, vcc_lo, v9, v11
	v_add_co_ci_u32_e32 v5, vcc_lo, 0, v12, vcc_lo
	s_delay_alu instid0(VALU_DEP_2) | instskip(NEXT) | instid1(VALU_DEP_2)
	v_add_co_u32 v3, vcc_lo, v3, v13
	v_add_co_ci_u32_e32 v3, vcc_lo, v5, v14, vcc_lo
	v_add_co_ci_u32_e32 v5, vcc_lo, 0, v16, vcc_lo
	s_delay_alu instid0(VALU_DEP_2) | instskip(NEXT) | instid1(VALU_DEP_2)
	v_add_co_u32 v3, vcc_lo, v3, v15
	v_add_co_ci_u32_e32 v5, vcc_lo, 0, v5, vcc_lo
	s_delay_alu instid0(VALU_DEP_2) | instskip(SKIP_1) | instid1(VALU_DEP_3)
	v_mul_lo_u32 v9, s29, v3
	v_mad_u64_u32 v[11:12], null, s28, v3, 0
	v_mul_lo_u32 v13, s28, v5
	s_delay_alu instid0(VALU_DEP_2) | instskip(NEXT) | instid1(VALU_DEP_2)
	v_sub_co_u32 v11, vcc_lo, v21, v11
	v_add3_u32 v9, v12, v13, v9
	s_delay_alu instid0(VALU_DEP_1) | instskip(NEXT) | instid1(VALU_DEP_1)
	v_sub_nc_u32_e32 v12, v7, v9
	v_subrev_co_ci_u32_e64 v12, s0, s29, v12, vcc_lo
	v_add_co_u32 v13, s0, v3, 2
	s_delay_alu instid0(VALU_DEP_1) | instskip(SKIP_3) | instid1(VALU_DEP_3)
	v_add_co_ci_u32_e64 v14, s0, 0, v5, s0
	v_sub_co_u32 v15, s0, v11, s28
	v_sub_co_ci_u32_e32 v7, vcc_lo, v7, v9, vcc_lo
	v_subrev_co_ci_u32_e64 v12, s0, 0, v12, s0
	v_cmp_le_u32_e32 vcc_lo, s28, v15
	s_delay_alu instid0(VALU_DEP_3) | instskip(SKIP_1) | instid1(VALU_DEP_4)
	v_cmp_eq_u32_e64 s0, s29, v7
	v_cndmask_b32_e64 v9, 0, -1, vcc_lo
	v_cmp_le_u32_e32 vcc_lo, s29, v12
	v_cndmask_b32_e64 v15, 0, -1, vcc_lo
	v_cmp_le_u32_e32 vcc_lo, s28, v11
	;; [unrolled: 2-line block ×3, first 2 shown]
	v_cndmask_b32_e64 v16, 0, -1, vcc_lo
	v_cmp_eq_u32_e32 vcc_lo, s29, v12
	s_delay_alu instid0(VALU_DEP_2) | instskip(SKIP_3) | instid1(VALU_DEP_3)
	v_cndmask_b32_e64 v7, v16, v11, s0
	v_cndmask_b32_e32 v9, v15, v9, vcc_lo
	v_add_co_u32 v12, vcc_lo, v3, 1
	v_add_co_ci_u32_e32 v15, vcc_lo, 0, v5, vcc_lo
	v_cmp_ne_u32_e32 vcc_lo, 0, v9
	s_delay_alu instid0(VALU_DEP_2) | instskip(NEXT) | instid1(VALU_DEP_4)
	v_cndmask_b32_e32 v9, v15, v14, vcc_lo
	v_cndmask_b32_e32 v11, v12, v13, vcc_lo
	v_cmp_ne_u32_e32 vcc_lo, 0, v7
	v_xor_b32_e32 v7, s24, v17
	s_delay_alu instid0(VALU_DEP_3) | instskip(SKIP_2) | instid1(VALU_DEP_3)
	v_cndmask_b32_e32 v3, v3, v11, vcc_lo
	v_cndmask_b32_e32 v5, v5, v9, vcc_lo
	v_xor_b32_e32 v9, s25, v17
	v_xor_b32_e32 v3, v3, v7
	s_delay_alu instid0(VALU_DEP_2) | instskip(NEXT) | instid1(VALU_DEP_2)
	v_xor_b32_e32 v5, v5, v9
	v_sub_co_u32 v12, vcc_lo, v3, v7
	s_delay_alu instid0(VALU_DEP_2)
	v_sub_co_ci_u32_e32 v13, vcc_lo, v5, v9, vcc_lo
.LBB45_28:                              ;   in Loop: Header=BB45_22 Depth=2
	s_and_not1_saveexec_b32 s0, s46
	s_cbranch_execz .LBB45_30
; %bb.29:                               ;   in Loop: Header=BB45_22 Depth=2
	v_cvt_f32_u32_e32 v3, s45
	s_sub_i32 s24, 0, s45
	v_mov_b32_e32 v13, v2
	s_delay_alu instid0(VALU_DEP_2) | instskip(SKIP_2) | instid1(VALU_DEP_1)
	v_rcp_iflag_f32_e32 v3, v3
	s_waitcnt_depctr 0xfff
	v_mul_f32_e32 v3, 0x4f7ffffe, v3
	v_cvt_u32_f32_e32 v3, v3
	s_delay_alu instid0(VALU_DEP_1) | instskip(NEXT) | instid1(VALU_DEP_1)
	v_mul_lo_u32 v5, s24, v3
	v_mul_hi_u32 v5, v3, v5
	s_delay_alu instid0(VALU_DEP_1) | instskip(NEXT) | instid1(VALU_DEP_1)
	v_add_nc_u32_e32 v3, v3, v5
	v_mul_hi_u32 v3, v10, v3
	s_delay_alu instid0(VALU_DEP_1) | instskip(SKIP_1) | instid1(VALU_DEP_2)
	v_mul_lo_u32 v5, v3, s45
	v_add_nc_u32_e32 v7, 1, v3
	v_sub_nc_u32_e32 v5, v10, v5
	s_delay_alu instid0(VALU_DEP_1) | instskip(SKIP_1) | instid1(VALU_DEP_4)
	v_cmp_le_u32_e32 vcc_lo, s45, v5
	v_subrev_nc_u32_e32 v9, s45, v5
	v_cndmask_b32_e32 v3, v3, v7, vcc_lo
	s_delay_alu instid0(VALU_DEP_1) | instskip(NEXT) | instid1(VALU_DEP_3)
	v_add_nc_u32_e32 v7, 1, v3
	v_cndmask_b32_e32 v5, v5, v9, vcc_lo
	s_delay_alu instid0(VALU_DEP_1) | instskip(NEXT) | instid1(VALU_DEP_3)
	v_cmp_le_u32_e32 vcc_lo, s45, v5
	v_cndmask_b32_e32 v12, v3, v7, vcc_lo
.LBB45_30:                              ;   in Loop: Header=BB45_22 Depth=2
	s_or_b32 exec_lo, exec_lo, s0
	s_add_u32 s28, s36, s26
	s_addc_u32 s29, s37, s27
	s_add_i32 s24, s16, -2
	s_mov_b32 s25, s17
                                        ; implicit-def: $vgpr14_vgpr15
	s_delay_alu instid0(SALU_CYCLE_1) | instskip(NEXT) | instid1(SALU_CYCLE_1)
	s_lshl_b64 s[24:25], s[24:25], 2
	s_add_u32 s26, s31, s24
	s_addc_u32 s27, s33, s25
	s_clause 0x2
	s_load_b32 s48, s[26:27], 0x8
	s_load_b32 s46, s[22:23], 0x6c
	;; [unrolled: 1-line block ×3, first 2 shown]
	s_mov_b32 s22, exec_lo
	s_waitcnt lgkmcnt(0)
	s_ashr_i32 s0, s48, 31
	s_delay_alu instid0(SALU_CYCLE_1) | instskip(NEXT) | instid1(VALU_DEP_1)
	v_or_b32_e32 v3, s0, v13
	v_cmpx_ne_u64_e32 0, v[2:3]
	s_xor_b32 s49, exec_lo, s22
	s_cbranch_execz .LBB45_32
; %bb.31:                               ;   in Loop: Header=BB45_22 Depth=2
	s_add_u32 s28, s48, s0
	s_mov_b32 s22, s0
	s_mov_b32 s23, s0
	s_addc_u32 s29, s0, s0
	s_delay_alu instid0(SALU_CYCLE_1) | instskip(NEXT) | instid1(SALU_CYCLE_1)
	s_xor_b64 s[28:29], s[28:29], s[22:23]
	v_cvt_f32_u32_e32 v3, s28
	v_cvt_f32_u32_e32 v5, s29
	s_sub_u32 s0, 0, s28
	s_subb_u32 s50, 0, s29
	s_delay_alu instid0(VALU_DEP_1) | instskip(NEXT) | instid1(VALU_DEP_1)
	v_fmac_f32_e32 v3, 0x4f800000, v5
	v_rcp_f32_e32 v3, v3
	s_waitcnt_depctr 0xfff
	v_mul_f32_e32 v3, 0x5f7ffffc, v3
	s_delay_alu instid0(VALU_DEP_1) | instskip(NEXT) | instid1(VALU_DEP_1)
	v_mul_f32_e32 v5, 0x2f800000, v3
	v_trunc_f32_e32 v5, v5
	s_delay_alu instid0(VALU_DEP_1) | instskip(SKIP_1) | instid1(VALU_DEP_2)
	v_fmac_f32_e32 v3, 0xcf800000, v5
	v_cvt_u32_f32_e32 v5, v5
	v_cvt_u32_f32_e32 v3, v3
	s_delay_alu instid0(VALU_DEP_2) | instskip(NEXT) | instid1(VALU_DEP_2)
	v_mul_lo_u32 v7, s0, v5
	v_mul_hi_u32 v9, s0, v3
	v_mul_lo_u32 v11, s50, v3
	s_delay_alu instid0(VALU_DEP_2) | instskip(SKIP_1) | instid1(VALU_DEP_2)
	v_add_nc_u32_e32 v7, v9, v7
	v_mul_lo_u32 v9, s0, v3
	v_add_nc_u32_e32 v7, v7, v11
	s_delay_alu instid0(VALU_DEP_2) | instskip(NEXT) | instid1(VALU_DEP_2)
	v_mul_hi_u32 v11, v3, v9
	v_mul_lo_u32 v14, v3, v7
	v_mul_hi_u32 v15, v3, v7
	v_mul_hi_u32 v16, v5, v9
	v_mul_lo_u32 v9, v5, v9
	v_mul_hi_u32 v17, v5, v7
	v_mul_lo_u32 v7, v5, v7
	v_add_co_u32 v11, vcc_lo, v11, v14
	v_add_co_ci_u32_e32 v14, vcc_lo, 0, v15, vcc_lo
	s_delay_alu instid0(VALU_DEP_2) | instskip(NEXT) | instid1(VALU_DEP_2)
	v_add_co_u32 v9, vcc_lo, v11, v9
	v_add_co_ci_u32_e32 v9, vcc_lo, v14, v16, vcc_lo
	v_add_co_ci_u32_e32 v11, vcc_lo, 0, v17, vcc_lo
	v_ashrrev_i32_e32 v17, 31, v13
	s_delay_alu instid0(VALU_DEP_3) | instskip(NEXT) | instid1(VALU_DEP_3)
	v_add_co_u32 v7, vcc_lo, v9, v7
	v_add_co_ci_u32_e32 v9, vcc_lo, 0, v11, vcc_lo
	s_delay_alu instid0(VALU_DEP_2) | instskip(NEXT) | instid1(VALU_DEP_2)
	v_add_co_u32 v3, vcc_lo, v3, v7
	v_add_co_ci_u32_e32 v5, vcc_lo, v5, v9, vcc_lo
	s_delay_alu instid0(VALU_DEP_2) | instskip(SKIP_1) | instid1(VALU_DEP_3)
	v_mul_hi_u32 v7, s0, v3
	v_mul_lo_u32 v11, s50, v3
	v_mul_lo_u32 v9, s0, v5
	s_delay_alu instid0(VALU_DEP_1) | instskip(SKIP_1) | instid1(VALU_DEP_2)
	v_add_nc_u32_e32 v7, v7, v9
	v_mul_lo_u32 v9, s0, v3
	v_add_nc_u32_e32 v7, v7, v11
	s_delay_alu instid0(VALU_DEP_2) | instskip(NEXT) | instid1(VALU_DEP_2)
	v_mul_hi_u32 v11, v3, v9
	v_mul_lo_u32 v14, v3, v7
	v_mul_hi_u32 v15, v3, v7
	v_mul_hi_u32 v16, v5, v9
	v_mul_lo_u32 v9, v5, v9
	v_mul_hi_u32 v21, v5, v7
	v_mul_lo_u32 v7, v5, v7
	v_add_co_u32 v11, vcc_lo, v11, v14
	v_add_co_ci_u32_e32 v14, vcc_lo, 0, v15, vcc_lo
	s_delay_alu instid0(VALU_DEP_2) | instskip(NEXT) | instid1(VALU_DEP_2)
	v_add_co_u32 v9, vcc_lo, v11, v9
	v_add_co_ci_u32_e32 v9, vcc_lo, v14, v16, vcc_lo
	v_add_co_ci_u32_e32 v11, vcc_lo, 0, v21, vcc_lo
	v_add_co_u32 v14, vcc_lo, v12, v17
	v_add_co_ci_u32_e32 v13, vcc_lo, v13, v17, vcc_lo
	s_delay_alu instid0(VALU_DEP_4) | instskip(NEXT) | instid1(VALU_DEP_4)
	v_add_co_u32 v7, vcc_lo, v9, v7
	v_add_co_ci_u32_e32 v9, vcc_lo, 0, v11, vcc_lo
	s_delay_alu instid0(VALU_DEP_4) | instskip(NEXT) | instid1(VALU_DEP_3)
	v_xor_b32_e32 v11, v14, v17
	v_add_co_u32 v3, vcc_lo, v3, v7
	s_delay_alu instid0(VALU_DEP_3) | instskip(SKIP_1) | instid1(VALU_DEP_3)
	v_add_co_ci_u32_e32 v5, vcc_lo, v5, v9, vcc_lo
	v_xor_b32_e32 v7, v13, v17
	v_mul_hi_u32 v9, v11, v3
	s_delay_alu instid0(VALU_DEP_3) | instskip(NEXT) | instid1(VALU_DEP_3)
	v_mad_u64_u32 v[13:14], null, v11, v5, 0
	v_mad_u64_u32 v[15:16], null, v7, v3, 0
	;; [unrolled: 1-line block ×3, first 2 shown]
	s_delay_alu instid0(VALU_DEP_3) | instskip(NEXT) | instid1(VALU_DEP_4)
	v_add_co_u32 v3, vcc_lo, v9, v13
	v_add_co_ci_u32_e32 v5, vcc_lo, 0, v14, vcc_lo
	s_delay_alu instid0(VALU_DEP_2) | instskip(NEXT) | instid1(VALU_DEP_2)
	v_add_co_u32 v3, vcc_lo, v3, v15
	v_add_co_ci_u32_e32 v3, vcc_lo, v5, v16, vcc_lo
	v_add_co_ci_u32_e32 v5, vcc_lo, 0, v22, vcc_lo
	s_delay_alu instid0(VALU_DEP_2) | instskip(NEXT) | instid1(VALU_DEP_2)
	v_add_co_u32 v3, vcc_lo, v3, v21
	v_add_co_ci_u32_e32 v5, vcc_lo, 0, v5, vcc_lo
	s_delay_alu instid0(VALU_DEP_2) | instskip(SKIP_1) | instid1(VALU_DEP_3)
	v_mul_lo_u32 v9, s29, v3
	v_mad_u64_u32 v[13:14], null, s28, v3, 0
	v_mul_lo_u32 v15, s28, v5
	s_delay_alu instid0(VALU_DEP_2) | instskip(NEXT) | instid1(VALU_DEP_2)
	v_sub_co_u32 v11, vcc_lo, v11, v13
	v_add3_u32 v9, v14, v15, v9
	s_delay_alu instid0(VALU_DEP_1) | instskip(NEXT) | instid1(VALU_DEP_1)
	v_sub_nc_u32_e32 v14, v7, v9
	v_subrev_co_ci_u32_e64 v13, s0, s29, v14, vcc_lo
	v_add_co_u32 v14, s0, v3, 2
	s_delay_alu instid0(VALU_DEP_1) | instskip(SKIP_3) | instid1(VALU_DEP_3)
	v_add_co_ci_u32_e64 v15, s0, 0, v5, s0
	v_sub_co_u32 v16, s0, v11, s28
	v_sub_co_ci_u32_e32 v7, vcc_lo, v7, v9, vcc_lo
	v_subrev_co_ci_u32_e64 v13, s0, 0, v13, s0
	v_cmp_le_u32_e32 vcc_lo, s28, v16
	s_delay_alu instid0(VALU_DEP_3) | instskip(SKIP_1) | instid1(VALU_DEP_4)
	v_cmp_eq_u32_e64 s0, s29, v7
	v_cndmask_b32_e64 v9, 0, -1, vcc_lo
	v_cmp_le_u32_e32 vcc_lo, s29, v13
	v_cndmask_b32_e64 v16, 0, -1, vcc_lo
	v_cmp_le_u32_e32 vcc_lo, s28, v11
	;; [unrolled: 2-line block ×3, first 2 shown]
	v_cndmask_b32_e64 v21, 0, -1, vcc_lo
	v_cmp_eq_u32_e32 vcc_lo, s29, v13
	s_delay_alu instid0(VALU_DEP_2) | instskip(SKIP_3) | instid1(VALU_DEP_3)
	v_cndmask_b32_e64 v7, v21, v11, s0
	v_cndmask_b32_e32 v9, v16, v9, vcc_lo
	v_add_co_u32 v13, vcc_lo, v3, 1
	v_add_co_ci_u32_e32 v16, vcc_lo, 0, v5, vcc_lo
	v_cmp_ne_u32_e32 vcc_lo, 0, v9
	s_delay_alu instid0(VALU_DEP_2) | instskip(NEXT) | instid1(VALU_DEP_4)
	v_cndmask_b32_e32 v9, v16, v15, vcc_lo
	v_cndmask_b32_e32 v11, v13, v14, vcc_lo
	v_cmp_ne_u32_e32 vcc_lo, 0, v7
	v_xor_b32_e32 v7, s22, v17
	s_delay_alu instid0(VALU_DEP_3) | instskip(SKIP_2) | instid1(VALU_DEP_3)
	v_cndmask_b32_e32 v3, v3, v11, vcc_lo
	v_cndmask_b32_e32 v5, v5, v9, vcc_lo
	v_xor_b32_e32 v9, s23, v17
	v_xor_b32_e32 v3, v3, v7
	s_delay_alu instid0(VALU_DEP_2) | instskip(NEXT) | instid1(VALU_DEP_2)
	v_xor_b32_e32 v5, v5, v9
	v_sub_co_u32 v14, vcc_lo, v3, v7
	s_delay_alu instid0(VALU_DEP_2)
	v_sub_co_ci_u32_e32 v15, vcc_lo, v5, v9, vcc_lo
.LBB45_32:                              ;   in Loop: Header=BB45_22 Depth=2
	s_and_not1_saveexec_b32 s0, s49
	s_cbranch_execz .LBB45_34
; %bb.33:                               ;   in Loop: Header=BB45_22 Depth=2
	v_cvt_f32_u32_e32 v3, s48
	s_sub_i32 s22, 0, s48
	v_mov_b32_e32 v15, v2
	s_delay_alu instid0(VALU_DEP_2) | instskip(SKIP_2) | instid1(VALU_DEP_1)
	v_rcp_iflag_f32_e32 v3, v3
	s_waitcnt_depctr 0xfff
	v_mul_f32_e32 v3, 0x4f7ffffe, v3
	v_cvt_u32_f32_e32 v3, v3
	s_delay_alu instid0(VALU_DEP_1) | instskip(NEXT) | instid1(VALU_DEP_1)
	v_mul_lo_u32 v5, s22, v3
	v_mul_hi_u32 v5, v3, v5
	s_delay_alu instid0(VALU_DEP_1) | instskip(NEXT) | instid1(VALU_DEP_1)
	v_add_nc_u32_e32 v3, v3, v5
	v_mul_hi_u32 v3, v12, v3
	s_delay_alu instid0(VALU_DEP_1) | instskip(SKIP_1) | instid1(VALU_DEP_2)
	v_mul_lo_u32 v5, v3, s48
	v_add_nc_u32_e32 v7, 1, v3
	v_sub_nc_u32_e32 v5, v12, v5
	s_delay_alu instid0(VALU_DEP_1) | instskip(SKIP_1) | instid1(VALU_DEP_4)
	v_cmp_le_u32_e32 vcc_lo, s48, v5
	v_subrev_nc_u32_e32 v9, s48, v5
	v_cndmask_b32_e32 v3, v3, v7, vcc_lo
	s_delay_alu instid0(VALU_DEP_1) | instskip(NEXT) | instid1(VALU_DEP_3)
	v_add_nc_u32_e32 v7, 1, v3
	v_cndmask_b32_e32 v5, v5, v9, vcc_lo
	s_delay_alu instid0(VALU_DEP_1) | instskip(NEXT) | instid1(VALU_DEP_3)
	v_cmp_le_u32_e32 vcc_lo, s48, v5
	v_cndmask_b32_e32 v14, v3, v7, vcc_lo
.LBB45_34:                              ;   in Loop: Header=BB45_22 Depth=2
	s_or_b32 exec_lo, exec_lo, s0
	s_add_u32 s28, s36, s24
	s_addc_u32 s29, s37, s25
	s_add_i32 s22, s16, -3
	s_mov_b32 s23, s17
                                        ; implicit-def: $vgpr16_vgpr17
	s_delay_alu instid0(SALU_CYCLE_1) | instskip(NEXT) | instid1(SALU_CYCLE_1)
	s_lshl_b64 s[24:25], s[22:23], 2
	s_add_u32 s22, s31, s24
	s_addc_u32 s23, s33, s25
	s_clause 0x2
	s_load_b32 s51, s[22:23], 0x8
	s_load_b32 s49, s[26:27], 0x6c
	;; [unrolled: 1-line block ×3, first 2 shown]
	s_mov_b32 s26, exec_lo
	s_waitcnt lgkmcnt(0)
	s_ashr_i32 s0, s51, 31
	s_delay_alu instid0(SALU_CYCLE_1) | instskip(NEXT) | instid1(VALU_DEP_1)
	v_or_b32_e32 v3, s0, v15
	v_cmpx_ne_u64_e32 0, v[2:3]
	s_xor_b32 s52, exec_lo, s26
	s_cbranch_execz .LBB45_36
; %bb.35:                               ;   in Loop: Header=BB45_22 Depth=2
	s_add_u32 s28, s51, s0
	s_mov_b32 s26, s0
	s_mov_b32 s27, s0
	s_addc_u32 s29, s0, s0
	s_delay_alu instid0(SALU_CYCLE_1) | instskip(NEXT) | instid1(SALU_CYCLE_1)
	s_xor_b64 s[28:29], s[28:29], s[26:27]
	v_cvt_f32_u32_e32 v3, s28
	v_cvt_f32_u32_e32 v5, s29
	s_sub_u32 s0, 0, s28
	s_subb_u32 s53, 0, s29
	s_delay_alu instid0(VALU_DEP_1) | instskip(NEXT) | instid1(VALU_DEP_1)
	v_fmac_f32_e32 v3, 0x4f800000, v5
	v_rcp_f32_e32 v3, v3
	s_waitcnt_depctr 0xfff
	v_mul_f32_e32 v3, 0x5f7ffffc, v3
	s_delay_alu instid0(VALU_DEP_1) | instskip(NEXT) | instid1(VALU_DEP_1)
	v_mul_f32_e32 v5, 0x2f800000, v3
	v_trunc_f32_e32 v5, v5
	s_delay_alu instid0(VALU_DEP_1) | instskip(SKIP_1) | instid1(VALU_DEP_2)
	v_fmac_f32_e32 v3, 0xcf800000, v5
	v_cvt_u32_f32_e32 v5, v5
	v_cvt_u32_f32_e32 v3, v3
	s_delay_alu instid0(VALU_DEP_2) | instskip(NEXT) | instid1(VALU_DEP_2)
	v_mul_lo_u32 v7, s0, v5
	v_mul_hi_u32 v9, s0, v3
	v_mul_lo_u32 v11, s53, v3
	s_delay_alu instid0(VALU_DEP_2) | instskip(SKIP_1) | instid1(VALU_DEP_2)
	v_add_nc_u32_e32 v7, v9, v7
	v_mul_lo_u32 v9, s0, v3
	v_add_nc_u32_e32 v7, v7, v11
	s_delay_alu instid0(VALU_DEP_2) | instskip(NEXT) | instid1(VALU_DEP_2)
	v_mul_hi_u32 v11, v3, v9
	v_mul_lo_u32 v13, v3, v7
	v_mul_hi_u32 v16, v3, v7
	v_mul_hi_u32 v17, v5, v9
	v_mul_lo_u32 v9, v5, v9
	v_mul_hi_u32 v21, v5, v7
	v_mul_lo_u32 v7, v5, v7
	v_add_co_u32 v11, vcc_lo, v11, v13
	v_add_co_ci_u32_e32 v13, vcc_lo, 0, v16, vcc_lo
	s_delay_alu instid0(VALU_DEP_2) | instskip(NEXT) | instid1(VALU_DEP_2)
	v_add_co_u32 v9, vcc_lo, v11, v9
	v_add_co_ci_u32_e32 v9, vcc_lo, v13, v17, vcc_lo
	v_add_co_ci_u32_e32 v11, vcc_lo, 0, v21, vcc_lo
	v_ashrrev_i32_e32 v17, 31, v15
	s_delay_alu instid0(VALU_DEP_3) | instskip(NEXT) | instid1(VALU_DEP_3)
	v_add_co_u32 v7, vcc_lo, v9, v7
	v_add_co_ci_u32_e32 v9, vcc_lo, 0, v11, vcc_lo
	s_delay_alu instid0(VALU_DEP_2) | instskip(NEXT) | instid1(VALU_DEP_2)
	v_add_co_u32 v3, vcc_lo, v3, v7
	v_add_co_ci_u32_e32 v5, vcc_lo, v5, v9, vcc_lo
	s_delay_alu instid0(VALU_DEP_2) | instskip(SKIP_1) | instid1(VALU_DEP_3)
	v_mul_hi_u32 v7, s0, v3
	v_mul_lo_u32 v11, s53, v3
	v_mul_lo_u32 v9, s0, v5
	s_delay_alu instid0(VALU_DEP_1) | instskip(SKIP_1) | instid1(VALU_DEP_2)
	v_add_nc_u32_e32 v7, v7, v9
	v_mul_lo_u32 v9, s0, v3
	v_add_nc_u32_e32 v7, v7, v11
	s_delay_alu instid0(VALU_DEP_2) | instskip(NEXT) | instid1(VALU_DEP_2)
	v_mul_hi_u32 v11, v3, v9
	v_mul_lo_u32 v13, v3, v7
	v_mul_hi_u32 v16, v3, v7
	v_mul_hi_u32 v21, v5, v9
	v_mul_lo_u32 v9, v5, v9
	v_mul_hi_u32 v22, v5, v7
	v_mul_lo_u32 v7, v5, v7
	v_add_co_u32 v11, vcc_lo, v11, v13
	v_add_co_ci_u32_e32 v13, vcc_lo, 0, v16, vcc_lo
	s_delay_alu instid0(VALU_DEP_2) | instskip(NEXT) | instid1(VALU_DEP_2)
	v_add_co_u32 v9, vcc_lo, v11, v9
	v_add_co_ci_u32_e32 v9, vcc_lo, v13, v21, vcc_lo
	v_add_co_ci_u32_e32 v11, vcc_lo, 0, v22, vcc_lo
	v_add_co_u32 v13, vcc_lo, v14, v17
	v_add_co_ci_u32_e32 v15, vcc_lo, v15, v17, vcc_lo
	s_delay_alu instid0(VALU_DEP_4) | instskip(NEXT) | instid1(VALU_DEP_4)
	v_add_co_u32 v7, vcc_lo, v9, v7
	v_add_co_ci_u32_e32 v9, vcc_lo, 0, v11, vcc_lo
	s_delay_alu instid0(VALU_DEP_4) | instskip(NEXT) | instid1(VALU_DEP_3)
	v_xor_b32_e32 v11, v13, v17
	v_add_co_u32 v3, vcc_lo, v3, v7
	s_delay_alu instid0(VALU_DEP_3) | instskip(SKIP_1) | instid1(VALU_DEP_3)
	v_add_co_ci_u32_e32 v5, vcc_lo, v5, v9, vcc_lo
	v_xor_b32_e32 v7, v15, v17
	v_mul_hi_u32 v9, v11, v3
	s_delay_alu instid0(VALU_DEP_3) | instskip(NEXT) | instid1(VALU_DEP_3)
	v_mad_u64_u32 v[15:16], null, v11, v5, 0
	v_mad_u64_u32 v[21:22], null, v7, v3, 0
	;; [unrolled: 1-line block ×3, first 2 shown]
	s_delay_alu instid0(VALU_DEP_3) | instskip(NEXT) | instid1(VALU_DEP_4)
	v_add_co_u32 v3, vcc_lo, v9, v15
	v_add_co_ci_u32_e32 v5, vcc_lo, 0, v16, vcc_lo
	s_delay_alu instid0(VALU_DEP_2) | instskip(NEXT) | instid1(VALU_DEP_2)
	v_add_co_u32 v3, vcc_lo, v3, v21
	v_add_co_ci_u32_e32 v3, vcc_lo, v5, v22, vcc_lo
	v_add_co_ci_u32_e32 v5, vcc_lo, 0, v24, vcc_lo
	s_delay_alu instid0(VALU_DEP_2) | instskip(NEXT) | instid1(VALU_DEP_2)
	v_add_co_u32 v3, vcc_lo, v3, v23
	v_add_co_ci_u32_e32 v5, vcc_lo, 0, v5, vcc_lo
	s_delay_alu instid0(VALU_DEP_2) | instskip(SKIP_1) | instid1(VALU_DEP_3)
	v_mul_lo_u32 v9, s29, v3
	v_mad_u64_u32 v[15:16], null, s28, v3, 0
	v_mul_lo_u32 v13, s28, v5
	s_delay_alu instid0(VALU_DEP_2) | instskip(NEXT) | instid1(VALU_DEP_2)
	v_sub_co_u32 v11, vcc_lo, v11, v15
	v_add3_u32 v9, v16, v13, v9
	s_delay_alu instid0(VALU_DEP_1) | instskip(NEXT) | instid1(VALU_DEP_1)
	v_sub_nc_u32_e32 v13, v7, v9
	v_subrev_co_ci_u32_e64 v13, s0, s29, v13, vcc_lo
	v_add_co_u32 v15, s0, v3, 2
	s_delay_alu instid0(VALU_DEP_1) | instskip(SKIP_3) | instid1(VALU_DEP_3)
	v_add_co_ci_u32_e64 v16, s0, 0, v5, s0
	v_sub_co_u32 v21, s0, v11, s28
	v_sub_co_ci_u32_e32 v7, vcc_lo, v7, v9, vcc_lo
	v_subrev_co_ci_u32_e64 v13, s0, 0, v13, s0
	v_cmp_le_u32_e32 vcc_lo, s28, v21
	s_delay_alu instid0(VALU_DEP_3) | instskip(SKIP_1) | instid1(VALU_DEP_4)
	v_cmp_eq_u32_e64 s0, s29, v7
	v_cndmask_b32_e64 v9, 0, -1, vcc_lo
	v_cmp_le_u32_e32 vcc_lo, s29, v13
	v_cndmask_b32_e64 v21, 0, -1, vcc_lo
	v_cmp_le_u32_e32 vcc_lo, s28, v11
	;; [unrolled: 2-line block ×3, first 2 shown]
	v_cndmask_b32_e64 v22, 0, -1, vcc_lo
	v_cmp_eq_u32_e32 vcc_lo, s29, v13
	s_delay_alu instid0(VALU_DEP_2) | instskip(SKIP_3) | instid1(VALU_DEP_3)
	v_cndmask_b32_e64 v7, v22, v11, s0
	v_cndmask_b32_e32 v9, v21, v9, vcc_lo
	v_add_co_u32 v13, vcc_lo, v3, 1
	v_add_co_ci_u32_e32 v21, vcc_lo, 0, v5, vcc_lo
	v_cmp_ne_u32_e32 vcc_lo, 0, v9
	s_delay_alu instid0(VALU_DEP_2) | instskip(NEXT) | instid1(VALU_DEP_4)
	v_cndmask_b32_e32 v9, v21, v16, vcc_lo
	v_cndmask_b32_e32 v11, v13, v15, vcc_lo
	v_cmp_ne_u32_e32 vcc_lo, 0, v7
	v_xor_b32_e32 v7, s26, v17
	s_delay_alu instid0(VALU_DEP_3) | instskip(SKIP_2) | instid1(VALU_DEP_3)
	v_cndmask_b32_e32 v3, v3, v11, vcc_lo
	v_cndmask_b32_e32 v5, v5, v9, vcc_lo
	v_xor_b32_e32 v9, s27, v17
	v_xor_b32_e32 v3, v3, v7
	s_delay_alu instid0(VALU_DEP_2) | instskip(NEXT) | instid1(VALU_DEP_2)
	v_xor_b32_e32 v5, v5, v9
	v_sub_co_u32 v16, vcc_lo, v3, v7
	s_delay_alu instid0(VALU_DEP_2)
	v_sub_co_ci_u32_e32 v17, vcc_lo, v5, v9, vcc_lo
.LBB45_36:                              ;   in Loop: Header=BB45_22 Depth=2
	s_and_not1_saveexec_b32 s0, s52
	s_cbranch_execz .LBB45_38
; %bb.37:                               ;   in Loop: Header=BB45_22 Depth=2
	v_cvt_f32_u32_e32 v3, s51
	s_sub_i32 s26, 0, s51
	v_mov_b32_e32 v17, v2
	s_delay_alu instid0(VALU_DEP_2) | instskip(SKIP_2) | instid1(VALU_DEP_1)
	v_rcp_iflag_f32_e32 v3, v3
	s_waitcnt_depctr 0xfff
	v_mul_f32_e32 v3, 0x4f7ffffe, v3
	v_cvt_u32_f32_e32 v3, v3
	s_delay_alu instid0(VALU_DEP_1) | instskip(NEXT) | instid1(VALU_DEP_1)
	v_mul_lo_u32 v5, s26, v3
	v_mul_hi_u32 v5, v3, v5
	s_delay_alu instid0(VALU_DEP_1) | instskip(NEXT) | instid1(VALU_DEP_1)
	v_add_nc_u32_e32 v3, v3, v5
	v_mul_hi_u32 v3, v14, v3
	s_delay_alu instid0(VALU_DEP_1) | instskip(SKIP_1) | instid1(VALU_DEP_2)
	v_mul_lo_u32 v5, v3, s51
	v_add_nc_u32_e32 v7, 1, v3
	v_sub_nc_u32_e32 v5, v14, v5
	s_delay_alu instid0(VALU_DEP_1) | instskip(SKIP_1) | instid1(VALU_DEP_4)
	v_cmp_le_u32_e32 vcc_lo, s51, v5
	v_subrev_nc_u32_e32 v9, s51, v5
	v_cndmask_b32_e32 v3, v3, v7, vcc_lo
	s_delay_alu instid0(VALU_DEP_1) | instskip(NEXT) | instid1(VALU_DEP_3)
	v_add_nc_u32_e32 v7, 1, v3
	v_cndmask_b32_e32 v5, v5, v9, vcc_lo
	s_delay_alu instid0(VALU_DEP_1) | instskip(NEXT) | instid1(VALU_DEP_3)
	v_cmp_le_u32_e32 vcc_lo, s51, v5
	v_cndmask_b32_e32 v16, v3, v7, vcc_lo
.LBB45_38:                              ;   in Loop: Header=BB45_22 Depth=2
	s_or_b32 exec_lo, exec_lo, s0
	s_add_u32 s24, s36, s24
	s_addc_u32 s25, s37, s25
	v_mul_lo_u32 v3, v10, s13
	s_clause 0x1
	s_load_b32 s0, s[22:23], 0x6c
	s_load_b32 s13, s[24:25], 0x0
	v_mul_lo_u32 v5, v12, s45
	v_mul_lo_u32 v7, v14, s48
	;; [unrolled: 1-line block ×3, first 2 shown]
	s_add_i32 s16, s16, -4
	s_delay_alu instid0(SALU_CYCLE_1) | instskip(SKIP_1) | instid1(VALU_DEP_4)
	s_cmp_eq_u32 s16, -1
	v_sub_nc_u32_e32 v3, v8, v3
	v_sub_nc_u32_e32 v5, v10, v5
	s_delay_alu instid0(VALU_DEP_4) | instskip(NEXT) | instid1(VALU_DEP_4)
	v_sub_nc_u32_e32 v7, v12, v7
	v_sub_nc_u32_e32 v8, v14, v9
	s_delay_alu instid0(VALU_DEP_4)
	v_mul_lo_u32 v9, s43, v3
	v_mul_lo_u32 v3, s44, v3
	;; [unrolled: 1-line block ×6, first 2 shown]
	s_waitcnt lgkmcnt(0)
	v_mul_lo_u32 v12, s0, v8
	v_mul_lo_u32 v8, s13, v8
	v_add3_u32 v6, v9, v6, v10
	v_add3_u32 v3, v3, v4, v5
	s_delay_alu instid0(VALU_DEP_2) | instskip(NEXT) | instid1(VALU_DEP_2)
	v_add3_u32 v6, v11, v6, v12
	v_add3_u32 v4, v7, v3, v8
	s_cbranch_scc1 .LBB45_40
; %bb.39:                               ;   in Loop: Header=BB45_22 Depth=2
	v_dual_mov_b32 v8, v16 :: v_dual_mov_b32 v9, v17
	s_branch .LBB45_22
.LBB45_40:                              ;   in Loop: Header=BB45_3 Depth=1
	v_sub_nc_u32_e32 v8, v19, v20
	v_dual_mov_b32 v11, 0 :: v_dual_mov_b32 v10, 0
	v_mov_b32_e32 v3, 0
	v_mov_b32_e32 v7, 0
	s_delay_alu instid0(VALU_DEP_4) | instskip(SKIP_1) | instid1(VALU_DEP_1)
	v_ashrrev_i32_e32 v9, 31, v8
	s_mov_b32 s0, exec_lo
	v_cmpx_ge_i64_e64 s[4:5], v[8:9]
	s_cbranch_execz .LBB45_50
; %bb.41:                               ;   in Loop: Header=BB45_3 Depth=1
	v_dual_mov_b32 v13, 0 :: v_dual_mov_b32 v12, 0
	v_mov_b32_e32 v7, 0
	v_mov_b32_e32 v3, 0
	s_mov_b32 s13, exec_lo
	v_cmpx_gt_i32_e64 s9, v19
	s_cbranch_execz .LBB45_49
; %bb.42:                               ;   in Loop: Header=BB45_3 Depth=1
	v_ashrrev_i32_e32 v7, 31, v6
	v_dual_mov_b32 v12, 0 :: v_dual_add_nc_u32 v5, 1, v19
	v_mov_b32_e32 v13, 0
	s_mov_b32 s16, exec_lo
	s_delay_alu instid0(VALU_DEP_3) | instskip(SKIP_1) | instid1(VALU_DEP_2)
	v_lshlrev_b64 v[10:11], 1, v[6:7]
	v_mov_b32_e32 v7, 0
	v_add_co_u32 v10, vcc_lo, s2, v10
	s_delay_alu instid0(VALU_DEP_3)
	v_add_co_ci_u32_e32 v11, vcc_lo, s3, v11, vcc_lo
	global_load_u16 v3, v[10:11], off
	v_cmpx_gt_i32_e64 s9, v5
	s_xor_b32 s16, exec_lo, s16
	s_cbranch_execz .LBB45_48
; %bb.43:                               ;   in Loop: Header=BB45_3 Depth=1
	s_lshl_b64 s[22:23], s[18:19], 1
	v_dual_mov_b32 v12, 0 :: v_dual_add_nc_u32 v5, 2, v19
	v_add_co_u32 v10, vcc_lo, v10, s22
	v_add_co_ci_u32_e32 v11, vcc_lo, s23, v11, vcc_lo
	v_mov_b32_e32 v13, 0
	s_mov_b32 s22, exec_lo
	global_load_u16 v7, v[10:11], off
	v_cmpx_gt_i32_e64 s9, v5
	s_xor_b32 s22, exec_lo, s22
	s_cbranch_execz .LBB45_47
; %bb.44:                               ;   in Loop: Header=BB45_3 Depth=1
	v_add3_u32 v5, s18, s18, v6
	s_mov_b32 s23, exec_lo
	v_mov_b32_e32 v13, 0
	s_delay_alu instid0(VALU_DEP_2) | instskip(NEXT) | instid1(VALU_DEP_1)
	v_ashrrev_i32_e32 v6, 31, v5
	v_lshlrev_b64 v[10:11], 1, v[5:6]
	v_add_nc_u32_e32 v6, 3, v19
	s_delay_alu instid0(VALU_DEP_2) | instskip(NEXT) | instid1(VALU_DEP_3)
	v_add_co_u32 v10, vcc_lo, s2, v10
	v_add_co_ci_u32_e32 v11, vcc_lo, s3, v11, vcc_lo
	global_load_u16 v12, v[10:11], off
	v_cmpx_gt_i32_e64 s9, v6
	s_xor_b32 s23, exec_lo, s23
	s_cbranch_execz .LBB45_46
; %bb.45:                               ;   in Loop: Header=BB45_3 Depth=1
	v_add_nc_u32_e32 v5, s18, v5
	s_delay_alu instid0(VALU_DEP_1) | instskip(NEXT) | instid1(VALU_DEP_1)
	v_ashrrev_i32_e32 v6, 31, v5
	v_lshlrev_b64 v[5:6], 1, v[5:6]
	s_delay_alu instid0(VALU_DEP_1) | instskip(NEXT) | instid1(VALU_DEP_2)
	v_add_co_u32 v5, vcc_lo, s2, v5
	v_add_co_ci_u32_e32 v6, vcc_lo, s3, v6, vcc_lo
	global_load_u16 v13, v[5:6], off
.LBB45_46:                              ;   in Loop: Header=BB45_3 Depth=1
	s_or_b32 exec_lo, exec_lo, s23
.LBB45_47:                              ;   in Loop: Header=BB45_3 Depth=1
	s_delay_alu instid0(SALU_CYCLE_1)
	s_or_b32 exec_lo, exec_lo, s22
.LBB45_48:                              ;   in Loop: Header=BB45_3 Depth=1
	s_delay_alu instid0(SALU_CYCLE_1)
	s_or_b32 exec_lo, exec_lo, s16
.LBB45_49:                              ;   in Loop: Header=BB45_3 Depth=1
	s_delay_alu instid0(SALU_CYCLE_1) | instskip(SKIP_3) | instid1(VALU_DEP_3)
	s_or_b32 exec_lo, exec_lo, s13
	v_add_nc_u32_e32 v5, 1, v8
	v_cmp_ge_i64_e32 vcc_lo, s[4:5], v[8:9]
	v_add_nc_u32_e32 v14, 2, v8
	v_ashrrev_i32_e32 v6, 31, v5
	s_waitcnt vmcnt(0)
	v_cndmask_b32_e32 v11, 0, v3, vcc_lo
	s_delay_alu instid0(VALU_DEP_3) | instskip(NEXT) | instid1(VALU_DEP_3)
	v_ashrrev_i32_e32 v15, 31, v14
	v_cmp_ge_i64_e32 vcc_lo, s[4:5], v[5:6]
	v_dual_cndmask_b32 v3, 0, v7 :: v_dual_add_nc_u32 v16, 3, v8
	s_delay_alu instid0(VALU_DEP_3) | instskip(NEXT) | instid1(VALU_DEP_2)
	v_cmp_ge_i64_e32 vcc_lo, s[4:5], v[14:15]
	v_ashrrev_i32_e32 v17, 31, v16
	v_cndmask_b32_e32 v10, 0, v12, vcc_lo
	s_delay_alu instid0(VALU_DEP_2)
	v_cmp_ge_i64_e32 vcc_lo, s[4:5], v[16:17]
	v_cndmask_b32_e32 v7, 0, v13, vcc_lo
.LBB45_50:                              ;   in Loop: Header=BB45_3 Depth=1
	s_or_b32 exec_lo, exec_lo, s0
	s_delay_alu instid0(SALU_CYCLE_1)
	s_mov_b32 s0, exec_lo
	v_cmpx_gt_i32_e64 s9, v19
	s_cbranch_execz .LBB45_2
; %bb.51:                               ;   in Loop: Header=BB45_3 Depth=1
	v_ashrrev_i32_e32 v5, 31, v4
	v_add_nc_u32_e32 v8, 1, v19
	s_mov_b32 s13, exec_lo
	s_delay_alu instid0(VALU_DEP_2) | instskip(NEXT) | instid1(VALU_DEP_1)
	v_lshlrev_b64 v[5:6], 1, v[4:5]
	v_add_co_u32 v5, vcc_lo, s14, v5
	s_delay_alu instid0(VALU_DEP_2)
	v_add_co_ci_u32_e32 v6, vcc_lo, s15, v6, vcc_lo
	global_store_b16 v[5:6], v11, off
	v_cmpx_gt_i32_e64 s9, v8
	s_xor_b32 s13, exec_lo, s13
	s_cbranch_execz .LBB45_2
; %bb.52:                               ;   in Loop: Header=BB45_3 Depth=1
	s_lshl_b64 s[22:23], s[20:21], 1
	v_add_nc_u32_e32 v8, 2, v19
	v_add_co_u32 v5, vcc_lo, v5, s22
	v_add_co_ci_u32_e32 v6, vcc_lo, s23, v6, vcc_lo
	s_mov_b32 s13, exec_lo
	global_store_b16 v[5:6], v3, off
	v_cmpx_gt_i32_e64 s9, v8
	s_xor_b32 s13, exec_lo, s13
	s_cbranch_execz .LBB45_2
; %bb.53:                               ;   in Loop: Header=BB45_3 Depth=1
	v_add3_u32 v3, s20, s20, v4
	v_add_nc_u32_e32 v6, 3, v19
	s_mov_b32 s13, exec_lo
	s_delay_alu instid0(VALU_DEP_2) | instskip(NEXT) | instid1(VALU_DEP_1)
	v_ashrrev_i32_e32 v4, 31, v3
	v_lshlrev_b64 v[4:5], 1, v[3:4]
	s_delay_alu instid0(VALU_DEP_1) | instskip(NEXT) | instid1(VALU_DEP_2)
	v_add_co_u32 v4, vcc_lo, s14, v4
	v_add_co_ci_u32_e32 v5, vcc_lo, s15, v5, vcc_lo
	global_store_b16 v[4:5], v10, off
	v_cmpx_gt_i32_e64 s9, v6
	s_xor_b32 s13, exec_lo, s13
	s_cbranch_execz .LBB45_2
; %bb.54:                               ;   in Loop: Header=BB45_3 Depth=1
	v_add_nc_u32_e32 v3, s20, v3
	s_delay_alu instid0(VALU_DEP_1) | instskip(NEXT) | instid1(VALU_DEP_1)
	v_ashrrev_i32_e32 v4, 31, v3
	v_lshlrev_b64 v[3:4], 1, v[3:4]
	s_delay_alu instid0(VALU_DEP_1) | instskip(NEXT) | instid1(VALU_DEP_2)
	v_add_co_u32 v3, vcc_lo, s14, v3
	v_add_co_ci_u32_e32 v4, vcc_lo, s15, v4, vcc_lo
	global_store_b16 v[3:4], v7, off
	s_branch .LBB45_2
.LBB45_55:
	s_nop 0
	s_sendmsg sendmsg(MSG_DEALLOC_VGPRS)
	s_endpgm
	.section	.rodata,"a",@progbits
	.p2align	6, 0x0
	.amdhsa_kernel _ZN2at6native16triu_tril_kernelIN3c108BFloat16EiLb0ELi4ELb0EEEvNS_4cuda6detail10TensorInfoIT_T0_EENS6_IKS7_S8_EEllS8_
		.amdhsa_group_segment_fixed_size 0
		.amdhsa_private_segment_fixed_size 0
		.amdhsa_kernarg_size 712
		.amdhsa_user_sgpr_count 15
		.amdhsa_user_sgpr_dispatch_ptr 0
		.amdhsa_user_sgpr_queue_ptr 0
		.amdhsa_user_sgpr_kernarg_segment_ptr 1
		.amdhsa_user_sgpr_dispatch_id 0
		.amdhsa_user_sgpr_private_segment_size 0
		.amdhsa_wavefront_size32 1
		.amdhsa_uses_dynamic_stack 0
		.amdhsa_enable_private_segment 0
		.amdhsa_system_sgpr_workgroup_id_x 1
		.amdhsa_system_sgpr_workgroup_id_y 0
		.amdhsa_system_sgpr_workgroup_id_z 0
		.amdhsa_system_sgpr_workgroup_info 0
		.amdhsa_system_vgpr_workitem_id 0
		.amdhsa_next_free_vgpr 25
		.amdhsa_next_free_sgpr 54
		.amdhsa_reserve_vcc 1
		.amdhsa_float_round_mode_32 0
		.amdhsa_float_round_mode_16_64 0
		.amdhsa_float_denorm_mode_32 3
		.amdhsa_float_denorm_mode_16_64 3
		.amdhsa_dx10_clamp 1
		.amdhsa_ieee_mode 1
		.amdhsa_fp16_overflow 0
		.amdhsa_workgroup_processor_mode 1
		.amdhsa_memory_ordered 1
		.amdhsa_forward_progress 0
		.amdhsa_shared_vgpr_count 0
		.amdhsa_exception_fp_ieee_invalid_op 0
		.amdhsa_exception_fp_denorm_src 0
		.amdhsa_exception_fp_ieee_div_zero 0
		.amdhsa_exception_fp_ieee_overflow 0
		.amdhsa_exception_fp_ieee_underflow 0
		.amdhsa_exception_fp_ieee_inexact 0
		.amdhsa_exception_int_div_zero 0
	.end_amdhsa_kernel
	.section	.text._ZN2at6native16triu_tril_kernelIN3c108BFloat16EiLb0ELi4ELb0EEEvNS_4cuda6detail10TensorInfoIT_T0_EENS6_IKS7_S8_EEllS8_,"axG",@progbits,_ZN2at6native16triu_tril_kernelIN3c108BFloat16EiLb0ELi4ELb0EEEvNS_4cuda6detail10TensorInfoIT_T0_EENS6_IKS7_S8_EEllS8_,comdat
.Lfunc_end45:
	.size	_ZN2at6native16triu_tril_kernelIN3c108BFloat16EiLb0ELi4ELb0EEEvNS_4cuda6detail10TensorInfoIT_T0_EENS6_IKS7_S8_EEllS8_, .Lfunc_end45-_ZN2at6native16triu_tril_kernelIN3c108BFloat16EiLb0ELi4ELb0EEEvNS_4cuda6detail10TensorInfoIT_T0_EENS6_IKS7_S8_EEllS8_
                                        ; -- End function
	.section	.AMDGPU.csdata,"",@progbits
; Kernel info:
; codeLenInByte = 8704
; NumSgprs: 56
; NumVgprs: 25
; ScratchSize: 0
; MemoryBound: 0
; FloatMode: 240
; IeeeMode: 1
; LDSByteSize: 0 bytes/workgroup (compile time only)
; SGPRBlocks: 6
; VGPRBlocks: 3
; NumSGPRsForWavesPerEU: 56
; NumVGPRsForWavesPerEU: 25
; Occupancy: 16
; WaveLimiterHint : 0
; COMPUTE_PGM_RSRC2:SCRATCH_EN: 0
; COMPUTE_PGM_RSRC2:USER_SGPR: 15
; COMPUTE_PGM_RSRC2:TRAP_HANDLER: 0
; COMPUTE_PGM_RSRC2:TGID_X_EN: 1
; COMPUTE_PGM_RSRC2:TGID_Y_EN: 0
; COMPUTE_PGM_RSRC2:TGID_Z_EN: 0
; COMPUTE_PGM_RSRC2:TIDIG_COMP_CNT: 0
	.section	.text._ZN2at6native16triu_tril_kernelIN3c108BFloat16ElLb0ELi4ELb1EEEvNS_4cuda6detail10TensorInfoIT_T0_EENS6_IKS7_S8_EEllS8_,"axG",@progbits,_ZN2at6native16triu_tril_kernelIN3c108BFloat16ElLb0ELi4ELb1EEEvNS_4cuda6detail10TensorInfoIT_T0_EENS6_IKS7_S8_EEllS8_,comdat
	.protected	_ZN2at6native16triu_tril_kernelIN3c108BFloat16ElLb0ELi4ELb1EEEvNS_4cuda6detail10TensorInfoIT_T0_EENS6_IKS7_S8_EEllS8_ ; -- Begin function _ZN2at6native16triu_tril_kernelIN3c108BFloat16ElLb0ELi4ELb1EEEvNS_4cuda6detail10TensorInfoIT_T0_EENS6_IKS7_S8_EEllS8_
	.globl	_ZN2at6native16triu_tril_kernelIN3c108BFloat16ElLb0ELi4ELb1EEEvNS_4cuda6detail10TensorInfoIT_T0_EENS6_IKS7_S8_EEllS8_
	.p2align	8
	.type	_ZN2at6native16triu_tril_kernelIN3c108BFloat16ElLb0ELi4ELb1EEEvNS_4cuda6detail10TensorInfoIT_T0_EENS6_IKS7_S8_EEllS8_,@function
_ZN2at6native16triu_tril_kernelIN3c108BFloat16ElLb0ELi4ELb1EEEvNS_4cuda6detail10TensorInfoIT_T0_EENS6_IKS7_S8_EEllS8_: ; @_ZN2at6native16triu_tril_kernelIN3c108BFloat16ElLb0ELi4ELb1EEEvNS_4cuda6detail10TensorInfoIT_T0_EENS6_IKS7_S8_EEllS8_
; %bb.0:
	s_clause 0x1
	s_load_b32 s2, s[0:1], 0x364
	s_load_b128 s[4:7], s[0:1], 0x340
	v_mov_b32_e32 v2, 0
	s_add_u32 s8, s0, 0x358
	s_addc_u32 s9, s1, 0
	s_delay_alu instid0(VALU_DEP_1) | instskip(SKIP_3) | instid1(VALU_DEP_1)
	v_mov_b32_e32 v1, v2
	s_waitcnt lgkmcnt(0)
	s_and_b32 s10, s2, 0xffff
	s_mov_b32 s2, exec_lo
	v_mad_u64_u32 v[3:4], null, s10, s15, v[0:1]
	s_delay_alu instid0(VALU_DEP_1) | instskip(NEXT) | instid1(VALU_DEP_1)
	v_lshlrev_b64 v[0:1], 2, v[3:4]
	v_cmpx_gt_i64_e64 s[6:7], v[0:1]
	s_cbranch_execz .LBB46_29
; %bb.1:
	s_clause 0x1
	s_load_b32 s24, s[0:1], 0x338
	s_load_b64 s[2:3], s[0:1], 0x350
	s_load_b32 s11, s[8:9], 0x0
	s_load_b64 s[8:9], s[0:1], 0x0
	s_mov_b32 s44, 0
	s_waitcnt lgkmcnt(0)
	s_ashr_i32 s25, s24, 31
	s_add_u32 s26, s0, 0x1a8
	s_addc_u32 s27, s1, 0
	s_lshl_b64 s[12:13], s[24:25], 3
	v_cvt_f32_u32_e32 v3, s2
	s_add_u32 s14, s12, -16
	s_addc_u32 s15, s13, -1
	s_add_u32 s22, s26, s14
	s_addc_u32 s23, s27, s15
	v_rcp_iflag_f32_e32 v3, v3
	s_add_u32 s17, s12, -8
	s_addc_u32 s18, s13, -1
	s_add_u32 s0, s0, 0xd0
	s_addc_u32 s28, s1, 0
	s_mul_i32 s16, s11, s10
	s_add_u32 s10, s0, s17
	s_addc_u32 s11, s28, s18
	s_add_u32 s12, s0, s14
	s_addc_u32 s13, s28, s15
	s_add_i32 s20, s24, -3
	s_waitcnt_depctr 0xfff
	v_mul_f32_e32 v3, 0x4f7ffffe, v3
	s_ashr_i32 s21, s20, 31
	s_add_u32 s14, s26, s17
	s_addc_u32 s15, s27, s18
	s_lshl_b64 s[18:19], s[20:21], 3
	s_lshl_b32 s1, s16, 2
	s_add_u32 s16, s0, s18
	s_addc_u32 s17, s28, s19
	v_cvt_u32_f32_e32 v3, v3
	s_add_u32 s18, s26, s18
	s_addc_u32 s19, s27, s19
	s_add_u32 s20, s20, 1
	s_addc_u32 s21, s21, 0
	s_sub_i32 s0, 0, s2
	s_load_b64 s[22:23], s[22:23], 0x0
	v_mul_lo_u32 v4, s0, v3
	v_cmp_gt_i64_e64 s33, s[24:25], 2
	s_ashr_i32 s24, s3, 31
	s_delay_alu instid0(VALU_DEP_2) | instskip(NEXT) | instid1(VALU_DEP_1)
	v_mul_hi_u32 v4, v3, v4
	v_add_nc_u32_e32 v16, v3, v4
	s_waitcnt lgkmcnt(0)
	s_ashr_i32 s26, s23, 31
	s_branch .LBB46_3
.LBB46_2:                               ;   in Loop: Header=BB46_3 Depth=1
	s_or_b32 exec_lo, exec_lo, s25
	v_add_co_u32 v0, vcc_lo, v0, s1
	v_add_co_ci_u32_e32 v1, vcc_lo, 0, v1, vcc_lo
	s_delay_alu instid0(VALU_DEP_1) | instskip(SKIP_1) | instid1(SALU_CYCLE_1)
	v_cmp_le_i64_e32 vcc_lo, s[6:7], v[0:1]
	s_or_b32 s44, vcc_lo, s44
	s_and_not1_b32 exec_lo, exec_lo, s44
	s_cbranch_execz .LBB46_29
.LBB46_3:                               ; =>This Loop Header: Depth=1
                                        ;     Child Loop BB46_25 Depth 2
	v_or_b32_e32 v3, s3, v1
                                        ; implicit-def: $vgpr6_vgpr7
	s_mov_b32 s0, exec_lo
	s_delay_alu instid0(VALU_DEP_1)
	v_cmpx_ne_u64_e32 0, v[2:3]
	s_xor_b32 s27, exec_lo, s0
	s_cbranch_execz .LBB46_5
; %bb.4:                                ;   in Loop: Header=BB46_3 Depth=1
	s_add_u32 s28, s2, s24
	s_mov_b32 s25, s24
	s_addc_u32 s29, s3, s24
	s_delay_alu instid0(SALU_CYCLE_1) | instskip(NEXT) | instid1(SALU_CYCLE_1)
	s_xor_b64 s[28:29], s[28:29], s[24:25]
	v_cvt_f32_u32_e32 v3, s28
	v_cvt_f32_u32_e32 v4, s29
	s_sub_u32 s0, 0, s28
	s_subb_u32 s25, 0, s29
	s_delay_alu instid0(VALU_DEP_1) | instskip(NEXT) | instid1(VALU_DEP_1)
	v_fmac_f32_e32 v3, 0x4f800000, v4
	v_rcp_f32_e32 v3, v3
	s_waitcnt_depctr 0xfff
	v_mul_f32_e32 v3, 0x5f7ffffc, v3
	s_delay_alu instid0(VALU_DEP_1) | instskip(NEXT) | instid1(VALU_DEP_1)
	v_mul_f32_e32 v4, 0x2f800000, v3
	v_trunc_f32_e32 v4, v4
	s_delay_alu instid0(VALU_DEP_1) | instskip(SKIP_1) | instid1(VALU_DEP_2)
	v_fmac_f32_e32 v3, 0xcf800000, v4
	v_cvt_u32_f32_e32 v4, v4
	v_cvt_u32_f32_e32 v3, v3
	s_delay_alu instid0(VALU_DEP_2) | instskip(NEXT) | instid1(VALU_DEP_2)
	v_mul_lo_u32 v5, s0, v4
	v_mul_hi_u32 v6, s0, v3
	v_mul_lo_u32 v7, s25, v3
	s_delay_alu instid0(VALU_DEP_2) | instskip(SKIP_1) | instid1(VALU_DEP_2)
	v_add_nc_u32_e32 v5, v6, v5
	v_mul_lo_u32 v6, s0, v3
	v_add_nc_u32_e32 v5, v5, v7
	s_delay_alu instid0(VALU_DEP_2) | instskip(NEXT) | instid1(VALU_DEP_2)
	v_mul_hi_u32 v7, v3, v6
	v_mul_lo_u32 v8, v3, v5
	v_mul_hi_u32 v9, v3, v5
	v_mul_hi_u32 v10, v4, v6
	v_mul_lo_u32 v6, v4, v6
	v_mul_hi_u32 v11, v4, v5
	v_mul_lo_u32 v5, v4, v5
	v_add_co_u32 v7, vcc_lo, v7, v8
	v_add_co_ci_u32_e32 v8, vcc_lo, 0, v9, vcc_lo
	s_delay_alu instid0(VALU_DEP_2) | instskip(NEXT) | instid1(VALU_DEP_2)
	v_add_co_u32 v6, vcc_lo, v7, v6
	v_add_co_ci_u32_e32 v6, vcc_lo, v8, v10, vcc_lo
	v_add_co_ci_u32_e32 v7, vcc_lo, 0, v11, vcc_lo
	v_ashrrev_i32_e32 v10, 31, v1
	s_delay_alu instid0(VALU_DEP_3) | instskip(NEXT) | instid1(VALU_DEP_3)
	v_add_co_u32 v5, vcc_lo, v6, v5
	v_add_co_ci_u32_e32 v6, vcc_lo, 0, v7, vcc_lo
	s_delay_alu instid0(VALU_DEP_2) | instskip(NEXT) | instid1(VALU_DEP_2)
	v_add_co_u32 v3, vcc_lo, v3, v5
	v_add_co_ci_u32_e32 v4, vcc_lo, v4, v6, vcc_lo
	s_delay_alu instid0(VALU_DEP_2) | instskip(SKIP_1) | instid1(VALU_DEP_3)
	v_mul_hi_u32 v5, s0, v3
	v_mul_lo_u32 v7, s25, v3
	v_mul_lo_u32 v6, s0, v4
	s_delay_alu instid0(VALU_DEP_1) | instskip(SKIP_1) | instid1(VALU_DEP_2)
	v_add_nc_u32_e32 v5, v5, v6
	v_mul_lo_u32 v6, s0, v3
	v_add_nc_u32_e32 v5, v5, v7
	s_delay_alu instid0(VALU_DEP_2) | instskip(NEXT) | instid1(VALU_DEP_2)
	v_mul_hi_u32 v7, v3, v6
	v_mul_lo_u32 v8, v3, v5
	v_mul_hi_u32 v9, v3, v5
	v_mul_hi_u32 v11, v4, v6
	v_mul_lo_u32 v6, v4, v6
	v_mul_hi_u32 v12, v4, v5
	v_mul_lo_u32 v5, v4, v5
	v_add_co_u32 v7, vcc_lo, v7, v8
	v_add_co_ci_u32_e32 v8, vcc_lo, 0, v9, vcc_lo
	s_delay_alu instid0(VALU_DEP_2) | instskip(NEXT) | instid1(VALU_DEP_2)
	v_add_co_u32 v6, vcc_lo, v7, v6
	v_add_co_ci_u32_e32 v6, vcc_lo, v8, v11, vcc_lo
	v_add_co_ci_u32_e32 v7, vcc_lo, 0, v12, vcc_lo
	v_add_co_u32 v8, vcc_lo, v0, v10
	v_add_co_ci_u32_e32 v9, vcc_lo, v1, v10, vcc_lo
	s_delay_alu instid0(VALU_DEP_4) | instskip(NEXT) | instid1(VALU_DEP_4)
	v_add_co_u32 v5, vcc_lo, v6, v5
	v_add_co_ci_u32_e32 v6, vcc_lo, 0, v7, vcc_lo
	s_delay_alu instid0(VALU_DEP_4) | instskip(NEXT) | instid1(VALU_DEP_3)
	v_xor_b32_e32 v11, v8, v10
	v_add_co_u32 v7, vcc_lo, v3, v5
	s_delay_alu instid0(VALU_DEP_3) | instskip(SKIP_1) | instid1(VALU_DEP_3)
	v_add_co_ci_u32_e32 v12, vcc_lo, v4, v6, vcc_lo
	v_xor_b32_e32 v9, v9, v10
	v_mul_hi_u32 v13, v11, v7
	s_delay_alu instid0(VALU_DEP_3) | instskip(NEXT) | instid1(VALU_DEP_3)
	v_mad_u64_u32 v[3:4], null, v11, v12, 0
	v_mad_u64_u32 v[5:6], null, v9, v7, 0
	;; [unrolled: 1-line block ×3, first 2 shown]
	s_delay_alu instid0(VALU_DEP_3) | instskip(NEXT) | instid1(VALU_DEP_4)
	v_add_co_u32 v3, vcc_lo, v13, v3
	v_add_co_ci_u32_e32 v4, vcc_lo, 0, v4, vcc_lo
	s_delay_alu instid0(VALU_DEP_2) | instskip(NEXT) | instid1(VALU_DEP_2)
	v_add_co_u32 v3, vcc_lo, v3, v5
	v_add_co_ci_u32_e32 v3, vcc_lo, v4, v6, vcc_lo
	v_add_co_ci_u32_e32 v4, vcc_lo, 0, v8, vcc_lo
	s_delay_alu instid0(VALU_DEP_2) | instskip(NEXT) | instid1(VALU_DEP_2)
	v_add_co_u32 v5, vcc_lo, v3, v7
	v_add_co_ci_u32_e32 v6, vcc_lo, 0, v4, vcc_lo
	s_delay_alu instid0(VALU_DEP_2) | instskip(SKIP_1) | instid1(VALU_DEP_3)
	v_mul_lo_u32 v7, s29, v5
	v_mad_u64_u32 v[3:4], null, s28, v5, 0
	v_mul_lo_u32 v8, s28, v6
	s_delay_alu instid0(VALU_DEP_2) | instskip(NEXT) | instid1(VALU_DEP_2)
	v_sub_co_u32 v3, vcc_lo, v11, v3
	v_add3_u32 v4, v4, v8, v7
	s_delay_alu instid0(VALU_DEP_1) | instskip(NEXT) | instid1(VALU_DEP_1)
	v_sub_nc_u32_e32 v7, v9, v4
	v_subrev_co_ci_u32_e64 v7, s0, s29, v7, vcc_lo
	v_add_co_u32 v8, s0, v5, 2
	s_delay_alu instid0(VALU_DEP_1) | instskip(SKIP_3) | instid1(VALU_DEP_3)
	v_add_co_ci_u32_e64 v11, s0, 0, v6, s0
	v_sub_co_u32 v12, s0, v3, s28
	v_sub_co_ci_u32_e32 v4, vcc_lo, v9, v4, vcc_lo
	v_subrev_co_ci_u32_e64 v7, s0, 0, v7, s0
	v_cmp_le_u32_e32 vcc_lo, s28, v12
	s_delay_alu instid0(VALU_DEP_3) | instskip(SKIP_1) | instid1(VALU_DEP_4)
	v_cmp_eq_u32_e64 s0, s29, v4
	v_cndmask_b32_e64 v9, 0, -1, vcc_lo
	v_cmp_le_u32_e32 vcc_lo, s29, v7
	v_cndmask_b32_e64 v12, 0, -1, vcc_lo
	v_cmp_le_u32_e32 vcc_lo, s28, v3
	;; [unrolled: 2-line block ×3, first 2 shown]
	v_cndmask_b32_e64 v13, 0, -1, vcc_lo
	v_cmp_eq_u32_e32 vcc_lo, s29, v7
	s_delay_alu instid0(VALU_DEP_2) | instskip(SKIP_3) | instid1(VALU_DEP_3)
	v_cndmask_b32_e64 v3, v13, v3, s0
	v_cndmask_b32_e32 v7, v12, v9, vcc_lo
	v_add_co_u32 v9, vcc_lo, v5, 1
	v_add_co_ci_u32_e32 v12, vcc_lo, 0, v6, vcc_lo
	v_cmp_ne_u32_e32 vcc_lo, 0, v7
	s_delay_alu instid0(VALU_DEP_2) | instskip(SKIP_2) | instid1(VALU_DEP_3)
	v_dual_cndmask_b32 v4, v12, v11 :: v_dual_cndmask_b32 v7, v9, v8
	v_cmp_ne_u32_e32 vcc_lo, 0, v3
	v_xor_b32_e32 v3, s24, v10
	v_dual_cndmask_b32 v5, v5, v7 :: v_dual_cndmask_b32 v4, v6, v4
	s_delay_alu instid0(VALU_DEP_1) | instskip(NEXT) | instid1(VALU_DEP_2)
	v_xor_b32_e32 v5, v5, v3
	v_xor_b32_e32 v4, v4, v3
	s_delay_alu instid0(VALU_DEP_2) | instskip(NEXT) | instid1(VALU_DEP_2)
	v_sub_co_u32 v6, vcc_lo, v5, v3
	v_sub_co_ci_u32_e32 v7, vcc_lo, v4, v3, vcc_lo
.LBB46_5:                               ;   in Loop: Header=BB46_3 Depth=1
	s_and_not1_saveexec_b32 s0, s27
; %bb.6:                                ;   in Loop: Header=BB46_3 Depth=1
	v_mul_hi_u32 v3, v0, v16
	v_mov_b32_e32 v7, v2
	s_delay_alu instid0(VALU_DEP_2) | instskip(NEXT) | instid1(VALU_DEP_1)
	v_mul_lo_u32 v4, v3, s2
	v_sub_nc_u32_e32 v4, v0, v4
	s_delay_alu instid0(VALU_DEP_1) | instskip(SKIP_1) | instid1(VALU_DEP_2)
	v_subrev_nc_u32_e32 v6, s2, v4
	v_cmp_le_u32_e32 vcc_lo, s2, v4
	v_dual_cndmask_b32 v4, v4, v6 :: v_dual_add_nc_u32 v5, 1, v3
	s_delay_alu instid0(VALU_DEP_1) | instskip(NEXT) | instid1(VALU_DEP_2)
	v_cndmask_b32_e32 v3, v3, v5, vcc_lo
	v_cmp_le_u32_e32 vcc_lo, s2, v4
	s_delay_alu instid0(VALU_DEP_2) | instskip(NEXT) | instid1(VALU_DEP_1)
	v_add_nc_u32_e32 v5, 1, v3
	v_cndmask_b32_e32 v6, v3, v5, vcc_lo
; %bb.7:                                ;   in Loop: Header=BB46_3 Depth=1
	s_or_b32 exec_lo, exec_lo, s0
	v_or_b32_e32 v3, s23, v7
                                        ; implicit-def: $vgpr8_vgpr9
	s_mov_b32 s0, exec_lo
	s_delay_alu instid0(VALU_DEP_1)
	v_cmpx_ne_u64_e32 0, v[2:3]
	s_xor_b32 s25, exec_lo, s0
	s_cbranch_execz .LBB46_9
; %bb.8:                                ;   in Loop: Header=BB46_3 Depth=1
	s_add_u32 s28, s22, s26
	s_mov_b32 s27, s26
	s_addc_u32 s29, s23, s26
	s_delay_alu instid0(SALU_CYCLE_1) | instskip(NEXT) | instid1(SALU_CYCLE_1)
	s_xor_b64 s[28:29], s[28:29], s[26:27]
	v_cvt_f32_u32_e32 v3, s28
	v_cvt_f32_u32_e32 v4, s29
	s_sub_u32 s0, 0, s28
	s_subb_u32 s27, 0, s29
	s_delay_alu instid0(VALU_DEP_1) | instskip(NEXT) | instid1(VALU_DEP_1)
	v_fmac_f32_e32 v3, 0x4f800000, v4
	v_rcp_f32_e32 v3, v3
	s_waitcnt_depctr 0xfff
	v_mul_f32_e32 v3, 0x5f7ffffc, v3
	s_delay_alu instid0(VALU_DEP_1) | instskip(NEXT) | instid1(VALU_DEP_1)
	v_mul_f32_e32 v4, 0x2f800000, v3
	v_trunc_f32_e32 v4, v4
	s_delay_alu instid0(VALU_DEP_1) | instskip(SKIP_1) | instid1(VALU_DEP_2)
	v_fmac_f32_e32 v3, 0xcf800000, v4
	v_cvt_u32_f32_e32 v4, v4
	v_cvt_u32_f32_e32 v3, v3
	s_delay_alu instid0(VALU_DEP_2) | instskip(NEXT) | instid1(VALU_DEP_2)
	v_mul_lo_u32 v5, s0, v4
	v_mul_hi_u32 v8, s0, v3
	v_mul_lo_u32 v9, s27, v3
	s_delay_alu instid0(VALU_DEP_2) | instskip(SKIP_1) | instid1(VALU_DEP_2)
	v_add_nc_u32_e32 v5, v8, v5
	v_mul_lo_u32 v8, s0, v3
	v_add_nc_u32_e32 v5, v5, v9
	s_delay_alu instid0(VALU_DEP_2) | instskip(NEXT) | instid1(VALU_DEP_2)
	v_mul_hi_u32 v9, v3, v8
	v_mul_lo_u32 v10, v3, v5
	v_mul_hi_u32 v11, v3, v5
	v_mul_hi_u32 v12, v4, v8
	v_mul_lo_u32 v8, v4, v8
	v_mul_hi_u32 v13, v4, v5
	v_mul_lo_u32 v5, v4, v5
	v_add_co_u32 v9, vcc_lo, v9, v10
	v_add_co_ci_u32_e32 v10, vcc_lo, 0, v11, vcc_lo
	s_delay_alu instid0(VALU_DEP_2) | instskip(NEXT) | instid1(VALU_DEP_2)
	v_add_co_u32 v8, vcc_lo, v9, v8
	v_add_co_ci_u32_e32 v8, vcc_lo, v10, v12, vcc_lo
	v_add_co_ci_u32_e32 v9, vcc_lo, 0, v13, vcc_lo
	v_ashrrev_i32_e32 v12, 31, v7
	s_delay_alu instid0(VALU_DEP_3) | instskip(NEXT) | instid1(VALU_DEP_3)
	v_add_co_u32 v5, vcc_lo, v8, v5
	v_add_co_ci_u32_e32 v8, vcc_lo, 0, v9, vcc_lo
	s_delay_alu instid0(VALU_DEP_2) | instskip(NEXT) | instid1(VALU_DEP_2)
	v_add_co_u32 v3, vcc_lo, v3, v5
	v_add_co_ci_u32_e32 v4, vcc_lo, v4, v8, vcc_lo
	s_delay_alu instid0(VALU_DEP_2) | instskip(SKIP_1) | instid1(VALU_DEP_3)
	v_mul_hi_u32 v5, s0, v3
	v_mul_lo_u32 v9, s27, v3
	v_mul_lo_u32 v8, s0, v4
	s_delay_alu instid0(VALU_DEP_1) | instskip(SKIP_1) | instid1(VALU_DEP_2)
	v_add_nc_u32_e32 v5, v5, v8
	v_mul_lo_u32 v8, s0, v3
	v_add_nc_u32_e32 v5, v5, v9
	s_delay_alu instid0(VALU_DEP_2) | instskip(NEXT) | instid1(VALU_DEP_2)
	v_mul_hi_u32 v9, v3, v8
	v_mul_lo_u32 v10, v3, v5
	v_mul_hi_u32 v11, v3, v5
	v_mul_hi_u32 v13, v4, v8
	v_mul_lo_u32 v8, v4, v8
	v_mul_hi_u32 v14, v4, v5
	v_mul_lo_u32 v5, v4, v5
	v_add_co_u32 v9, vcc_lo, v9, v10
	v_add_co_ci_u32_e32 v10, vcc_lo, 0, v11, vcc_lo
	s_delay_alu instid0(VALU_DEP_2) | instskip(NEXT) | instid1(VALU_DEP_2)
	v_add_co_u32 v8, vcc_lo, v9, v8
	v_add_co_ci_u32_e32 v8, vcc_lo, v10, v13, vcc_lo
	v_add_co_ci_u32_e32 v9, vcc_lo, 0, v14, vcc_lo
	v_add_co_u32 v10, vcc_lo, v6, v12
	v_add_co_ci_u32_e32 v11, vcc_lo, v7, v12, vcc_lo
	s_delay_alu instid0(VALU_DEP_4) | instskip(NEXT) | instid1(VALU_DEP_4)
	v_add_co_u32 v5, vcc_lo, v8, v5
	v_add_co_ci_u32_e32 v8, vcc_lo, 0, v9, vcc_lo
	s_delay_alu instid0(VALU_DEP_4) | instskip(NEXT) | instid1(VALU_DEP_3)
	v_xor_b32_e32 v13, v10, v12
	v_add_co_u32 v5, vcc_lo, v3, v5
	s_delay_alu instid0(VALU_DEP_3) | instskip(SKIP_1) | instid1(VALU_DEP_3)
	v_add_co_ci_u32_e32 v14, vcc_lo, v4, v8, vcc_lo
	v_xor_b32_e32 v15, v11, v12
	v_mul_hi_u32 v17, v13, v5
	s_delay_alu instid0(VALU_DEP_3) | instskip(NEXT) | instid1(VALU_DEP_3)
	v_mad_u64_u32 v[3:4], null, v13, v14, 0
	v_mad_u64_u32 v[8:9], null, v15, v5, 0
	;; [unrolled: 1-line block ×3, first 2 shown]
	s_delay_alu instid0(VALU_DEP_3) | instskip(NEXT) | instid1(VALU_DEP_4)
	v_add_co_u32 v3, vcc_lo, v17, v3
	v_add_co_ci_u32_e32 v4, vcc_lo, 0, v4, vcc_lo
	s_delay_alu instid0(VALU_DEP_2) | instskip(NEXT) | instid1(VALU_DEP_2)
	v_add_co_u32 v3, vcc_lo, v3, v8
	v_add_co_ci_u32_e32 v3, vcc_lo, v4, v9, vcc_lo
	v_add_co_ci_u32_e32 v4, vcc_lo, 0, v11, vcc_lo
	s_delay_alu instid0(VALU_DEP_2) | instskip(NEXT) | instid1(VALU_DEP_2)
	v_add_co_u32 v5, vcc_lo, v3, v10
	v_add_co_ci_u32_e32 v8, vcc_lo, 0, v4, vcc_lo
	s_delay_alu instid0(VALU_DEP_2) | instskip(SKIP_1) | instid1(VALU_DEP_3)
	v_mul_lo_u32 v9, s29, v5
	v_mad_u64_u32 v[3:4], null, s28, v5, 0
	v_mul_lo_u32 v10, s28, v8
	s_delay_alu instid0(VALU_DEP_2) | instskip(NEXT) | instid1(VALU_DEP_2)
	v_sub_co_u32 v3, vcc_lo, v13, v3
	v_add3_u32 v4, v4, v10, v9
	s_delay_alu instid0(VALU_DEP_1) | instskip(NEXT) | instid1(VALU_DEP_1)
	v_sub_nc_u32_e32 v9, v15, v4
	v_subrev_co_ci_u32_e64 v9, s0, s29, v9, vcc_lo
	v_add_co_u32 v10, s0, v5, 2
	s_delay_alu instid0(VALU_DEP_1) | instskip(SKIP_3) | instid1(VALU_DEP_3)
	v_add_co_ci_u32_e64 v11, s0, 0, v8, s0
	v_sub_co_u32 v13, s0, v3, s28
	v_sub_co_ci_u32_e32 v4, vcc_lo, v15, v4, vcc_lo
	v_subrev_co_ci_u32_e64 v9, s0, 0, v9, s0
	v_cmp_le_u32_e32 vcc_lo, s28, v13
	s_delay_alu instid0(VALU_DEP_3) | instskip(SKIP_1) | instid1(VALU_DEP_4)
	v_cmp_eq_u32_e64 s0, s29, v4
	v_cndmask_b32_e64 v13, 0, -1, vcc_lo
	v_cmp_le_u32_e32 vcc_lo, s29, v9
	v_cndmask_b32_e64 v14, 0, -1, vcc_lo
	v_cmp_le_u32_e32 vcc_lo, s28, v3
	;; [unrolled: 2-line block ×3, first 2 shown]
	v_cndmask_b32_e64 v15, 0, -1, vcc_lo
	v_cmp_eq_u32_e32 vcc_lo, s29, v9
	s_delay_alu instid0(VALU_DEP_2) | instskip(SKIP_3) | instid1(VALU_DEP_3)
	v_cndmask_b32_e64 v3, v15, v3, s0
	v_cndmask_b32_e32 v9, v14, v13, vcc_lo
	v_add_co_u32 v13, vcc_lo, v5, 1
	v_add_co_ci_u32_e32 v14, vcc_lo, 0, v8, vcc_lo
	v_cmp_ne_u32_e32 vcc_lo, 0, v9
	s_delay_alu instid0(VALU_DEP_2) | instskip(SKIP_2) | instid1(VALU_DEP_3)
	v_dual_cndmask_b32 v4, v14, v11 :: v_dual_cndmask_b32 v9, v13, v10
	v_cmp_ne_u32_e32 vcc_lo, 0, v3
	v_xor_b32_e32 v3, s26, v12
	v_dual_cndmask_b32 v5, v5, v9 :: v_dual_cndmask_b32 v4, v8, v4
	s_delay_alu instid0(VALU_DEP_1) | instskip(NEXT) | instid1(VALU_DEP_2)
	v_xor_b32_e32 v5, v5, v3
	v_xor_b32_e32 v4, v4, v3
	s_delay_alu instid0(VALU_DEP_2) | instskip(NEXT) | instid1(VALU_DEP_2)
	v_sub_co_u32 v8, vcc_lo, v5, v3
	v_sub_co_ci_u32_e32 v9, vcc_lo, v4, v3, vcc_lo
.LBB46_9:                               ;   in Loop: Header=BB46_3 Depth=1
	s_and_not1_saveexec_b32 s0, s25
	s_cbranch_execz .LBB46_11
; %bb.10:                               ;   in Loop: Header=BB46_3 Depth=1
	v_cvt_f32_u32_e32 v3, s22
	s_sub_i32 s25, 0, s22
	v_mov_b32_e32 v9, v2
	s_delay_alu instid0(VALU_DEP_2) | instskip(SKIP_2) | instid1(VALU_DEP_1)
	v_rcp_iflag_f32_e32 v3, v3
	s_waitcnt_depctr 0xfff
	v_mul_f32_e32 v3, 0x4f7ffffe, v3
	v_cvt_u32_f32_e32 v3, v3
	s_delay_alu instid0(VALU_DEP_1) | instskip(NEXT) | instid1(VALU_DEP_1)
	v_mul_lo_u32 v4, s25, v3
	v_mul_hi_u32 v4, v3, v4
	s_delay_alu instid0(VALU_DEP_1) | instskip(NEXT) | instid1(VALU_DEP_1)
	v_add_nc_u32_e32 v3, v3, v4
	v_mul_hi_u32 v3, v6, v3
	s_delay_alu instid0(VALU_DEP_1) | instskip(SKIP_1) | instid1(VALU_DEP_2)
	v_mul_lo_u32 v4, v3, s22
	v_add_nc_u32_e32 v5, 1, v3
	v_sub_nc_u32_e32 v4, v6, v4
	s_delay_alu instid0(VALU_DEP_1) | instskip(SKIP_1) | instid1(VALU_DEP_2)
	v_subrev_nc_u32_e32 v8, s22, v4
	v_cmp_le_u32_e32 vcc_lo, s22, v4
	v_dual_cndmask_b32 v4, v4, v8 :: v_dual_cndmask_b32 v3, v3, v5
	s_delay_alu instid0(VALU_DEP_1) | instskip(NEXT) | instid1(VALU_DEP_2)
	v_cmp_le_u32_e32 vcc_lo, s22, v4
	v_add_nc_u32_e32 v5, 1, v3
	s_delay_alu instid0(VALU_DEP_1)
	v_cndmask_b32_e32 v8, v3, v5, vcc_lo
.LBB46_11:                              ;   in Loop: Header=BB46_3 Depth=1
	s_or_b32 exec_lo, exec_lo, s0
	v_mul_lo_u32 v5, v7, s2
	v_mul_lo_u32 v12, v6, s3
	v_mad_u64_u32 v[3:4], null, v6, s2, 0
	v_mul_lo_u32 v13, v9, s22
	v_mul_lo_u32 v14, v8, s23
	v_mad_u64_u32 v[10:11], null, v8, s22, 0
	s_mov_b32 s25, exec_lo
	s_delay_alu instid0(VALU_DEP_4) | instskip(SKIP_1) | instid1(VALU_DEP_3)
	v_add3_u32 v5, v4, v12, v5
	v_sub_co_u32 v4, vcc_lo, v0, v3
	v_add3_u32 v11, v11, v14, v13
	s_delay_alu instid0(VALU_DEP_3) | instskip(SKIP_1) | instid1(VALU_DEP_3)
	v_sub_co_ci_u32_e32 v5, vcc_lo, v1, v5, vcc_lo
	v_sub_co_u32 v17, vcc_lo, v6, v10
	v_sub_co_ci_u32_e32 v18, vcc_lo, v7, v11, vcc_lo
	s_delay_alu instid0(VALU_DEP_2) | instskip(NEXT) | instid1(VALU_DEP_2)
	v_sub_co_u32 v6, vcc_lo, v4, v17
	v_sub_co_ci_u32_e32 v7, vcc_lo, v5, v18, vcc_lo
	s_delay_alu instid0(VALU_DEP_2) | instskip(NEXT) | instid1(VALU_DEP_2)
	v_add_co_u32 v10, vcc_lo, v6, 4
	v_add_co_ci_u32_e32 v11, vcc_lo, 0, v7, vcc_lo
	s_delay_alu instid0(VALU_DEP_1)
	v_cmpx_lt_i64_e64 s[4:5], v[10:11]
	s_cbranch_execz .LBB46_2
; %bb.12:                               ;   in Loop: Header=BB46_3 Depth=1
	s_clause 0x1
	s_load_b64 s[28:29], s[10:11], 0x0
	s_load_b64 s[30:31], s[12:13], 0x0
	s_and_b32 vcc_lo, exec_lo, s33
	s_mov_b64 s[34:35], s[18:19]
	s_mov_b64 s[36:37], s[16:17]
	s_waitcnt lgkmcnt(0)
	v_mul_lo_u32 v3, s29, v4
	v_mul_lo_u32 v12, s28, v5
	v_mad_u64_u32 v[10:11], null, s28, v4, 0
	s_delay_alu instid0(VALU_DEP_1) | instskip(SKIP_1) | instid1(VALU_DEP_2)
	v_add3_u32 v11, v11, v12, v3
	v_mul_lo_u32 v3, s30, v18
	v_mad_u64_u32 v[14:15], null, s30, v17, v[10:11]
	v_mul_lo_u32 v10, s31, v17
	s_mov_b64 s[30:31], s[20:21]
	s_delay_alu instid0(VALU_DEP_1) | instskip(NEXT) | instid1(VALU_DEP_1)
	v_add3_u32 v15, v10, v15, v3
	v_dual_mov_b32 v10, v14 :: v_dual_mov_b32 v11, v15
	s_cbranch_vccnz .LBB46_25
.LBB46_13:                              ;   in Loop: Header=BB46_3 Depth=1
	s_load_b64 s[30:31], s[14:15], 0x0
	s_waitcnt lgkmcnt(0)
	v_cmp_gt_i64_e32 vcc_lo, s[30:31], v[4:5]
	s_and_b32 exec_lo, exec_lo, vcc_lo
	s_cbranch_execz .LBB46_2
; %bb.14:                               ;   in Loop: Header=BB46_3 Depth=1
	v_lshlrev_b64 v[8:9], 1, v[14:15]
	v_cmp_lt_i64_e32 vcc_lo, s[4:5], v[6:7]
	s_delay_alu instid0(VALU_DEP_2) | instskip(NEXT) | instid1(VALU_DEP_1)
	v_add_co_u32 v6, s0, s8, v8
	v_add_co_ci_u32_e64 v7, s0, s9, v9, s0
	s_and_saveexec_b32 s0, vcc_lo
	s_cbranch_execz .LBB46_16
; %bb.15:                               ;   in Loop: Header=BB46_3 Depth=1
	global_store_b16 v[6:7], v2, off
.LBB46_16:                              ;   in Loop: Header=BB46_3 Depth=1
	s_or_b32 exec_lo, exec_lo, s0
	v_add_co_u32 v8, vcc_lo, v4, 1
	v_add_co_ci_u32_e32 v9, vcc_lo, 0, v5, vcc_lo
	s_delay_alu instid0(VALU_DEP_1)
	v_cmp_gt_i64_e32 vcc_lo, s[30:31], v[8:9]
	s_and_b32 exec_lo, exec_lo, vcc_lo
	s_cbranch_execz .LBB46_2
; %bb.17:                               ;   in Loop: Header=BB46_3 Depth=1
	v_sub_co_u32 v8, vcc_lo, v8, v17
	v_sub_co_ci_u32_e32 v9, vcc_lo, v9, v18, vcc_lo
	s_mov_b32 s0, exec_lo
	s_delay_alu instid0(VALU_DEP_1)
	v_cmpx_lt_i64_e64 s[4:5], v[8:9]
	s_cbranch_execz .LBB46_19
; %bb.18:                               ;   in Loop: Header=BB46_3 Depth=1
	s_lshl_b64 s[34:35], s[28:29], 1
	s_delay_alu instid0(SALU_CYCLE_1)
	v_add_co_u32 v8, vcc_lo, v6, s34
	v_add_co_ci_u32_e32 v9, vcc_lo, s35, v7, vcc_lo
	global_store_b16 v[8:9], v2, off
.LBB46_19:                              ;   in Loop: Header=BB46_3 Depth=1
	s_or_b32 exec_lo, exec_lo, s0
	v_add_co_u32 v8, vcc_lo, v4, 2
	v_add_co_ci_u32_e32 v9, vcc_lo, 0, v5, vcc_lo
	s_delay_alu instid0(VALU_DEP_1)
	v_cmp_gt_i64_e32 vcc_lo, s[30:31], v[8:9]
	s_and_b32 exec_lo, exec_lo, vcc_lo
	s_cbranch_execz .LBB46_2
; %bb.20:                               ;   in Loop: Header=BB46_3 Depth=1
	v_sub_co_u32 v8, vcc_lo, v8, v17
	v_sub_co_ci_u32_e32 v9, vcc_lo, v9, v18, vcc_lo
	s_mov_b32 s0, exec_lo
	s_delay_alu instid0(VALU_DEP_1)
	v_cmpx_lt_i64_e64 s[4:5], v[8:9]
	s_cbranch_execz .LBB46_22
; %bb.21:                               ;   in Loop: Header=BB46_3 Depth=1
	s_lshl_b64 s[34:35], s[28:29], 2
	s_delay_alu instid0(SALU_CYCLE_1)
	v_add_co_u32 v8, vcc_lo, v6, s34
	v_add_co_ci_u32_e32 v9, vcc_lo, s35, v7, vcc_lo
	global_store_b16 v[8:9], v2, off
.LBB46_22:                              ;   in Loop: Header=BB46_3 Depth=1
	s_or_b32 exec_lo, exec_lo, s0
	v_add_co_u32 v3, vcc_lo, v4, 3
	v_add_co_ci_u32_e32 v4, vcc_lo, 0, v5, vcc_lo
	s_delay_alu instid0(VALU_DEP_2) | instskip(NEXT) | instid1(VALU_DEP_2)
	v_sub_co_u32 v8, vcc_lo, v3, v17
	v_sub_co_ci_u32_e32 v9, vcc_lo, v4, v18, vcc_lo
	v_cmp_gt_i64_e32 vcc_lo, s[30:31], v[3:4]
	s_delay_alu instid0(VALU_DEP_2) | instskip(NEXT) | instid1(VALU_DEP_1)
	v_cmp_lt_i64_e64 s0, s[4:5], v[8:9]
	s_and_b32 s0, vcc_lo, s0
	s_delay_alu instid0(SALU_CYCLE_1)
	s_and_b32 exec_lo, exec_lo, s0
	s_cbranch_execz .LBB46_2
; %bb.23:                               ;   in Loop: Header=BB46_3 Depth=1
	v_mad_u64_u32 v[3:4], null, s28, 6, v[6:7]
	s_delay_alu instid0(VALU_DEP_1) | instskip(NEXT) | instid1(VALU_DEP_1)
	v_mad_u64_u32 v[5:6], null, s29, 6, v[4:5]
	v_mov_b32_e32 v4, v5
	global_store_b16 v[3:4], v2, off
	s_branch .LBB46_2
.LBB46_24:                              ;   in Loop: Header=BB46_25 Depth=2
	s_or_b32 exec_lo, exec_lo, s0
	s_load_b64 s[40:41], s[36:37], 0x0
	s_delay_alu instid0(VALU_DEP_1)
	v_mul_lo_u32 v3, v13, s38
	v_mul_lo_u32 v19, v12, s39
	v_mad_u64_u32 v[14:15], null, v12, s38, 0
	s_add_u32 s36, s36, -8
	s_addc_u32 s37, s37, -1
	s_add_u32 s34, s34, -8
	s_addc_u32 s35, s35, -1
	;; [unrolled: 2-line block ×3, first 2 shown]
	s_delay_alu instid0(VALU_DEP_1) | instskip(SKIP_2) | instid1(VALU_DEP_3)
	v_add3_u32 v3, v15, v19, v3
	v_sub_co_u32 v8, vcc_lo, v8, v14
	v_cmp_lt_i64_e64 s0, s[30:31], 1
	v_sub_co_ci_u32_e32 v3, vcc_lo, v9, v3, vcc_lo
	s_delay_alu instid0(VALU_DEP_2) | instskip(SKIP_1) | instid1(VALU_DEP_1)
	s_and_b32 vcc_lo, exec_lo, s0
	s_waitcnt lgkmcnt(0)
	v_mul_lo_u32 v3, s40, v3
	v_mul_lo_u32 v9, s41, v8
	v_mad_u64_u32 v[14:15], null, s40, v8, v[10:11]
	s_delay_alu instid0(VALU_DEP_1) | instskip(NEXT) | instid1(VALU_DEP_2)
	v_add3_u32 v15, v9, v15, v3
	v_mov_b32_e32 v10, v14
	v_dual_mov_b32 v8, v12 :: v_dual_mov_b32 v9, v13
	s_delay_alu instid0(VALU_DEP_3)
	v_mov_b32_e32 v11, v15
	s_cbranch_vccnz .LBB46_13
.LBB46_25:                              ;   Parent Loop BB46_3 Depth=1
                                        ; =>  This Inner Loop Header: Depth=2
	s_load_b64 s[38:39], s[34:35], 0x0
                                        ; implicit-def: $vgpr12_vgpr13
	s_mov_b32 s0, exec_lo
	s_waitcnt lgkmcnt(0)
	v_or_b32_e32 v3, s39, v9
	s_delay_alu instid0(VALU_DEP_1)
	v_cmpx_ne_u64_e32 0, v[2:3]
	s_xor_b32 s27, exec_lo, s0
	s_cbranch_execz .LBB46_27
; %bb.26:                               ;   in Loop: Header=BB46_25 Depth=2
	s_ashr_i32 s40, s39, 31
	s_delay_alu instid0(SALU_CYCLE_1) | instskip(SKIP_2) | instid1(SALU_CYCLE_1)
	s_add_u32 s42, s38, s40
	s_mov_b32 s41, s40
	s_addc_u32 s43, s39, s40
	s_xor_b64 s[42:43], s[42:43], s[40:41]
	s_delay_alu instid0(SALU_CYCLE_1) | instskip(SKIP_3) | instid1(VALU_DEP_1)
	v_cvt_f32_u32_e32 v3, s42
	v_cvt_f32_u32_e32 v12, s43
	s_sub_u32 s0, 0, s42
	s_subb_u32 s41, 0, s43
	v_fmac_f32_e32 v3, 0x4f800000, v12
	s_delay_alu instid0(VALU_DEP_1) | instskip(SKIP_2) | instid1(VALU_DEP_1)
	v_rcp_f32_e32 v3, v3
	s_waitcnt_depctr 0xfff
	v_mul_f32_e32 v3, 0x5f7ffffc, v3
	v_mul_f32_e32 v12, 0x2f800000, v3
	s_delay_alu instid0(VALU_DEP_1) | instskip(NEXT) | instid1(VALU_DEP_1)
	v_trunc_f32_e32 v12, v12
	v_fmac_f32_e32 v3, 0xcf800000, v12
	v_cvt_u32_f32_e32 v12, v12
	s_delay_alu instid0(VALU_DEP_2) | instskip(NEXT) | instid1(VALU_DEP_2)
	v_cvt_u32_f32_e32 v3, v3
	v_mul_lo_u32 v13, s0, v12
	s_delay_alu instid0(VALU_DEP_2) | instskip(SKIP_1) | instid1(VALU_DEP_2)
	v_mul_hi_u32 v14, s0, v3
	v_mul_lo_u32 v15, s41, v3
	v_add_nc_u32_e32 v13, v14, v13
	v_mul_lo_u32 v14, s0, v3
	s_delay_alu instid0(VALU_DEP_2) | instskip(NEXT) | instid1(VALU_DEP_2)
	v_add_nc_u32_e32 v13, v13, v15
	v_mul_hi_u32 v15, v3, v14
	s_delay_alu instid0(VALU_DEP_2)
	v_mul_lo_u32 v19, v3, v13
	v_mul_hi_u32 v20, v3, v13
	v_mul_hi_u32 v21, v12, v14
	v_mul_lo_u32 v14, v12, v14
	v_mul_hi_u32 v22, v12, v13
	v_mul_lo_u32 v13, v12, v13
	v_add_co_u32 v15, vcc_lo, v15, v19
	v_add_co_ci_u32_e32 v19, vcc_lo, 0, v20, vcc_lo
	s_delay_alu instid0(VALU_DEP_2) | instskip(NEXT) | instid1(VALU_DEP_2)
	v_add_co_u32 v14, vcc_lo, v15, v14
	v_add_co_ci_u32_e32 v14, vcc_lo, v19, v21, vcc_lo
	v_add_co_ci_u32_e32 v15, vcc_lo, 0, v22, vcc_lo
	v_ashrrev_i32_e32 v21, 31, v9
	s_delay_alu instid0(VALU_DEP_3) | instskip(NEXT) | instid1(VALU_DEP_3)
	v_add_co_u32 v13, vcc_lo, v14, v13
	v_add_co_ci_u32_e32 v14, vcc_lo, 0, v15, vcc_lo
	s_delay_alu instid0(VALU_DEP_2) | instskip(NEXT) | instid1(VALU_DEP_2)
	v_add_co_u32 v3, vcc_lo, v3, v13
	v_add_co_ci_u32_e32 v12, vcc_lo, v12, v14, vcc_lo
	s_delay_alu instid0(VALU_DEP_2) | instskip(SKIP_1) | instid1(VALU_DEP_3)
	v_mul_hi_u32 v13, s0, v3
	v_mul_lo_u32 v15, s41, v3
	v_mul_lo_u32 v14, s0, v12
	s_delay_alu instid0(VALU_DEP_1) | instskip(SKIP_1) | instid1(VALU_DEP_2)
	v_add_nc_u32_e32 v13, v13, v14
	v_mul_lo_u32 v14, s0, v3
	v_add_nc_u32_e32 v13, v13, v15
	s_delay_alu instid0(VALU_DEP_2) | instskip(NEXT) | instid1(VALU_DEP_2)
	v_mul_hi_u32 v15, v3, v14
	v_mul_lo_u32 v19, v3, v13
	v_mul_hi_u32 v20, v3, v13
	v_mul_hi_u32 v22, v12, v14
	v_mul_lo_u32 v14, v12, v14
	v_mul_hi_u32 v23, v12, v13
	v_mul_lo_u32 v13, v12, v13
	v_add_co_u32 v15, vcc_lo, v15, v19
	v_add_co_ci_u32_e32 v19, vcc_lo, 0, v20, vcc_lo
	s_delay_alu instid0(VALU_DEP_2) | instskip(NEXT) | instid1(VALU_DEP_2)
	v_add_co_u32 v14, vcc_lo, v15, v14
	v_add_co_ci_u32_e32 v14, vcc_lo, v19, v22, vcc_lo
	v_add_co_ci_u32_e32 v15, vcc_lo, 0, v23, vcc_lo
	v_add_co_u32 v19, vcc_lo, v8, v21
	v_add_co_ci_u32_e32 v20, vcc_lo, v9, v21, vcc_lo
	s_delay_alu instid0(VALU_DEP_4) | instskip(NEXT) | instid1(VALU_DEP_4)
	v_add_co_u32 v13, vcc_lo, v14, v13
	v_add_co_ci_u32_e32 v14, vcc_lo, 0, v15, vcc_lo
	s_delay_alu instid0(VALU_DEP_4) | instskip(NEXT) | instid1(VALU_DEP_3)
	v_xor_b32_e32 v22, v19, v21
	v_add_co_u32 v3, vcc_lo, v3, v13
	s_delay_alu instid0(VALU_DEP_3) | instskip(SKIP_1) | instid1(VALU_DEP_3)
	v_add_co_ci_u32_e32 v23, vcc_lo, v12, v14, vcc_lo
	v_xor_b32_e32 v24, v20, v21
	v_mul_hi_u32 v25, v22, v3
	s_delay_alu instid0(VALU_DEP_3) | instskip(NEXT) | instid1(VALU_DEP_3)
	v_mad_u64_u32 v[12:13], null, v22, v23, 0
	v_mad_u64_u32 v[14:15], null, v24, v3, 0
	;; [unrolled: 1-line block ×3, first 2 shown]
	s_delay_alu instid0(VALU_DEP_3) | instskip(NEXT) | instid1(VALU_DEP_4)
	v_add_co_u32 v3, vcc_lo, v25, v12
	v_add_co_ci_u32_e32 v12, vcc_lo, 0, v13, vcc_lo
	s_delay_alu instid0(VALU_DEP_2) | instskip(NEXT) | instid1(VALU_DEP_2)
	v_add_co_u32 v3, vcc_lo, v3, v14
	v_add_co_ci_u32_e32 v3, vcc_lo, v12, v15, vcc_lo
	v_add_co_ci_u32_e32 v12, vcc_lo, 0, v20, vcc_lo
	s_delay_alu instid0(VALU_DEP_2) | instskip(NEXT) | instid1(VALU_DEP_2)
	v_add_co_u32 v3, vcc_lo, v3, v19
	v_add_co_ci_u32_e32 v14, vcc_lo, 0, v12, vcc_lo
	s_delay_alu instid0(VALU_DEP_2) | instskip(SKIP_1) | instid1(VALU_DEP_3)
	v_mul_lo_u32 v15, s43, v3
	v_mad_u64_u32 v[12:13], null, s42, v3, 0
	v_mul_lo_u32 v19, s42, v14
	s_delay_alu instid0(VALU_DEP_2) | instskip(NEXT) | instid1(VALU_DEP_2)
	v_sub_co_u32 v12, vcc_lo, v22, v12
	v_add3_u32 v13, v13, v19, v15
	s_delay_alu instid0(VALU_DEP_1) | instskip(NEXT) | instid1(VALU_DEP_1)
	v_sub_nc_u32_e32 v15, v24, v13
	v_subrev_co_ci_u32_e64 v15, s0, s43, v15, vcc_lo
	v_add_co_u32 v19, s0, v3, 2
	s_delay_alu instid0(VALU_DEP_1) | instskip(SKIP_3) | instid1(VALU_DEP_3)
	v_add_co_ci_u32_e64 v20, s0, 0, v14, s0
	v_sub_co_u32 v22, s0, v12, s42
	v_sub_co_ci_u32_e32 v13, vcc_lo, v24, v13, vcc_lo
	v_subrev_co_ci_u32_e64 v15, s0, 0, v15, s0
	v_cmp_le_u32_e32 vcc_lo, s42, v22
	s_delay_alu instid0(VALU_DEP_3) | instskip(SKIP_1) | instid1(VALU_DEP_4)
	v_cmp_eq_u32_e64 s0, s43, v13
	v_cndmask_b32_e64 v22, 0, -1, vcc_lo
	v_cmp_le_u32_e32 vcc_lo, s43, v15
	v_cndmask_b32_e64 v23, 0, -1, vcc_lo
	v_cmp_le_u32_e32 vcc_lo, s42, v12
	;; [unrolled: 2-line block ×3, first 2 shown]
	v_cndmask_b32_e64 v24, 0, -1, vcc_lo
	v_cmp_eq_u32_e32 vcc_lo, s43, v15
	s_delay_alu instid0(VALU_DEP_2) | instskip(SKIP_3) | instid1(VALU_DEP_3)
	v_cndmask_b32_e64 v12, v24, v12, s0
	v_cndmask_b32_e32 v15, v23, v22, vcc_lo
	v_add_co_u32 v22, vcc_lo, v3, 1
	v_add_co_ci_u32_e32 v23, vcc_lo, 0, v14, vcc_lo
	v_cmp_ne_u32_e32 vcc_lo, 0, v15
	s_delay_alu instid0(VALU_DEP_2) | instskip(NEXT) | instid1(VALU_DEP_4)
	v_cndmask_b32_e32 v13, v23, v20, vcc_lo
	v_cndmask_b32_e32 v15, v22, v19, vcc_lo
	v_cmp_ne_u32_e32 vcc_lo, 0, v12
	v_xor_b32_e32 v19, s40, v21
	s_delay_alu instid0(VALU_DEP_3) | instskip(NEXT) | instid1(VALU_DEP_1)
	v_dual_cndmask_b32 v3, v3, v15 :: v_dual_cndmask_b32 v12, v14, v13
	v_xor_b32_e32 v3, v3, v19
	s_delay_alu instid0(VALU_DEP_2) | instskip(NEXT) | instid1(VALU_DEP_2)
	v_xor_b32_e32 v13, v12, v19
	v_sub_co_u32 v12, vcc_lo, v3, v19
	s_delay_alu instid0(VALU_DEP_2)
	v_sub_co_ci_u32_e32 v13, vcc_lo, v13, v19, vcc_lo
.LBB46_27:                              ;   in Loop: Header=BB46_25 Depth=2
	s_and_not1_saveexec_b32 s0, s27
	s_cbranch_execz .LBB46_24
; %bb.28:                               ;   in Loop: Header=BB46_25 Depth=2
	v_cvt_f32_u32_e32 v3, s38
	s_sub_i32 s27, 0, s38
	s_delay_alu instid0(VALU_DEP_1) | instskip(SKIP_2) | instid1(VALU_DEP_1)
	v_rcp_iflag_f32_e32 v3, v3
	s_waitcnt_depctr 0xfff
	v_mul_f32_e32 v3, 0x4f7ffffe, v3
	v_cvt_u32_f32_e32 v3, v3
	s_delay_alu instid0(VALU_DEP_1) | instskip(NEXT) | instid1(VALU_DEP_1)
	v_mul_lo_u32 v12, s27, v3
	v_mul_hi_u32 v12, v3, v12
	s_delay_alu instid0(VALU_DEP_1) | instskip(NEXT) | instid1(VALU_DEP_1)
	v_add_nc_u32_e32 v3, v3, v12
	v_mul_hi_u32 v3, v8, v3
	s_delay_alu instid0(VALU_DEP_1) | instskip(SKIP_1) | instid1(VALU_DEP_2)
	v_mul_lo_u32 v12, v3, s38
	v_add_nc_u32_e32 v13, 1, v3
	v_sub_nc_u32_e32 v12, v8, v12
	s_delay_alu instid0(VALU_DEP_1) | instskip(SKIP_1) | instid1(VALU_DEP_2)
	v_subrev_nc_u32_e32 v14, s38, v12
	v_cmp_le_u32_e32 vcc_lo, s38, v12
	v_dual_cndmask_b32 v12, v12, v14 :: v_dual_cndmask_b32 v3, v3, v13
	s_delay_alu instid0(VALU_DEP_1) | instskip(NEXT) | instid1(VALU_DEP_2)
	v_cmp_le_u32_e32 vcc_lo, s38, v12
	v_add_nc_u32_e32 v13, 1, v3
	s_delay_alu instid0(VALU_DEP_1)
	v_dual_cndmask_b32 v12, v3, v13 :: v_dual_mov_b32 v13, v2
	s_branch .LBB46_24
.LBB46_29:
	s_nop 0
	s_sendmsg sendmsg(MSG_DEALLOC_VGPRS)
	s_endpgm
	.section	.rodata,"a",@progbits
	.p2align	6, 0x0
	.amdhsa_kernel _ZN2at6native16triu_tril_kernelIN3c108BFloat16ElLb0ELi4ELb1EEEvNS_4cuda6detail10TensorInfoIT_T0_EENS6_IKS7_S8_EEllS8_
		.amdhsa_group_segment_fixed_size 0
		.amdhsa_private_segment_fixed_size 0
		.amdhsa_kernarg_size 1112
		.amdhsa_user_sgpr_count 15
		.amdhsa_user_sgpr_dispatch_ptr 0
		.amdhsa_user_sgpr_queue_ptr 0
		.amdhsa_user_sgpr_kernarg_segment_ptr 1
		.amdhsa_user_sgpr_dispatch_id 0
		.amdhsa_user_sgpr_private_segment_size 0
		.amdhsa_wavefront_size32 1
		.amdhsa_uses_dynamic_stack 0
		.amdhsa_enable_private_segment 0
		.amdhsa_system_sgpr_workgroup_id_x 1
		.amdhsa_system_sgpr_workgroup_id_y 0
		.amdhsa_system_sgpr_workgroup_id_z 0
		.amdhsa_system_sgpr_workgroup_info 0
		.amdhsa_system_vgpr_workitem_id 0
		.amdhsa_next_free_vgpr 26
		.amdhsa_next_free_sgpr 45
		.amdhsa_reserve_vcc 1
		.amdhsa_float_round_mode_32 0
		.amdhsa_float_round_mode_16_64 0
		.amdhsa_float_denorm_mode_32 3
		.amdhsa_float_denorm_mode_16_64 3
		.amdhsa_dx10_clamp 1
		.amdhsa_ieee_mode 1
		.amdhsa_fp16_overflow 0
		.amdhsa_workgroup_processor_mode 1
		.amdhsa_memory_ordered 1
		.amdhsa_forward_progress 0
		.amdhsa_shared_vgpr_count 0
		.amdhsa_exception_fp_ieee_invalid_op 0
		.amdhsa_exception_fp_denorm_src 0
		.amdhsa_exception_fp_ieee_div_zero 0
		.amdhsa_exception_fp_ieee_overflow 0
		.amdhsa_exception_fp_ieee_underflow 0
		.amdhsa_exception_fp_ieee_inexact 0
		.amdhsa_exception_int_div_zero 0
	.end_amdhsa_kernel
	.section	.text._ZN2at6native16triu_tril_kernelIN3c108BFloat16ElLb0ELi4ELb1EEEvNS_4cuda6detail10TensorInfoIT_T0_EENS6_IKS7_S8_EEllS8_,"axG",@progbits,_ZN2at6native16triu_tril_kernelIN3c108BFloat16ElLb0ELi4ELb1EEEvNS_4cuda6detail10TensorInfoIT_T0_EENS6_IKS7_S8_EEllS8_,comdat
.Lfunc_end46:
	.size	_ZN2at6native16triu_tril_kernelIN3c108BFloat16ElLb0ELi4ELb1EEEvNS_4cuda6detail10TensorInfoIT_T0_EENS6_IKS7_S8_EEllS8_, .Lfunc_end46-_ZN2at6native16triu_tril_kernelIN3c108BFloat16ElLb0ELi4ELb1EEEvNS_4cuda6detail10TensorInfoIT_T0_EENS6_IKS7_S8_EEllS8_
                                        ; -- End function
	.section	.AMDGPU.csdata,"",@progbits
; Kernel info:
; codeLenInByte = 4100
; NumSgprs: 47
; NumVgprs: 26
; ScratchSize: 0
; MemoryBound: 0
; FloatMode: 240
; IeeeMode: 1
; LDSByteSize: 0 bytes/workgroup (compile time only)
; SGPRBlocks: 5
; VGPRBlocks: 3
; NumSGPRsForWavesPerEU: 47
; NumVGPRsForWavesPerEU: 26
; Occupancy: 16
; WaveLimiterHint : 0
; COMPUTE_PGM_RSRC2:SCRATCH_EN: 0
; COMPUTE_PGM_RSRC2:USER_SGPR: 15
; COMPUTE_PGM_RSRC2:TRAP_HANDLER: 0
; COMPUTE_PGM_RSRC2:TGID_X_EN: 1
; COMPUTE_PGM_RSRC2:TGID_Y_EN: 0
; COMPUTE_PGM_RSRC2:TGID_Z_EN: 0
; COMPUTE_PGM_RSRC2:TIDIG_COMP_CNT: 0
	.section	.text._ZN2at6native16triu_tril_kernelIN3c108BFloat16ElLb0ELi4ELb0EEEvNS_4cuda6detail10TensorInfoIT_T0_EENS6_IKS7_S8_EEllS8_,"axG",@progbits,_ZN2at6native16triu_tril_kernelIN3c108BFloat16ElLb0ELi4ELb0EEEvNS_4cuda6detail10TensorInfoIT_T0_EENS6_IKS7_S8_EEllS8_,comdat
	.protected	_ZN2at6native16triu_tril_kernelIN3c108BFloat16ElLb0ELi4ELb0EEEvNS_4cuda6detail10TensorInfoIT_T0_EENS6_IKS7_S8_EEllS8_ ; -- Begin function _ZN2at6native16triu_tril_kernelIN3c108BFloat16ElLb0ELi4ELb0EEEvNS_4cuda6detail10TensorInfoIT_T0_EENS6_IKS7_S8_EEllS8_
	.globl	_ZN2at6native16triu_tril_kernelIN3c108BFloat16ElLb0ELi4ELb0EEEvNS_4cuda6detail10TensorInfoIT_T0_EENS6_IKS7_S8_EEllS8_
	.p2align	8
	.type	_ZN2at6native16triu_tril_kernelIN3c108BFloat16ElLb0ELi4ELb0EEEvNS_4cuda6detail10TensorInfoIT_T0_EENS6_IKS7_S8_EEllS8_,@function
_ZN2at6native16triu_tril_kernelIN3c108BFloat16ElLb0ELi4ELb0EEEvNS_4cuda6detail10TensorInfoIT_T0_EENS6_IKS7_S8_EEllS8_: ; @_ZN2at6native16triu_tril_kernelIN3c108BFloat16ElLb0ELi4ELb0EEEvNS_4cuda6detail10TensorInfoIT_T0_EENS6_IKS7_S8_EEllS8_
; %bb.0:
	s_clause 0x1
	s_load_b32 s2, s[0:1], 0x364
	s_load_b128 s[4:7], s[0:1], 0x340
	v_mov_b32_e32 v2, 0
	s_add_u32 s8, s0, 0x358
	s_addc_u32 s9, s1, 0
	s_delay_alu instid0(VALU_DEP_1) | instskip(SKIP_3) | instid1(VALU_DEP_1)
	v_mov_b32_e32 v1, v2
	s_waitcnt lgkmcnt(0)
	s_and_b32 s26, s2, 0xffff
	s_mov_b32 s2, exec_lo
	v_mad_u64_u32 v[3:4], null, s26, s15, v[0:1]
	s_delay_alu instid0(VALU_DEP_1) | instskip(NEXT) | instid1(VALU_DEP_1)
	v_lshlrev_b64 v[0:1], 2, v[3:4]
	v_cmpx_gt_i64_e64 s[6:7], v[0:1]
	s_cbranch_execz .LBB47_32
; %bb.1:
	s_clause 0x1
	s_load_b32 s24, s[0:1], 0x338
	s_load_b64 s[2:3], s[0:1], 0x350
	s_add_u32 s10, s0, 0x1a0
	s_addc_u32 s11, s1, 0
	s_load_b32 s27, s[8:9], 0x0
	s_load_b64 s[20:21], s[0:1], 0x1a0
	s_waitcnt lgkmcnt(0)
	s_ashr_i32 s25, s24, 31
	s_add_u32 s36, s0, 0x1a8
	s_addc_u32 s37, s1, 0
	s_lshl_b64 s[8:9], s[24:25], 3
	v_cvt_f32_u32_e32 v3, s2
	s_add_u32 s12, s8, -16
	s_addc_u32 s13, s9, -1
	s_add_u32 s16, s36, s12
	s_addc_u32 s17, s37, s13
	s_add_u32 s8, s10, s12
	s_addc_u32 s9, s11, s13
	s_add_u32 s28, s0, 0xd0
	s_load_b128 s[8:11], s[8:9], 0xd0
	s_addc_u32 s29, s1, 0
	s_add_u32 s12, s28, s12
	s_addc_u32 s13, s29, s13
	s_clause 0x2
	s_load_b128 s[12:15], s[12:13], 0x0
	s_load_b128 s[16:19], s[16:17], 0x0
	s_load_b64 s[22:23], s[0:1], 0x0
	v_rcp_iflag_f32_e32 v3, v3
	s_add_i32 s34, s24, -3
	s_mul_i32 s27, s27, s26
	s_ashr_i32 s35, s34, 31
	v_cmp_gt_i64_e64 s33, s[24:25], 2
	s_lshl_b64 s[30:31], s[34:35], 3
	s_lshl_b32 s50, s27, 2
	s_mov_b32 s1, 0
	s_waitcnt_depctr 0xfff
	v_mul_f32_e32 v3, 0x4f7ffffe, v3
	s_waitcnt lgkmcnt(0)
	s_mul_i32 s0, s11, 6
	s_mul_hi_u32 s26, s10, 6
	s_lshl_b64 s[24:25], s[10:11], 2
	s_add_i32 s52, s26, s0
	s_mul_i32 s0, s15, 6
	s_mul_hi_u32 s38, s14, 6
	s_lshl_b64 s[26:27], s[14:15], 2
	s_add_i32 s54, s38, s0
	s_add_u32 s28, s28, s30
	s_addc_u32 s29, s29, s31
	v_cvt_u32_f32_e32 v18, v3
	s_add_u32 s30, s36, s30
	s_addc_u32 s31, s37, s31
	s_add_u32 s34, s34, 1
	s_mul_i32 s51, s10, 6
	s_mul_i32 s53, s14, 6
	s_addc_u32 s35, s35, 0
	s_ashr_i32 s36, s3, 31
	s_branch .LBB47_3
.LBB47_2:                               ;   in Loop: Header=BB47_3 Depth=1
	s_or_b32 exec_lo, exec_lo, s0
	v_add_co_u32 v0, vcc_lo, v0, s50
	v_add_co_ci_u32_e32 v1, vcc_lo, 0, v1, vcc_lo
	s_delay_alu instid0(VALU_DEP_1) | instskip(SKIP_1) | instid1(SALU_CYCLE_1)
	v_cmp_le_i64_e32 vcc_lo, s[6:7], v[0:1]
	s_or_b32 s1, vcc_lo, s1
	s_and_not1_b32 exec_lo, exec_lo, s1
	s_cbranch_execz .LBB47_32
.LBB47_3:                               ; =>This Loop Header: Depth=1
                                        ;     Child Loop BB47_28 Depth 2
	v_or_b32_e32 v3, s3, v1
                                        ; implicit-def: $vgpr8_vgpr9
	s_mov_b32 s0, exec_lo
	s_delay_alu instid0(VALU_DEP_1)
	v_cmpx_ne_u64_e32 0, v[2:3]
	s_xor_b32 s40, exec_lo, s0
	s_cbranch_execz .LBB47_5
; %bb.4:                                ;   in Loop: Header=BB47_3 Depth=1
	s_add_u32 s38, s2, s36
	s_mov_b32 s37, s36
	s_addc_u32 s39, s3, s36
	s_delay_alu instid0(SALU_CYCLE_1) | instskip(NEXT) | instid1(SALU_CYCLE_1)
	s_xor_b64 s[38:39], s[38:39], s[36:37]
	v_cvt_f32_u32_e32 v3, s38
	v_cvt_f32_u32_e32 v4, s39
	s_sub_u32 s0, 0, s38
	s_subb_u32 s37, 0, s39
	s_delay_alu instid0(VALU_DEP_1) | instskip(NEXT) | instid1(VALU_DEP_1)
	v_fmac_f32_e32 v3, 0x4f800000, v4
	v_rcp_f32_e32 v3, v3
	s_waitcnt_depctr 0xfff
	v_mul_f32_e32 v3, 0x5f7ffffc, v3
	s_delay_alu instid0(VALU_DEP_1) | instskip(NEXT) | instid1(VALU_DEP_1)
	v_mul_f32_e32 v4, 0x2f800000, v3
	v_trunc_f32_e32 v4, v4
	s_delay_alu instid0(VALU_DEP_1) | instskip(SKIP_1) | instid1(VALU_DEP_2)
	v_fmac_f32_e32 v3, 0xcf800000, v4
	v_cvt_u32_f32_e32 v4, v4
	v_cvt_u32_f32_e32 v3, v3
	s_delay_alu instid0(VALU_DEP_2) | instskip(NEXT) | instid1(VALU_DEP_2)
	v_mul_lo_u32 v5, s0, v4
	v_mul_hi_u32 v6, s0, v3
	v_mul_lo_u32 v7, s37, v3
	s_delay_alu instid0(VALU_DEP_2) | instskip(SKIP_1) | instid1(VALU_DEP_2)
	v_add_nc_u32_e32 v5, v6, v5
	v_mul_lo_u32 v6, s0, v3
	v_add_nc_u32_e32 v5, v5, v7
	s_delay_alu instid0(VALU_DEP_2) | instskip(NEXT) | instid1(VALU_DEP_2)
	v_mul_hi_u32 v7, v3, v6
	v_mul_lo_u32 v8, v3, v5
	v_mul_hi_u32 v9, v3, v5
	v_mul_hi_u32 v10, v4, v6
	v_mul_lo_u32 v6, v4, v6
	v_mul_hi_u32 v11, v4, v5
	v_mul_lo_u32 v5, v4, v5
	v_add_co_u32 v7, vcc_lo, v7, v8
	v_add_co_ci_u32_e32 v8, vcc_lo, 0, v9, vcc_lo
	s_delay_alu instid0(VALU_DEP_2) | instskip(NEXT) | instid1(VALU_DEP_2)
	v_add_co_u32 v6, vcc_lo, v7, v6
	v_add_co_ci_u32_e32 v6, vcc_lo, v8, v10, vcc_lo
	v_add_co_ci_u32_e32 v7, vcc_lo, 0, v11, vcc_lo
	v_ashrrev_i32_e32 v10, 31, v1
	s_delay_alu instid0(VALU_DEP_3) | instskip(NEXT) | instid1(VALU_DEP_3)
	v_add_co_u32 v5, vcc_lo, v6, v5
	v_add_co_ci_u32_e32 v6, vcc_lo, 0, v7, vcc_lo
	s_delay_alu instid0(VALU_DEP_2) | instskip(NEXT) | instid1(VALU_DEP_2)
	v_add_co_u32 v3, vcc_lo, v3, v5
	v_add_co_ci_u32_e32 v4, vcc_lo, v4, v6, vcc_lo
	s_delay_alu instid0(VALU_DEP_2) | instskip(SKIP_1) | instid1(VALU_DEP_3)
	v_mul_hi_u32 v5, s0, v3
	v_mul_lo_u32 v7, s37, v3
	v_mul_lo_u32 v6, s0, v4
	s_delay_alu instid0(VALU_DEP_1) | instskip(SKIP_1) | instid1(VALU_DEP_2)
	v_add_nc_u32_e32 v5, v5, v6
	v_mul_lo_u32 v6, s0, v3
	v_add_nc_u32_e32 v5, v5, v7
	s_delay_alu instid0(VALU_DEP_2) | instskip(NEXT) | instid1(VALU_DEP_2)
	v_mul_hi_u32 v7, v3, v6
	v_mul_lo_u32 v8, v3, v5
	v_mul_hi_u32 v9, v3, v5
	v_mul_hi_u32 v11, v4, v6
	v_mul_lo_u32 v6, v4, v6
	v_mul_hi_u32 v12, v4, v5
	v_mul_lo_u32 v5, v4, v5
	v_add_co_u32 v7, vcc_lo, v7, v8
	v_add_co_ci_u32_e32 v8, vcc_lo, 0, v9, vcc_lo
	s_delay_alu instid0(VALU_DEP_2) | instskip(NEXT) | instid1(VALU_DEP_2)
	v_add_co_u32 v6, vcc_lo, v7, v6
	v_add_co_ci_u32_e32 v6, vcc_lo, v8, v11, vcc_lo
	v_add_co_ci_u32_e32 v7, vcc_lo, 0, v12, vcc_lo
	v_add_co_u32 v8, vcc_lo, v0, v10
	v_add_co_ci_u32_e32 v9, vcc_lo, v1, v10, vcc_lo
	s_delay_alu instid0(VALU_DEP_4) | instskip(NEXT) | instid1(VALU_DEP_4)
	v_add_co_u32 v5, vcc_lo, v6, v5
	v_add_co_ci_u32_e32 v6, vcc_lo, 0, v7, vcc_lo
	s_delay_alu instid0(VALU_DEP_4) | instskip(NEXT) | instid1(VALU_DEP_3)
	v_xor_b32_e32 v11, v8, v10
	v_add_co_u32 v7, vcc_lo, v3, v5
	s_delay_alu instid0(VALU_DEP_3) | instskip(SKIP_1) | instid1(VALU_DEP_3)
	v_add_co_ci_u32_e32 v12, vcc_lo, v4, v6, vcc_lo
	v_xor_b32_e32 v9, v9, v10
	v_mul_hi_u32 v13, v11, v7
	s_delay_alu instid0(VALU_DEP_3) | instskip(NEXT) | instid1(VALU_DEP_3)
	v_mad_u64_u32 v[3:4], null, v11, v12, 0
	v_mad_u64_u32 v[5:6], null, v9, v7, 0
	;; [unrolled: 1-line block ×3, first 2 shown]
	s_delay_alu instid0(VALU_DEP_3) | instskip(NEXT) | instid1(VALU_DEP_4)
	v_add_co_u32 v3, vcc_lo, v13, v3
	v_add_co_ci_u32_e32 v4, vcc_lo, 0, v4, vcc_lo
	s_delay_alu instid0(VALU_DEP_2) | instskip(NEXT) | instid1(VALU_DEP_2)
	v_add_co_u32 v3, vcc_lo, v3, v5
	v_add_co_ci_u32_e32 v3, vcc_lo, v4, v6, vcc_lo
	v_add_co_ci_u32_e32 v4, vcc_lo, 0, v8, vcc_lo
	s_delay_alu instid0(VALU_DEP_2) | instskip(NEXT) | instid1(VALU_DEP_2)
	v_add_co_u32 v5, vcc_lo, v3, v7
	v_add_co_ci_u32_e32 v6, vcc_lo, 0, v4, vcc_lo
	s_delay_alu instid0(VALU_DEP_2) | instskip(SKIP_1) | instid1(VALU_DEP_3)
	v_mul_lo_u32 v7, s39, v5
	v_mad_u64_u32 v[3:4], null, s38, v5, 0
	v_mul_lo_u32 v8, s38, v6
	s_delay_alu instid0(VALU_DEP_2) | instskip(NEXT) | instid1(VALU_DEP_2)
	v_sub_co_u32 v3, vcc_lo, v11, v3
	v_add3_u32 v4, v4, v8, v7
	s_delay_alu instid0(VALU_DEP_1) | instskip(NEXT) | instid1(VALU_DEP_1)
	v_sub_nc_u32_e32 v7, v9, v4
	v_subrev_co_ci_u32_e64 v7, s0, s39, v7, vcc_lo
	v_add_co_u32 v8, s0, v5, 2
	s_delay_alu instid0(VALU_DEP_1) | instskip(SKIP_3) | instid1(VALU_DEP_3)
	v_add_co_ci_u32_e64 v11, s0, 0, v6, s0
	v_sub_co_u32 v12, s0, v3, s38
	v_sub_co_ci_u32_e32 v4, vcc_lo, v9, v4, vcc_lo
	v_subrev_co_ci_u32_e64 v7, s0, 0, v7, s0
	v_cmp_le_u32_e32 vcc_lo, s38, v12
	s_delay_alu instid0(VALU_DEP_3) | instskip(SKIP_1) | instid1(VALU_DEP_4)
	v_cmp_eq_u32_e64 s0, s39, v4
	v_cndmask_b32_e64 v9, 0, -1, vcc_lo
	v_cmp_le_u32_e32 vcc_lo, s39, v7
	v_cndmask_b32_e64 v12, 0, -1, vcc_lo
	v_cmp_le_u32_e32 vcc_lo, s38, v3
	;; [unrolled: 2-line block ×3, first 2 shown]
	v_cndmask_b32_e64 v13, 0, -1, vcc_lo
	v_cmp_eq_u32_e32 vcc_lo, s39, v7
	s_delay_alu instid0(VALU_DEP_2) | instskip(SKIP_3) | instid1(VALU_DEP_3)
	v_cndmask_b32_e64 v3, v13, v3, s0
	v_cndmask_b32_e32 v7, v12, v9, vcc_lo
	v_add_co_u32 v9, vcc_lo, v5, 1
	v_add_co_ci_u32_e32 v12, vcc_lo, 0, v6, vcc_lo
	v_cmp_ne_u32_e32 vcc_lo, 0, v7
	s_delay_alu instid0(VALU_DEP_2) | instskip(SKIP_2) | instid1(VALU_DEP_3)
	v_dual_cndmask_b32 v4, v12, v11 :: v_dual_cndmask_b32 v7, v9, v8
	v_cmp_ne_u32_e32 vcc_lo, 0, v3
	v_xor_b32_e32 v3, s36, v10
	v_dual_cndmask_b32 v5, v5, v7 :: v_dual_cndmask_b32 v4, v6, v4
	s_delay_alu instid0(VALU_DEP_1) | instskip(NEXT) | instid1(VALU_DEP_2)
	v_xor_b32_e32 v5, v5, v3
	v_xor_b32_e32 v4, v4, v3
	s_delay_alu instid0(VALU_DEP_2) | instskip(NEXT) | instid1(VALU_DEP_2)
	v_sub_co_u32 v8, vcc_lo, v5, v3
	v_sub_co_ci_u32_e32 v9, vcc_lo, v4, v3, vcc_lo
.LBB47_5:                               ;   in Loop: Header=BB47_3 Depth=1
	s_and_not1_saveexec_b32 s0, s40
	s_cbranch_execz .LBB47_7
; %bb.6:                                ;   in Loop: Header=BB47_3 Depth=1
	s_sub_i32 s37, 0, s2
	v_mov_b32_e32 v9, v2
	v_mul_lo_u32 v3, s37, v18
	s_delay_alu instid0(VALU_DEP_1) | instskip(NEXT) | instid1(VALU_DEP_1)
	v_mul_hi_u32 v3, v18, v3
	v_add_nc_u32_e32 v3, v18, v3
	s_delay_alu instid0(VALU_DEP_1) | instskip(NEXT) | instid1(VALU_DEP_1)
	v_mul_hi_u32 v3, v0, v3
	v_mul_lo_u32 v4, v3, s2
	v_add_nc_u32_e32 v5, 1, v3
	s_delay_alu instid0(VALU_DEP_2) | instskip(NEXT) | instid1(VALU_DEP_1)
	v_sub_nc_u32_e32 v4, v0, v4
	v_subrev_nc_u32_e32 v6, s2, v4
	v_cmp_le_u32_e32 vcc_lo, s2, v4
	s_delay_alu instid0(VALU_DEP_2) | instskip(NEXT) | instid1(VALU_DEP_1)
	v_dual_cndmask_b32 v4, v4, v6 :: v_dual_cndmask_b32 v3, v3, v5
	v_cmp_le_u32_e32 vcc_lo, s2, v4
	s_delay_alu instid0(VALU_DEP_2) | instskip(NEXT) | instid1(VALU_DEP_1)
	v_add_nc_u32_e32 v5, 1, v3
	v_cndmask_b32_e32 v8, v3, v5, vcc_lo
.LBB47_7:                               ;   in Loop: Header=BB47_3 Depth=1
	s_or_b32 exec_lo, exec_lo, s0
	s_delay_alu instid0(VALU_DEP_1) | instskip(SKIP_1) | instid1(VALU_DEP_1)
	v_or_b32_e32 v3, s17, v9
                                        ; implicit-def: $vgpr6_vgpr7
	s_mov_b32 s0, exec_lo
	v_cmpx_ne_u64_e32 0, v[2:3]
	s_xor_b32 s37, exec_lo, s0
	s_cbranch_execz .LBB47_9
; %bb.8:                                ;   in Loop: Header=BB47_3 Depth=1
	s_ashr_i32 s38, s17, 31
	s_delay_alu instid0(SALU_CYCLE_1) | instskip(SKIP_2) | instid1(SALU_CYCLE_1)
	s_add_u32 s40, s16, s38
	s_mov_b32 s39, s38
	s_addc_u32 s41, s17, s38
	s_xor_b64 s[40:41], s[40:41], s[38:39]
	s_delay_alu instid0(SALU_CYCLE_1) | instskip(SKIP_3) | instid1(VALU_DEP_1)
	v_cvt_f32_u32_e32 v3, s40
	v_cvt_f32_u32_e32 v4, s41
	s_sub_u32 s0, 0, s40
	s_subb_u32 s39, 0, s41
	v_fmac_f32_e32 v3, 0x4f800000, v4
	s_delay_alu instid0(VALU_DEP_1) | instskip(SKIP_2) | instid1(VALU_DEP_1)
	v_rcp_f32_e32 v3, v3
	s_waitcnt_depctr 0xfff
	v_mul_f32_e32 v3, 0x5f7ffffc, v3
	v_mul_f32_e32 v4, 0x2f800000, v3
	s_delay_alu instid0(VALU_DEP_1) | instskip(NEXT) | instid1(VALU_DEP_1)
	v_trunc_f32_e32 v4, v4
	v_fmac_f32_e32 v3, 0xcf800000, v4
	v_cvt_u32_f32_e32 v4, v4
	s_delay_alu instid0(VALU_DEP_2) | instskip(NEXT) | instid1(VALU_DEP_2)
	v_cvt_u32_f32_e32 v3, v3
	v_mul_lo_u32 v5, s0, v4
	s_delay_alu instid0(VALU_DEP_2) | instskip(SKIP_1) | instid1(VALU_DEP_2)
	v_mul_hi_u32 v6, s0, v3
	v_mul_lo_u32 v7, s39, v3
	v_add_nc_u32_e32 v5, v6, v5
	v_mul_lo_u32 v6, s0, v3
	s_delay_alu instid0(VALU_DEP_2) | instskip(NEXT) | instid1(VALU_DEP_2)
	v_add_nc_u32_e32 v5, v5, v7
	v_mul_hi_u32 v7, v3, v6
	s_delay_alu instid0(VALU_DEP_2)
	v_mul_lo_u32 v10, v3, v5
	v_mul_hi_u32 v11, v3, v5
	v_mul_hi_u32 v12, v4, v6
	v_mul_lo_u32 v6, v4, v6
	v_mul_hi_u32 v13, v4, v5
	v_mul_lo_u32 v5, v4, v5
	v_add_co_u32 v7, vcc_lo, v7, v10
	v_add_co_ci_u32_e32 v10, vcc_lo, 0, v11, vcc_lo
	s_delay_alu instid0(VALU_DEP_2) | instskip(NEXT) | instid1(VALU_DEP_2)
	v_add_co_u32 v6, vcc_lo, v7, v6
	v_add_co_ci_u32_e32 v6, vcc_lo, v10, v12, vcc_lo
	v_add_co_ci_u32_e32 v7, vcc_lo, 0, v13, vcc_lo
	v_ashrrev_i32_e32 v12, 31, v9
	s_delay_alu instid0(VALU_DEP_3) | instskip(NEXT) | instid1(VALU_DEP_3)
	v_add_co_u32 v5, vcc_lo, v6, v5
	v_add_co_ci_u32_e32 v6, vcc_lo, 0, v7, vcc_lo
	s_delay_alu instid0(VALU_DEP_2) | instskip(NEXT) | instid1(VALU_DEP_2)
	v_add_co_u32 v3, vcc_lo, v3, v5
	v_add_co_ci_u32_e32 v4, vcc_lo, v4, v6, vcc_lo
	s_delay_alu instid0(VALU_DEP_2) | instskip(SKIP_1) | instid1(VALU_DEP_3)
	v_mul_hi_u32 v5, s0, v3
	v_mul_lo_u32 v7, s39, v3
	v_mul_lo_u32 v6, s0, v4
	s_delay_alu instid0(VALU_DEP_1) | instskip(SKIP_1) | instid1(VALU_DEP_2)
	v_add_nc_u32_e32 v5, v5, v6
	v_mul_lo_u32 v6, s0, v3
	v_add_nc_u32_e32 v5, v5, v7
	s_delay_alu instid0(VALU_DEP_2) | instskip(NEXT) | instid1(VALU_DEP_2)
	v_mul_hi_u32 v7, v3, v6
	v_mul_lo_u32 v10, v3, v5
	v_mul_hi_u32 v11, v3, v5
	v_mul_hi_u32 v13, v4, v6
	v_mul_lo_u32 v6, v4, v6
	v_mul_hi_u32 v14, v4, v5
	v_mul_lo_u32 v5, v4, v5
	v_add_co_u32 v7, vcc_lo, v7, v10
	v_add_co_ci_u32_e32 v10, vcc_lo, 0, v11, vcc_lo
	s_delay_alu instid0(VALU_DEP_2) | instskip(NEXT) | instid1(VALU_DEP_2)
	v_add_co_u32 v6, vcc_lo, v7, v6
	v_add_co_ci_u32_e32 v6, vcc_lo, v10, v13, vcc_lo
	v_add_co_ci_u32_e32 v7, vcc_lo, 0, v14, vcc_lo
	v_add_co_u32 v10, vcc_lo, v8, v12
	v_add_co_ci_u32_e32 v11, vcc_lo, v9, v12, vcc_lo
	s_delay_alu instid0(VALU_DEP_4) | instskip(NEXT) | instid1(VALU_DEP_4)
	v_add_co_u32 v5, vcc_lo, v6, v5
	v_add_co_ci_u32_e32 v6, vcc_lo, 0, v7, vcc_lo
	s_delay_alu instid0(VALU_DEP_4) | instskip(NEXT) | instid1(VALU_DEP_3)
	v_xor_b32_e32 v7, v10, v12
	v_add_co_u32 v10, vcc_lo, v3, v5
	s_delay_alu instid0(VALU_DEP_3) | instskip(SKIP_1) | instid1(VALU_DEP_3)
	v_add_co_ci_u32_e32 v13, vcc_lo, v4, v6, vcc_lo
	v_xor_b32_e32 v14, v11, v12
	v_mul_hi_u32 v15, v7, v10
	s_delay_alu instid0(VALU_DEP_3) | instskip(NEXT) | instid1(VALU_DEP_3)
	v_mad_u64_u32 v[3:4], null, v7, v13, 0
	v_mad_u64_u32 v[5:6], null, v14, v10, 0
	v_mad_u64_u32 v[10:11], null, v14, v13, 0
	s_delay_alu instid0(VALU_DEP_3) | instskip(NEXT) | instid1(VALU_DEP_4)
	v_add_co_u32 v3, vcc_lo, v15, v3
	v_add_co_ci_u32_e32 v4, vcc_lo, 0, v4, vcc_lo
	s_delay_alu instid0(VALU_DEP_2) | instskip(NEXT) | instid1(VALU_DEP_2)
	v_add_co_u32 v3, vcc_lo, v3, v5
	v_add_co_ci_u32_e32 v3, vcc_lo, v4, v6, vcc_lo
	v_add_co_ci_u32_e32 v4, vcc_lo, 0, v11, vcc_lo
	s_delay_alu instid0(VALU_DEP_2) | instskip(NEXT) | instid1(VALU_DEP_2)
	v_add_co_u32 v5, vcc_lo, v3, v10
	v_add_co_ci_u32_e32 v6, vcc_lo, 0, v4, vcc_lo
	s_delay_alu instid0(VALU_DEP_2) | instskip(SKIP_1) | instid1(VALU_DEP_3)
	v_mul_lo_u32 v10, s41, v5
	v_mad_u64_u32 v[3:4], null, s40, v5, 0
	v_mul_lo_u32 v11, s40, v6
	s_delay_alu instid0(VALU_DEP_2) | instskip(NEXT) | instid1(VALU_DEP_2)
	v_sub_co_u32 v3, vcc_lo, v7, v3
	v_add3_u32 v4, v4, v11, v10
	s_delay_alu instid0(VALU_DEP_1) | instskip(NEXT) | instid1(VALU_DEP_1)
	v_sub_nc_u32_e32 v10, v14, v4
	v_subrev_co_ci_u32_e64 v7, s0, s41, v10, vcc_lo
	v_add_co_u32 v10, s0, v5, 2
	s_delay_alu instid0(VALU_DEP_1) | instskip(SKIP_3) | instid1(VALU_DEP_3)
	v_add_co_ci_u32_e64 v11, s0, 0, v6, s0
	v_sub_co_u32 v13, s0, v3, s40
	v_sub_co_ci_u32_e32 v4, vcc_lo, v14, v4, vcc_lo
	v_subrev_co_ci_u32_e64 v7, s0, 0, v7, s0
	v_cmp_le_u32_e32 vcc_lo, s40, v13
	s_delay_alu instid0(VALU_DEP_3) | instskip(SKIP_1) | instid1(VALU_DEP_4)
	v_cmp_eq_u32_e64 s0, s41, v4
	v_cndmask_b32_e64 v13, 0, -1, vcc_lo
	v_cmp_le_u32_e32 vcc_lo, s41, v7
	v_cndmask_b32_e64 v14, 0, -1, vcc_lo
	v_cmp_le_u32_e32 vcc_lo, s40, v3
	v_cndmask_b32_e64 v3, 0, -1, vcc_lo
	v_cmp_le_u32_e32 vcc_lo, s41, v4
	v_cndmask_b32_e64 v15, 0, -1, vcc_lo
	v_cmp_eq_u32_e32 vcc_lo, s41, v7
	s_delay_alu instid0(VALU_DEP_2) | instskip(SKIP_3) | instid1(VALU_DEP_3)
	v_cndmask_b32_e64 v3, v15, v3, s0
	v_cndmask_b32_e32 v7, v14, v13, vcc_lo
	v_add_co_u32 v13, vcc_lo, v5, 1
	v_add_co_ci_u32_e32 v14, vcc_lo, 0, v6, vcc_lo
	v_cmp_ne_u32_e32 vcc_lo, 0, v7
	s_delay_alu instid0(VALU_DEP_2) | instskip(SKIP_2) | instid1(VALU_DEP_3)
	v_dual_cndmask_b32 v4, v14, v11 :: v_dual_cndmask_b32 v7, v13, v10
	v_cmp_ne_u32_e32 vcc_lo, 0, v3
	v_xor_b32_e32 v3, s38, v12
	v_dual_cndmask_b32 v5, v5, v7 :: v_dual_cndmask_b32 v4, v6, v4
	s_delay_alu instid0(VALU_DEP_1) | instskip(NEXT) | instid1(VALU_DEP_2)
	v_xor_b32_e32 v5, v5, v3
	v_xor_b32_e32 v4, v4, v3
	s_delay_alu instid0(VALU_DEP_2) | instskip(NEXT) | instid1(VALU_DEP_2)
	v_sub_co_u32 v6, vcc_lo, v5, v3
	v_sub_co_ci_u32_e32 v7, vcc_lo, v4, v3, vcc_lo
.LBB47_9:                               ;   in Loop: Header=BB47_3 Depth=1
	s_and_not1_saveexec_b32 s0, s37
	s_cbranch_execz .LBB47_11
; %bb.10:                               ;   in Loop: Header=BB47_3 Depth=1
	v_cvt_f32_u32_e32 v3, s16
	s_sub_i32 s37, 0, s16
	v_mov_b32_e32 v7, v2
	s_delay_alu instid0(VALU_DEP_2) | instskip(SKIP_2) | instid1(VALU_DEP_1)
	v_rcp_iflag_f32_e32 v3, v3
	s_waitcnt_depctr 0xfff
	v_mul_f32_e32 v3, 0x4f7ffffe, v3
	v_cvt_u32_f32_e32 v3, v3
	s_delay_alu instid0(VALU_DEP_1) | instskip(NEXT) | instid1(VALU_DEP_1)
	v_mul_lo_u32 v4, s37, v3
	v_mul_hi_u32 v4, v3, v4
	s_delay_alu instid0(VALU_DEP_1) | instskip(NEXT) | instid1(VALU_DEP_1)
	v_add_nc_u32_e32 v3, v3, v4
	v_mul_hi_u32 v3, v8, v3
	s_delay_alu instid0(VALU_DEP_1) | instskip(SKIP_1) | instid1(VALU_DEP_2)
	v_mul_lo_u32 v4, v3, s16
	v_add_nc_u32_e32 v5, 1, v3
	v_sub_nc_u32_e32 v4, v8, v4
	s_delay_alu instid0(VALU_DEP_1) | instskip(SKIP_1) | instid1(VALU_DEP_2)
	v_subrev_nc_u32_e32 v6, s16, v4
	v_cmp_le_u32_e32 vcc_lo, s16, v4
	v_dual_cndmask_b32 v4, v4, v6 :: v_dual_cndmask_b32 v3, v3, v5
	s_delay_alu instid0(VALU_DEP_1) | instskip(NEXT) | instid1(VALU_DEP_2)
	v_cmp_le_u32_e32 vcc_lo, s16, v4
	v_add_nc_u32_e32 v5, 1, v3
	s_delay_alu instid0(VALU_DEP_1)
	v_cndmask_b32_e32 v6, v3, v5, vcc_lo
.LBB47_11:                              ;   in Loop: Header=BB47_3 Depth=1
	s_or_b32 exec_lo, exec_lo, s0
	v_mul_lo_u32 v5, v9, s2
	v_mul_lo_u32 v12, v8, s3
	v_mad_u64_u32 v[3:4], null, v8, s2, 0
	v_mul_lo_u32 v13, v7, s16
	v_mul_lo_u32 v14, v6, s17
	v_mad_u64_u32 v[10:11], null, v6, s16, 0
	s_mov_b64 s[38:39], s[34:35]
	s_mov_b64 s[40:41], s[30:31]
	s_delay_alu instid0(VALU_DEP_4) | instskip(SKIP_2) | instid1(VALU_DEP_3)
	v_add3_u32 v5, v4, v12, v5
	v_sub_co_u32 v4, vcc_lo, v0, v3
	s_mov_b64 s[42:43], s[28:29]
	v_add3_u32 v3, v11, v14, v13
	s_delay_alu instid0(VALU_DEP_3) | instskip(NEXT) | instid1(VALU_DEP_3)
	v_sub_co_ci_u32_e32 v5, vcc_lo, v1, v5, vcc_lo
	v_mul_lo_u32 v11, s11, v4
	v_mul_lo_u32 v12, s15, v4
	v_mad_u64_u32 v[14:15], null, s14, v4, 0
	s_delay_alu instid0(VALU_DEP_4)
	v_mul_lo_u32 v13, s10, v5
	v_mul_lo_u32 v16, s14, v5
	v_mad_u64_u32 v[21:22], null, s10, v4, 0
	v_sub_co_u32 v19, vcc_lo, v8, v10
	v_sub_co_ci_u32_e32 v20, vcc_lo, v9, v3, vcc_lo
	s_and_b32 vcc_lo, exec_lo, s33
	s_delay_alu instid0(VALU_DEP_4) | instskip(NEXT) | instid1(VALU_DEP_4)
	v_add3_u32 v15, v15, v16, v12
	v_add3_u32 v22, v22, v13, v11
	v_mul_lo_u32 v3, s9, v19
	v_mul_lo_u32 v8, s8, v20
	;; [unrolled: 1-line block ×3, first 2 shown]
	v_mad_u64_u32 v[12:13], null, s12, v19, v[14:15]
	v_mul_lo_u32 v10, s13, v19
	v_mad_u64_u32 v[16:17], null, s8, v19, v[21:22]
	s_delay_alu instid0(VALU_DEP_2) | instskip(NEXT) | instid1(VALU_DEP_2)
	v_add3_u32 v13, v10, v13, v9
	v_add3_u32 v17, v3, v17, v8
	v_mov_b32_e32 v8, v12
	s_delay_alu instid0(VALU_DEP_3) | instskip(NEXT) | instid1(VALU_DEP_3)
	v_dual_mov_b32 v10, v16 :: v_dual_mov_b32 v9, v13
	v_mov_b32_e32 v11, v17
	s_cbranch_vccnz .LBB47_28
.LBB47_12:                              ;   in Loop: Header=BB47_3 Depth=1
	v_sub_co_u32 v6, vcc_lo, v4, v19
	v_sub_co_ci_u32_e32 v7, vcc_lo, v5, v20, vcc_lo
	v_dual_mov_b32 v3, 0 :: v_dual_mov_b32 v10, 0
	v_dual_mov_b32 v9, 0 :: v_dual_mov_b32 v8, 0
	s_mov_b32 s0, exec_lo
	s_delay_alu instid0(VALU_DEP_3)
	v_cmpx_ge_i64_e64 s[4:5], v[6:7]
	s_cbranch_execz .LBB47_22
; %bb.13:                               ;   in Loop: Header=BB47_3 Depth=1
	v_dual_mov_b32 v14, 0 :: v_dual_mov_b32 v11, 0
	v_dual_mov_b32 v10, 0 :: v_dual_mov_b32 v3, 0
	s_mov_b32 s37, exec_lo
	v_cmpx_gt_i64_e64 s[18:19], v[4:5]
	s_cbranch_execz .LBB47_21
; %bb.14:                               ;   in Loop: Header=BB47_3 Depth=1
	v_lshlrev_b64 v[8:9], 1, v[16:17]
	v_mov_b32_e32 v14, 0
	s_delay_alu instid0(VALU_DEP_2) | instskip(NEXT) | instid1(VALU_DEP_3)
	v_add_co_u32 v8, vcc_lo, s20, v8
	v_add_co_ci_u32_e32 v9, vcc_lo, s21, v9, vcc_lo
	v_add_co_u32 v10, vcc_lo, v4, 1
	v_add_co_ci_u32_e32 v11, vcc_lo, 0, v5, vcc_lo
	global_load_u16 v3, v[8:9], off
	v_cmp_gt_i64_e32 vcc_lo, s[18:19], v[10:11]
	v_dual_mov_b32 v10, 0 :: v_dual_mov_b32 v11, 0
	s_and_saveexec_b32 s38, vcc_lo
	s_cbranch_execz .LBB47_20
; %bb.15:                               ;   in Loop: Header=BB47_3 Depth=1
	s_lshl_b64 s[40:41], s[10:11], 1
	s_delay_alu instid0(SALU_CYCLE_1)
	v_add_co_u32 v10, vcc_lo, v8, s40
	v_add_co_ci_u32_e32 v11, vcc_lo, s41, v9, vcc_lo
	v_add_co_u32 v14, vcc_lo, v4, 2
	v_add_co_ci_u32_e32 v15, vcc_lo, 0, v5, vcc_lo
	global_load_u16 v10, v[10:11], off
	v_mov_b32_e32 v11, 0
	v_cmp_gt_i64_e32 vcc_lo, s[18:19], v[14:15]
	v_mov_b32_e32 v14, 0
	s_and_saveexec_b32 s39, vcc_lo
	s_cbranch_execz .LBB47_19
; %bb.16:                               ;   in Loop: Header=BB47_3 Depth=1
	v_add_co_u32 v14, vcc_lo, v8, s24
	v_add_co_ci_u32_e32 v15, vcc_lo, s25, v9, vcc_lo
	global_load_u16 v11, v[14:15], off
	v_add_co_u32 v14, vcc_lo, v4, 3
	v_add_co_ci_u32_e32 v15, vcc_lo, 0, v5, vcc_lo
	s_delay_alu instid0(VALU_DEP_1)
	v_cmp_gt_i64_e32 vcc_lo, s[18:19], v[14:15]
	v_mov_b32_e32 v14, 0
	s_and_saveexec_b32 s40, vcc_lo
	s_cbranch_execz .LBB47_18
; %bb.17:                               ;   in Loop: Header=BB47_3 Depth=1
	v_add_co_u32 v8, vcc_lo, v8, s51
	v_add_co_ci_u32_e32 v9, vcc_lo, s52, v9, vcc_lo
	global_load_u16 v14, v[8:9], off
.LBB47_18:                              ;   in Loop: Header=BB47_3 Depth=1
	s_or_b32 exec_lo, exec_lo, s40
.LBB47_19:                              ;   in Loop: Header=BB47_3 Depth=1
	s_delay_alu instid0(SALU_CYCLE_1)
	s_or_b32 exec_lo, exec_lo, s39
.LBB47_20:                              ;   in Loop: Header=BB47_3 Depth=1
	s_delay_alu instid0(SALU_CYCLE_1)
	s_or_b32 exec_lo, exec_lo, s38
.LBB47_21:                              ;   in Loop: Header=BB47_3 Depth=1
	s_delay_alu instid0(SALU_CYCLE_1)
	s_or_b32 exec_lo, exec_lo, s37
	v_add_co_u32 v8, vcc_lo, v6, 1
	v_add_co_ci_u32_e32 v9, vcc_lo, 0, v7, vcc_lo
	v_add_co_u32 v15, vcc_lo, v6, 2
	v_add_co_ci_u32_e32 v16, vcc_lo, 0, v7, vcc_lo
	v_add_co_u32 v6, vcc_lo, v6, 3
	v_add_co_ci_u32_e32 v7, vcc_lo, 0, v7, vcc_lo
	v_cmp_ge_i64_e32 vcc_lo, s[4:5], v[8:9]
	s_waitcnt vmcnt(0)
	v_cndmask_b32_e32 v10, 0, v10, vcc_lo
	v_cmp_ge_i64_e32 vcc_lo, s[4:5], v[15:16]
	v_cndmask_b32_e32 v9, 0, v11, vcc_lo
	v_cmp_ge_i64_e32 vcc_lo, s[4:5], v[6:7]
	v_cndmask_b32_e32 v8, 0, v14, vcc_lo
.LBB47_22:                              ;   in Loop: Header=BB47_3 Depth=1
	s_or_b32 exec_lo, exec_lo, s0
	s_delay_alu instid0(SALU_CYCLE_1)
	s_mov_b32 s0, exec_lo
	v_cmpx_gt_i64_e64 s[18:19], v[4:5]
	s_cbranch_execz .LBB47_2
; %bb.23:                               ;   in Loop: Header=BB47_3 Depth=1
	v_lshlrev_b64 v[6:7], 1, v[12:13]
	v_add_co_u32 v11, vcc_lo, v4, 1
	v_add_co_ci_u32_e32 v12, vcc_lo, 0, v5, vcc_lo
	s_mov_b32 s37, exec_lo
	s_delay_alu instid0(VALU_DEP_3) | instskip(NEXT) | instid1(VALU_DEP_4)
	v_add_co_u32 v6, vcc_lo, s22, v6
	v_add_co_ci_u32_e32 v7, vcc_lo, s23, v7, vcc_lo
	global_store_b16 v[6:7], v3, off
	v_cmpx_gt_i64_e64 s[18:19], v[11:12]
	s_xor_b32 s37, exec_lo, s37
	s_cbranch_execz .LBB47_2
; %bb.24:                               ;   in Loop: Header=BB47_3 Depth=1
	v_add_co_u32 v11, vcc_lo, v4, 2
	s_lshl_b64 s[38:39], s[14:15], 1
	v_add_co_ci_u32_e32 v12, vcc_lo, 0, v5, vcc_lo
	v_add_co_u32 v13, vcc_lo, v6, s38
	v_add_co_ci_u32_e32 v14, vcc_lo, s39, v7, vcc_lo
	s_mov_b32 s37, exec_lo
	global_store_b16 v[13:14], v10, off
	v_cmpx_gt_i64_e64 s[18:19], v[11:12]
	s_xor_b32 s37, exec_lo, s37
	s_cbranch_execz .LBB47_2
; %bb.25:                               ;   in Loop: Header=BB47_3 Depth=1
	v_add_co_u32 v3, vcc_lo, v4, 3
	v_add_co_ci_u32_e32 v4, vcc_lo, 0, v5, vcc_lo
	v_add_co_u32 v10, vcc_lo, v6, s26
	v_add_co_ci_u32_e32 v11, vcc_lo, s27, v7, vcc_lo
	s_mov_b32 s37, exec_lo
	global_store_b16 v[10:11], v9, off
	v_cmpx_gt_i64_e64 s[18:19], v[3:4]
	s_xor_b32 s37, exec_lo, s37
	s_cbranch_execz .LBB47_2
; %bb.26:                               ;   in Loop: Header=BB47_3 Depth=1
	v_add_co_u32 v3, vcc_lo, v6, s53
	v_add_co_ci_u32_e32 v4, vcc_lo, s54, v7, vcc_lo
	global_store_b16 v[3:4], v8, off
	s_branch .LBB47_2
.LBB47_27:                              ;   in Loop: Header=BB47_28 Depth=2
	s_or_b32 exec_lo, exec_lo, s0
	s_delay_alu instid0(VALU_DEP_1) | instskip(NEXT) | instid1(VALU_DEP_2)
	v_mul_lo_u32 v3, v15, s44
	v_mul_lo_u32 v16, v14, s45
	s_load_b64 s[46:47], s[40:41], 0xc8
	v_mad_u64_u32 v[12:13], null, v14, s44, 0
	s_load_b64 s[44:45], s[42:43], 0x0
	s_add_u32 s42, s42, -8
	s_addc_u32 s43, s43, -1
	s_add_u32 s40, s40, -8
	s_addc_u32 s41, s41, -1
	s_add_u32 s38, s38, -1
	s_delay_alu instid0(VALU_DEP_1) | instskip(SKIP_2) | instid1(VALU_DEP_2)
	v_add3_u32 v3, v13, v16, v3
	v_sub_co_u32 v6, vcc_lo, v6, v12
	s_addc_u32 s39, s39, -1
	v_sub_co_ci_u32_e32 v3, vcc_lo, v7, v3, vcc_lo
	v_cmp_lt_i64_e64 s0, s[38:39], 1
	s_waitcnt lgkmcnt(0)
	s_delay_alu instid0(VALU_DEP_2)
	v_mul_lo_u32 v7, s46, v3
	v_mul_lo_u32 v21, s47, v6
	v_mad_u64_u32 v[16:17], null, s46, v6, v[10:11]
	v_mul_lo_u32 v3, s44, v3
	v_mul_lo_u32 v10, s45, v6
	v_mad_u64_u32 v[12:13], null, s44, v6, v[8:9]
	s_and_b32 vcc_lo, exec_lo, s0
	s_delay_alu instid0(VALU_DEP_4) | instskip(SKIP_1) | instid1(VALU_DEP_3)
	v_add3_u32 v17, v21, v17, v7
	v_dual_mov_b32 v6, v14 :: v_dual_mov_b32 v7, v15
	v_add3_u32 v13, v10, v13, v3
	s_delay_alu instid0(VALU_DEP_4) | instskip(NEXT) | instid1(VALU_DEP_4)
	v_mov_b32_e32 v8, v12
	v_dual_mov_b32 v10, v16 :: v_dual_mov_b32 v11, v17
	s_delay_alu instid0(VALU_DEP_3)
	v_mov_b32_e32 v9, v13
	s_cbranch_vccnz .LBB47_12
.LBB47_28:                              ;   Parent Loop BB47_3 Depth=1
                                        ; =>  This Inner Loop Header: Depth=2
	s_load_b64 s[44:45], s[40:41], 0x0
                                        ; implicit-def: $vgpr14_vgpr15
	s_mov_b32 s0, exec_lo
	s_waitcnt lgkmcnt(0)
	v_or_b32_e32 v3, s45, v7
	s_delay_alu instid0(VALU_DEP_1)
	v_cmpx_ne_u64_e32 0, v[2:3]
	s_xor_b32 s37, exec_lo, s0
	s_cbranch_execz .LBB47_30
; %bb.29:                               ;   in Loop: Header=BB47_28 Depth=2
	s_ashr_i32 s46, s45, 31
	s_delay_alu instid0(SALU_CYCLE_1) | instskip(SKIP_2) | instid1(SALU_CYCLE_1)
	s_add_u32 s48, s44, s46
	s_mov_b32 s47, s46
	s_addc_u32 s49, s45, s46
	s_xor_b64 s[48:49], s[48:49], s[46:47]
	s_delay_alu instid0(SALU_CYCLE_1) | instskip(SKIP_3) | instid1(VALU_DEP_1)
	v_cvt_f32_u32_e32 v3, s48
	v_cvt_f32_u32_e32 v12, s49
	s_sub_u32 s0, 0, s48
	s_subb_u32 s47, 0, s49
	v_fmac_f32_e32 v3, 0x4f800000, v12
	s_delay_alu instid0(VALU_DEP_1) | instskip(SKIP_2) | instid1(VALU_DEP_1)
	v_rcp_f32_e32 v3, v3
	s_waitcnt_depctr 0xfff
	v_mul_f32_e32 v3, 0x5f7ffffc, v3
	v_mul_f32_e32 v12, 0x2f800000, v3
	s_delay_alu instid0(VALU_DEP_1) | instskip(NEXT) | instid1(VALU_DEP_1)
	v_trunc_f32_e32 v12, v12
	v_fmac_f32_e32 v3, 0xcf800000, v12
	v_cvt_u32_f32_e32 v12, v12
	s_delay_alu instid0(VALU_DEP_2) | instskip(NEXT) | instid1(VALU_DEP_2)
	v_cvt_u32_f32_e32 v3, v3
	v_mul_lo_u32 v13, s0, v12
	s_delay_alu instid0(VALU_DEP_2) | instskip(SKIP_1) | instid1(VALU_DEP_2)
	v_mul_hi_u32 v14, s0, v3
	v_mul_lo_u32 v15, s47, v3
	v_add_nc_u32_e32 v13, v14, v13
	v_mul_lo_u32 v14, s0, v3
	s_delay_alu instid0(VALU_DEP_2) | instskip(NEXT) | instid1(VALU_DEP_2)
	v_add_nc_u32_e32 v13, v13, v15
	v_mul_hi_u32 v15, v3, v14
	s_delay_alu instid0(VALU_DEP_2)
	v_mul_lo_u32 v16, v3, v13
	v_mul_hi_u32 v17, v3, v13
	v_mul_hi_u32 v21, v12, v14
	v_mul_lo_u32 v14, v12, v14
	v_mul_hi_u32 v22, v12, v13
	v_mul_lo_u32 v13, v12, v13
	v_add_co_u32 v15, vcc_lo, v15, v16
	v_add_co_ci_u32_e32 v16, vcc_lo, 0, v17, vcc_lo
	s_delay_alu instid0(VALU_DEP_2) | instskip(NEXT) | instid1(VALU_DEP_2)
	v_add_co_u32 v14, vcc_lo, v15, v14
	v_add_co_ci_u32_e32 v14, vcc_lo, v16, v21, vcc_lo
	v_add_co_ci_u32_e32 v15, vcc_lo, 0, v22, vcc_lo
	v_ashrrev_i32_e32 v21, 31, v7
	s_delay_alu instid0(VALU_DEP_3) | instskip(NEXT) | instid1(VALU_DEP_3)
	v_add_co_u32 v13, vcc_lo, v14, v13
	v_add_co_ci_u32_e32 v14, vcc_lo, 0, v15, vcc_lo
	s_delay_alu instid0(VALU_DEP_2) | instskip(NEXT) | instid1(VALU_DEP_2)
	v_add_co_u32 v3, vcc_lo, v3, v13
	v_add_co_ci_u32_e32 v12, vcc_lo, v12, v14, vcc_lo
	s_delay_alu instid0(VALU_DEP_2) | instskip(SKIP_1) | instid1(VALU_DEP_3)
	v_mul_hi_u32 v13, s0, v3
	v_mul_lo_u32 v15, s47, v3
	v_mul_lo_u32 v14, s0, v12
	s_delay_alu instid0(VALU_DEP_1) | instskip(SKIP_1) | instid1(VALU_DEP_2)
	v_add_nc_u32_e32 v13, v13, v14
	v_mul_lo_u32 v14, s0, v3
	v_add_nc_u32_e32 v13, v13, v15
	s_delay_alu instid0(VALU_DEP_2) | instskip(NEXT) | instid1(VALU_DEP_2)
	v_mul_hi_u32 v15, v3, v14
	v_mul_lo_u32 v16, v3, v13
	v_mul_hi_u32 v17, v3, v13
	v_mul_hi_u32 v22, v12, v14
	v_mul_lo_u32 v14, v12, v14
	v_mul_hi_u32 v23, v12, v13
	v_mul_lo_u32 v13, v12, v13
	v_add_co_u32 v15, vcc_lo, v15, v16
	v_add_co_ci_u32_e32 v16, vcc_lo, 0, v17, vcc_lo
	s_delay_alu instid0(VALU_DEP_2) | instskip(NEXT) | instid1(VALU_DEP_2)
	v_add_co_u32 v14, vcc_lo, v15, v14
	v_add_co_ci_u32_e32 v14, vcc_lo, v16, v22, vcc_lo
	v_add_co_ci_u32_e32 v15, vcc_lo, 0, v23, vcc_lo
	v_add_co_u32 v16, vcc_lo, v6, v21
	v_add_co_ci_u32_e32 v17, vcc_lo, v7, v21, vcc_lo
	s_delay_alu instid0(VALU_DEP_4) | instskip(NEXT) | instid1(VALU_DEP_4)
	v_add_co_u32 v13, vcc_lo, v14, v13
	v_add_co_ci_u32_e32 v14, vcc_lo, 0, v15, vcc_lo
	s_delay_alu instid0(VALU_DEP_4) | instskip(NEXT) | instid1(VALU_DEP_3)
	v_xor_b32_e32 v22, v16, v21
	v_add_co_u32 v3, vcc_lo, v3, v13
	s_delay_alu instid0(VALU_DEP_3) | instskip(SKIP_1) | instid1(VALU_DEP_3)
	v_add_co_ci_u32_e32 v23, vcc_lo, v12, v14, vcc_lo
	v_xor_b32_e32 v24, v17, v21
	v_mul_hi_u32 v25, v22, v3
	s_delay_alu instid0(VALU_DEP_3) | instskip(NEXT) | instid1(VALU_DEP_3)
	v_mad_u64_u32 v[12:13], null, v22, v23, 0
	v_mad_u64_u32 v[14:15], null, v24, v3, 0
	;; [unrolled: 1-line block ×3, first 2 shown]
	s_delay_alu instid0(VALU_DEP_3) | instskip(NEXT) | instid1(VALU_DEP_4)
	v_add_co_u32 v3, vcc_lo, v25, v12
	v_add_co_ci_u32_e32 v12, vcc_lo, 0, v13, vcc_lo
	s_delay_alu instid0(VALU_DEP_2) | instskip(NEXT) | instid1(VALU_DEP_2)
	v_add_co_u32 v3, vcc_lo, v3, v14
	v_add_co_ci_u32_e32 v3, vcc_lo, v12, v15, vcc_lo
	v_add_co_ci_u32_e32 v12, vcc_lo, 0, v17, vcc_lo
	s_delay_alu instid0(VALU_DEP_2) | instskip(NEXT) | instid1(VALU_DEP_2)
	v_add_co_u32 v3, vcc_lo, v3, v16
	v_add_co_ci_u32_e32 v14, vcc_lo, 0, v12, vcc_lo
	s_delay_alu instid0(VALU_DEP_2) | instskip(SKIP_1) | instid1(VALU_DEP_3)
	v_mul_lo_u32 v15, s49, v3
	v_mad_u64_u32 v[12:13], null, s48, v3, 0
	v_mul_lo_u32 v16, s48, v14
	s_delay_alu instid0(VALU_DEP_2) | instskip(NEXT) | instid1(VALU_DEP_2)
	v_sub_co_u32 v12, vcc_lo, v22, v12
	v_add3_u32 v13, v13, v16, v15
	s_delay_alu instid0(VALU_DEP_1) | instskip(NEXT) | instid1(VALU_DEP_1)
	v_sub_nc_u32_e32 v15, v24, v13
	v_subrev_co_ci_u32_e64 v15, s0, s49, v15, vcc_lo
	v_add_co_u32 v16, s0, v3, 2
	s_delay_alu instid0(VALU_DEP_1) | instskip(SKIP_3) | instid1(VALU_DEP_3)
	v_add_co_ci_u32_e64 v17, s0, 0, v14, s0
	v_sub_co_u32 v22, s0, v12, s48
	v_sub_co_ci_u32_e32 v13, vcc_lo, v24, v13, vcc_lo
	v_subrev_co_ci_u32_e64 v15, s0, 0, v15, s0
	v_cmp_le_u32_e32 vcc_lo, s48, v22
	s_delay_alu instid0(VALU_DEP_3) | instskip(SKIP_1) | instid1(VALU_DEP_4)
	v_cmp_eq_u32_e64 s0, s49, v13
	v_cndmask_b32_e64 v22, 0, -1, vcc_lo
	v_cmp_le_u32_e32 vcc_lo, s49, v15
	v_cndmask_b32_e64 v23, 0, -1, vcc_lo
	v_cmp_le_u32_e32 vcc_lo, s48, v12
	;; [unrolled: 2-line block ×3, first 2 shown]
	v_cndmask_b32_e64 v24, 0, -1, vcc_lo
	v_cmp_eq_u32_e32 vcc_lo, s49, v15
	s_delay_alu instid0(VALU_DEP_2) | instskip(SKIP_3) | instid1(VALU_DEP_3)
	v_cndmask_b32_e64 v12, v24, v12, s0
	v_cndmask_b32_e32 v15, v23, v22, vcc_lo
	v_add_co_u32 v22, vcc_lo, v3, 1
	v_add_co_ci_u32_e32 v23, vcc_lo, 0, v14, vcc_lo
	v_cmp_ne_u32_e32 vcc_lo, 0, v15
	s_delay_alu instid0(VALU_DEP_2) | instskip(NEXT) | instid1(VALU_DEP_4)
	v_cndmask_b32_e32 v13, v23, v17, vcc_lo
	v_cndmask_b32_e32 v15, v22, v16, vcc_lo
	v_cmp_ne_u32_e32 vcc_lo, 0, v12
	v_xor_b32_e32 v12, s46, v21
	s_delay_alu instid0(VALU_DEP_3) | instskip(SKIP_1) | instid1(VALU_DEP_2)
	v_cndmask_b32_e32 v3, v3, v15, vcc_lo
	v_cndmask_b32_e32 v13, v14, v13, vcc_lo
	v_xor_b32_e32 v3, v3, v12
	s_delay_alu instid0(VALU_DEP_2) | instskip(NEXT) | instid1(VALU_DEP_2)
	v_xor_b32_e32 v13, v13, v12
	v_sub_co_u32 v14, vcc_lo, v3, v12
	s_delay_alu instid0(VALU_DEP_2)
	v_sub_co_ci_u32_e32 v15, vcc_lo, v13, v12, vcc_lo
.LBB47_30:                              ;   in Loop: Header=BB47_28 Depth=2
	s_and_not1_saveexec_b32 s0, s37
	s_cbranch_execz .LBB47_27
; %bb.31:                               ;   in Loop: Header=BB47_28 Depth=2
	v_cvt_f32_u32_e32 v3, s44
	s_sub_i32 s37, 0, s44
	v_mov_b32_e32 v15, v2
	s_delay_alu instid0(VALU_DEP_2) | instskip(SKIP_2) | instid1(VALU_DEP_1)
	v_rcp_iflag_f32_e32 v3, v3
	s_waitcnt_depctr 0xfff
	v_mul_f32_e32 v3, 0x4f7ffffe, v3
	v_cvt_u32_f32_e32 v3, v3
	s_delay_alu instid0(VALU_DEP_1) | instskip(NEXT) | instid1(VALU_DEP_1)
	v_mul_lo_u32 v12, s37, v3
	v_mul_hi_u32 v12, v3, v12
	s_delay_alu instid0(VALU_DEP_1) | instskip(NEXT) | instid1(VALU_DEP_1)
	v_add_nc_u32_e32 v3, v3, v12
	v_mul_hi_u32 v3, v6, v3
	s_delay_alu instid0(VALU_DEP_1) | instskip(SKIP_1) | instid1(VALU_DEP_2)
	v_mul_lo_u32 v12, v3, s44
	v_add_nc_u32_e32 v13, 1, v3
	v_sub_nc_u32_e32 v12, v6, v12
	s_delay_alu instid0(VALU_DEP_1) | instskip(SKIP_1) | instid1(VALU_DEP_2)
	v_subrev_nc_u32_e32 v14, s44, v12
	v_cmp_le_u32_e32 vcc_lo, s44, v12
	v_dual_cndmask_b32 v12, v12, v14 :: v_dual_cndmask_b32 v3, v3, v13
	s_delay_alu instid0(VALU_DEP_1) | instskip(NEXT) | instid1(VALU_DEP_2)
	v_cmp_le_u32_e32 vcc_lo, s44, v12
	v_add_nc_u32_e32 v13, 1, v3
	s_delay_alu instid0(VALU_DEP_1)
	v_cndmask_b32_e32 v14, v3, v13, vcc_lo
	s_branch .LBB47_27
.LBB47_32:
	s_nop 0
	s_sendmsg sendmsg(MSG_DEALLOC_VGPRS)
	s_endpgm
	.section	.rodata,"a",@progbits
	.p2align	6, 0x0
	.amdhsa_kernel _ZN2at6native16triu_tril_kernelIN3c108BFloat16ElLb0ELi4ELb0EEEvNS_4cuda6detail10TensorInfoIT_T0_EENS6_IKS7_S8_EEllS8_
		.amdhsa_group_segment_fixed_size 0
		.amdhsa_private_segment_fixed_size 0
		.amdhsa_kernarg_size 1112
		.amdhsa_user_sgpr_count 15
		.amdhsa_user_sgpr_dispatch_ptr 0
		.amdhsa_user_sgpr_queue_ptr 0
		.amdhsa_user_sgpr_kernarg_segment_ptr 1
		.amdhsa_user_sgpr_dispatch_id 0
		.amdhsa_user_sgpr_private_segment_size 0
		.amdhsa_wavefront_size32 1
		.amdhsa_uses_dynamic_stack 0
		.amdhsa_enable_private_segment 0
		.amdhsa_system_sgpr_workgroup_id_x 1
		.amdhsa_system_sgpr_workgroup_id_y 0
		.amdhsa_system_sgpr_workgroup_id_z 0
		.amdhsa_system_sgpr_workgroup_info 0
		.amdhsa_system_vgpr_workitem_id 0
		.amdhsa_next_free_vgpr 26
		.amdhsa_next_free_sgpr 55
		.amdhsa_reserve_vcc 1
		.amdhsa_float_round_mode_32 0
		.amdhsa_float_round_mode_16_64 0
		.amdhsa_float_denorm_mode_32 3
		.amdhsa_float_denorm_mode_16_64 3
		.amdhsa_dx10_clamp 1
		.amdhsa_ieee_mode 1
		.amdhsa_fp16_overflow 0
		.amdhsa_workgroup_processor_mode 1
		.amdhsa_memory_ordered 1
		.amdhsa_forward_progress 0
		.amdhsa_shared_vgpr_count 0
		.amdhsa_exception_fp_ieee_invalid_op 0
		.amdhsa_exception_fp_denorm_src 0
		.amdhsa_exception_fp_ieee_div_zero 0
		.amdhsa_exception_fp_ieee_overflow 0
		.amdhsa_exception_fp_ieee_underflow 0
		.amdhsa_exception_fp_ieee_inexact 0
		.amdhsa_exception_int_div_zero 0
	.end_amdhsa_kernel
	.section	.text._ZN2at6native16triu_tril_kernelIN3c108BFloat16ElLb0ELi4ELb0EEEvNS_4cuda6detail10TensorInfoIT_T0_EENS6_IKS7_S8_EEllS8_,"axG",@progbits,_ZN2at6native16triu_tril_kernelIN3c108BFloat16ElLb0ELi4ELb0EEEvNS_4cuda6detail10TensorInfoIT_T0_EENS6_IKS7_S8_EEllS8_,comdat
.Lfunc_end47:
	.size	_ZN2at6native16triu_tril_kernelIN3c108BFloat16ElLb0ELi4ELb0EEEvNS_4cuda6detail10TensorInfoIT_T0_EENS6_IKS7_S8_EEllS8_, .Lfunc_end47-_ZN2at6native16triu_tril_kernelIN3c108BFloat16ElLb0ELi4ELb0EEEvNS_4cuda6detail10TensorInfoIT_T0_EENS6_IKS7_S8_EEllS8_
                                        ; -- End function
	.section	.AMDGPU.csdata,"",@progbits
; Kernel info:
; codeLenInByte = 4464
; NumSgprs: 57
; NumVgprs: 26
; ScratchSize: 0
; MemoryBound: 0
; FloatMode: 240
; IeeeMode: 1
; LDSByteSize: 0 bytes/workgroup (compile time only)
; SGPRBlocks: 7
; VGPRBlocks: 3
; NumSGPRsForWavesPerEU: 57
; NumVGPRsForWavesPerEU: 26
; Occupancy: 16
; WaveLimiterHint : 0
; COMPUTE_PGM_RSRC2:SCRATCH_EN: 0
; COMPUTE_PGM_RSRC2:USER_SGPR: 15
; COMPUTE_PGM_RSRC2:TRAP_HANDLER: 0
; COMPUTE_PGM_RSRC2:TGID_X_EN: 1
; COMPUTE_PGM_RSRC2:TGID_Y_EN: 0
; COMPUTE_PGM_RSRC2:TGID_Z_EN: 0
; COMPUTE_PGM_RSRC2:TIDIG_COMP_CNT: 0
	.section	.text._ZN2at6native16triu_tril_kernelIbiLb0ELi4ELb1EEEvNS_4cuda6detail10TensorInfoIT_T0_EENS4_IKS5_S6_EEllS6_,"axG",@progbits,_ZN2at6native16triu_tril_kernelIbiLb0ELi4ELb1EEEvNS_4cuda6detail10TensorInfoIT_T0_EENS4_IKS5_S6_EEllS6_,comdat
	.protected	_ZN2at6native16triu_tril_kernelIbiLb0ELi4ELb1EEEvNS_4cuda6detail10TensorInfoIT_T0_EENS4_IKS5_S6_EEllS6_ ; -- Begin function _ZN2at6native16triu_tril_kernelIbiLb0ELi4ELb1EEEvNS_4cuda6detail10TensorInfoIT_T0_EENS4_IKS5_S6_EEllS6_
	.globl	_ZN2at6native16triu_tril_kernelIbiLb0ELi4ELb1EEEvNS_4cuda6detail10TensorInfoIT_T0_EENS4_IKS5_S6_EEllS6_
	.p2align	8
	.type	_ZN2at6native16triu_tril_kernelIbiLb0ELi4ELb1EEEvNS_4cuda6detail10TensorInfoIT_T0_EENS4_IKS5_S6_EEllS6_,@function
_ZN2at6native16triu_tril_kernelIbiLb0ELi4ELb1EEEvNS_4cuda6detail10TensorInfoIT_T0_EENS4_IKS5_S6_EEllS6_: ; @_ZN2at6native16triu_tril_kernelIbiLb0ELi4ELb1EEEvNS_4cuda6detail10TensorInfoIT_T0_EENS4_IKS5_S6_EEllS6_
; %bb.0:
	s_clause 0x1
	s_load_b32 s2, s[0:1], 0x1d4
	s_load_b128 s[4:7], s[0:1], 0x1b0
	v_mov_b32_e32 v2, 0
	s_add_u32 s8, s0, 0x1c8
	s_addc_u32 s9, s1, 0
	s_delay_alu instid0(VALU_DEP_1) | instskip(SKIP_3) | instid1(VALU_DEP_1)
	v_mov_b32_e32 v1, v2
	s_waitcnt lgkmcnt(0)
	s_and_b32 s14, s2, 0xffff
	s_mov_b32 s2, exec_lo
	v_mad_u64_u32 v[3:4], null, s14, s15, v[0:1]
	s_delay_alu instid0(VALU_DEP_1) | instskip(NEXT) | instid1(VALU_DEP_1)
	v_lshlrev_b64 v[0:1], 2, v[3:4]
	v_cmpx_gt_i64_e64 s[6:7], v[0:1]
	s_cbranch_execz .LBB48_70
; %bb.1:
	s_clause 0x2
	s_load_b32 s24, s[0:1], 0x1c0
	s_load_b32 s16, s[0:1], 0x1a8
	s_load_b64 s[2:3], s[0:1], 0x0
	s_load_b32 s19, s[8:9], 0x0
	s_mov_b32 s38, 0
	s_waitcnt lgkmcnt(0)
	s_ashr_i32 s25, s24, 31
	s_ashr_i32 s17, s16, 31
	s_add_u32 s26, s0, 0xe0
	s_addc_u32 s27, s1, 0
	s_lshl_b64 s[10:11], s[16:17], 2
	v_cvt_f32_u32_e32 v3, s24
	s_add_u32 s15, s10, -8
	s_addc_u32 s18, s11, -1
	s_add_u32 s12, s26, s15
	s_addc_u32 s13, s27, s18
	v_rcp_iflag_f32_e32 v3, v3
	s_load_b32 s28, s[12:13], 0x0
	s_mul_i32 s19, s19, s14
	v_cmp_gt_i64_e64 s37, s[16:17], 2
	s_waitcnt_depctr 0xfff
	v_mul_f32_e32 v3, 0x4f7ffffe, v3
	s_delay_alu instid0(VALU_DEP_1)
	v_cvt_u32_f32_e32 v3, v3
	s_waitcnt lgkmcnt(0)
	s_ashr_i32 s29, s28, 31
	s_add_u32 s12, s10, -4
	s_addc_u32 s13, s11, -1
	s_add_u32 s30, s0, 0x6c
	s_addc_u32 s1, s1, 0
	s_add_u32 s8, s30, s12
	s_addc_u32 s9, s1, s13
	;; [unrolled: 2-line block ×3, first 2 shown]
	s_add_i32 s31, s16, -3
	s_add_u32 s12, s26, s12
	s_addc_u32 s13, s27, s13
	s_add_i32 s0, s16, 6
	s_lshl_b32 s34, s19, 2
	s_and_b32 s33, s0, 7
	s_mov_b32 s15, 0
	s_cmp_lg_u32 s33, 0
	s_cselect_b32 s35, -1, 0
	s_cmp_gt_u32 s31, 6
	s_cselect_b32 s36, -1, 0
	s_sub_i32 s0, 0, s24
	s_delay_alu instid0(SALU_CYCLE_1) | instskip(NEXT) | instid1(VALU_DEP_1)
	v_mul_lo_u32 v4, s0, v3
	v_mul_hi_u32 v4, v3, v4
	s_delay_alu instid0(VALU_DEP_1)
	v_add_nc_u32_e32 v25, v3, v4
	s_branch .LBB48_3
.LBB48_2:                               ;   in Loop: Header=BB48_3 Depth=1
	s_or_b32 exec_lo, exec_lo, s39
	v_add_co_u32 v0, vcc_lo, v0, s34
	v_add_co_ci_u32_e32 v1, vcc_lo, 0, v1, vcc_lo
	s_delay_alu instid0(VALU_DEP_1) | instskip(SKIP_1) | instid1(SALU_CYCLE_1)
	v_cmp_le_i64_e32 vcc_lo, s[6:7], v[0:1]
	s_or_b32 s38, vcc_lo, s38
	s_and_not1_b32 exec_lo, exec_lo, s38
	s_cbranch_execz .LBB48_70
.LBB48_3:                               ; =>This Loop Header: Depth=1
                                        ;     Child Loop BB48_15 Depth 2
                                        ;     Child Loop BB48_24 Depth 2
	v_or_b32_e32 v3, s25, v1
                                        ; implicit-def: $vgpr4_vgpr5
	s_mov_b32 s0, exec_lo
	s_delay_alu instid0(VALU_DEP_1)
	v_cmpx_ne_u64_e32 0, v[2:3]
	s_xor_b32 s14, exec_lo, s0
	s_cbranch_execz .LBB48_5
; %bb.4:                                ;   in Loop: Header=BB48_3 Depth=1
	s_add_u32 s18, s24, s25
	s_mov_b32 s16, s25
	s_mov_b32 s17, s25
	s_addc_u32 s19, s25, s25
	s_delay_alu instid0(SALU_CYCLE_1) | instskip(NEXT) | instid1(SALU_CYCLE_1)
	s_xor_b64 s[18:19], s[18:19], s[16:17]
	v_cvt_f32_u32_e32 v3, s18
	v_cvt_f32_u32_e32 v4, s19
	s_sub_u32 s0, 0, s18
	s_subb_u32 s20, 0, s19
	s_delay_alu instid0(VALU_DEP_1) | instskip(NEXT) | instid1(VALU_DEP_1)
	v_fmac_f32_e32 v3, 0x4f800000, v4
	v_rcp_f32_e32 v3, v3
	s_waitcnt_depctr 0xfff
	v_mul_f32_e32 v3, 0x5f7ffffc, v3
	s_delay_alu instid0(VALU_DEP_1) | instskip(NEXT) | instid1(VALU_DEP_1)
	v_mul_f32_e32 v4, 0x2f800000, v3
	v_trunc_f32_e32 v4, v4
	s_delay_alu instid0(VALU_DEP_1) | instskip(SKIP_1) | instid1(VALU_DEP_2)
	v_fmac_f32_e32 v3, 0xcf800000, v4
	v_cvt_u32_f32_e32 v4, v4
	v_cvt_u32_f32_e32 v3, v3
	s_delay_alu instid0(VALU_DEP_2) | instskip(NEXT) | instid1(VALU_DEP_2)
	v_mul_lo_u32 v5, s0, v4
	v_mul_hi_u32 v6, s0, v3
	v_mul_lo_u32 v7, s20, v3
	s_delay_alu instid0(VALU_DEP_2) | instskip(SKIP_1) | instid1(VALU_DEP_2)
	v_add_nc_u32_e32 v5, v6, v5
	v_mul_lo_u32 v6, s0, v3
	v_add_nc_u32_e32 v5, v5, v7
	s_delay_alu instid0(VALU_DEP_2) | instskip(NEXT) | instid1(VALU_DEP_2)
	v_mul_hi_u32 v7, v3, v6
	v_mul_lo_u32 v8, v3, v5
	v_mul_hi_u32 v9, v3, v5
	v_mul_hi_u32 v10, v4, v6
	v_mul_lo_u32 v6, v4, v6
	v_mul_hi_u32 v11, v4, v5
	v_mul_lo_u32 v5, v4, v5
	v_add_co_u32 v7, vcc_lo, v7, v8
	v_add_co_ci_u32_e32 v8, vcc_lo, 0, v9, vcc_lo
	s_delay_alu instid0(VALU_DEP_2) | instskip(NEXT) | instid1(VALU_DEP_2)
	v_add_co_u32 v6, vcc_lo, v7, v6
	v_add_co_ci_u32_e32 v6, vcc_lo, v8, v10, vcc_lo
	v_add_co_ci_u32_e32 v7, vcc_lo, 0, v11, vcc_lo
	v_ashrrev_i32_e32 v10, 31, v1
	s_delay_alu instid0(VALU_DEP_3) | instskip(NEXT) | instid1(VALU_DEP_3)
	v_add_co_u32 v5, vcc_lo, v6, v5
	v_add_co_ci_u32_e32 v6, vcc_lo, 0, v7, vcc_lo
	s_delay_alu instid0(VALU_DEP_2) | instskip(NEXT) | instid1(VALU_DEP_2)
	v_add_co_u32 v3, vcc_lo, v3, v5
	v_add_co_ci_u32_e32 v4, vcc_lo, v4, v6, vcc_lo
	s_delay_alu instid0(VALU_DEP_2) | instskip(SKIP_1) | instid1(VALU_DEP_3)
	v_mul_hi_u32 v5, s0, v3
	v_mul_lo_u32 v7, s20, v3
	v_mul_lo_u32 v6, s0, v4
	s_delay_alu instid0(VALU_DEP_1) | instskip(SKIP_1) | instid1(VALU_DEP_2)
	v_add_nc_u32_e32 v5, v5, v6
	v_mul_lo_u32 v6, s0, v3
	v_add_nc_u32_e32 v5, v5, v7
	s_delay_alu instid0(VALU_DEP_2) | instskip(NEXT) | instid1(VALU_DEP_2)
	v_mul_hi_u32 v7, v3, v6
	v_mul_lo_u32 v8, v3, v5
	v_mul_hi_u32 v9, v3, v5
	v_mul_hi_u32 v11, v4, v6
	v_mul_lo_u32 v6, v4, v6
	v_mul_hi_u32 v12, v4, v5
	v_mul_lo_u32 v5, v4, v5
	v_add_co_u32 v7, vcc_lo, v7, v8
	v_add_co_ci_u32_e32 v8, vcc_lo, 0, v9, vcc_lo
	s_delay_alu instid0(VALU_DEP_2) | instskip(NEXT) | instid1(VALU_DEP_2)
	v_add_co_u32 v6, vcc_lo, v7, v6
	v_add_co_ci_u32_e32 v6, vcc_lo, v8, v11, vcc_lo
	v_add_co_ci_u32_e32 v7, vcc_lo, 0, v12, vcc_lo
	v_add_co_u32 v8, vcc_lo, v0, v10
	v_add_co_ci_u32_e32 v9, vcc_lo, v1, v10, vcc_lo
	s_delay_alu instid0(VALU_DEP_4) | instskip(NEXT) | instid1(VALU_DEP_4)
	v_add_co_u32 v5, vcc_lo, v6, v5
	v_add_co_ci_u32_e32 v6, vcc_lo, 0, v7, vcc_lo
	s_delay_alu instid0(VALU_DEP_4) | instskip(NEXT) | instid1(VALU_DEP_3)
	v_xor_b32_e32 v11, v8, v10
	v_add_co_u32 v7, vcc_lo, v3, v5
	s_delay_alu instid0(VALU_DEP_3) | instskip(SKIP_1) | instid1(VALU_DEP_3)
	v_add_co_ci_u32_e32 v12, vcc_lo, v4, v6, vcc_lo
	v_xor_b32_e32 v9, v9, v10
	v_mul_hi_u32 v13, v11, v7
	s_delay_alu instid0(VALU_DEP_3) | instskip(NEXT) | instid1(VALU_DEP_3)
	v_mad_u64_u32 v[3:4], null, v11, v12, 0
	v_mad_u64_u32 v[5:6], null, v9, v7, 0
	;; [unrolled: 1-line block ×3, first 2 shown]
	s_delay_alu instid0(VALU_DEP_3) | instskip(NEXT) | instid1(VALU_DEP_4)
	v_add_co_u32 v3, vcc_lo, v13, v3
	v_add_co_ci_u32_e32 v4, vcc_lo, 0, v4, vcc_lo
	s_delay_alu instid0(VALU_DEP_2) | instskip(NEXT) | instid1(VALU_DEP_2)
	v_add_co_u32 v3, vcc_lo, v3, v5
	v_add_co_ci_u32_e32 v3, vcc_lo, v4, v6, vcc_lo
	v_add_co_ci_u32_e32 v4, vcc_lo, 0, v8, vcc_lo
	s_delay_alu instid0(VALU_DEP_2) | instskip(NEXT) | instid1(VALU_DEP_2)
	v_add_co_u32 v5, vcc_lo, v3, v7
	v_add_co_ci_u32_e32 v6, vcc_lo, 0, v4, vcc_lo
	s_delay_alu instid0(VALU_DEP_2) | instskip(SKIP_1) | instid1(VALU_DEP_3)
	v_mul_lo_u32 v7, s19, v5
	v_mad_u64_u32 v[3:4], null, s18, v5, 0
	v_mul_lo_u32 v8, s18, v6
	s_delay_alu instid0(VALU_DEP_2) | instskip(NEXT) | instid1(VALU_DEP_2)
	v_sub_co_u32 v3, vcc_lo, v11, v3
	v_add3_u32 v4, v4, v8, v7
	s_delay_alu instid0(VALU_DEP_1) | instskip(NEXT) | instid1(VALU_DEP_1)
	v_sub_nc_u32_e32 v7, v9, v4
	v_subrev_co_ci_u32_e64 v7, s0, s19, v7, vcc_lo
	v_add_co_u32 v8, s0, v5, 2
	s_delay_alu instid0(VALU_DEP_1) | instskip(SKIP_3) | instid1(VALU_DEP_3)
	v_add_co_ci_u32_e64 v11, s0, 0, v6, s0
	v_sub_co_u32 v12, s0, v3, s18
	v_sub_co_ci_u32_e32 v4, vcc_lo, v9, v4, vcc_lo
	v_subrev_co_ci_u32_e64 v7, s0, 0, v7, s0
	v_cmp_le_u32_e32 vcc_lo, s18, v12
	s_delay_alu instid0(VALU_DEP_3) | instskip(SKIP_1) | instid1(VALU_DEP_4)
	v_cmp_eq_u32_e64 s0, s19, v4
	v_cndmask_b32_e64 v9, 0, -1, vcc_lo
	v_cmp_le_u32_e32 vcc_lo, s19, v7
	v_cndmask_b32_e64 v12, 0, -1, vcc_lo
	v_cmp_le_u32_e32 vcc_lo, s18, v3
	;; [unrolled: 2-line block ×3, first 2 shown]
	v_cndmask_b32_e64 v13, 0, -1, vcc_lo
	v_cmp_eq_u32_e32 vcc_lo, s19, v7
	s_delay_alu instid0(VALU_DEP_2) | instskip(SKIP_3) | instid1(VALU_DEP_3)
	v_cndmask_b32_e64 v3, v13, v3, s0
	v_cndmask_b32_e32 v7, v12, v9, vcc_lo
	v_add_co_u32 v9, vcc_lo, v5, 1
	v_add_co_ci_u32_e32 v12, vcc_lo, 0, v6, vcc_lo
	v_cmp_ne_u32_e32 vcc_lo, 0, v7
	s_delay_alu instid0(VALU_DEP_2) | instskip(SKIP_2) | instid1(VALU_DEP_3)
	v_dual_cndmask_b32 v4, v12, v11 :: v_dual_cndmask_b32 v7, v9, v8
	v_cmp_ne_u32_e32 vcc_lo, 0, v3
	v_xor_b32_e32 v3, s16, v10
	v_dual_cndmask_b32 v5, v5, v7 :: v_dual_cndmask_b32 v4, v6, v4
	v_xor_b32_e32 v6, s17, v10
	s_delay_alu instid0(VALU_DEP_2) | instskip(NEXT) | instid1(VALU_DEP_2)
	v_xor_b32_e32 v5, v5, v3
	v_xor_b32_e32 v7, v4, v6
	s_delay_alu instid0(VALU_DEP_2) | instskip(NEXT) | instid1(VALU_DEP_2)
	v_sub_co_u32 v4, vcc_lo, v5, v3
	v_sub_co_ci_u32_e32 v5, vcc_lo, v7, v6, vcc_lo
.LBB48_5:                               ;   in Loop: Header=BB48_3 Depth=1
	s_and_not1_saveexec_b32 s0, s14
; %bb.6:                                ;   in Loop: Header=BB48_3 Depth=1
	v_mul_hi_u32 v3, v0, v25
	s_delay_alu instid0(VALU_DEP_1) | instskip(NEXT) | instid1(VALU_DEP_1)
	v_mul_lo_u32 v4, v3, s24
	v_sub_nc_u32_e32 v4, v0, v4
	s_delay_alu instid0(VALU_DEP_1) | instskip(SKIP_1) | instid1(VALU_DEP_2)
	v_subrev_nc_u32_e32 v6, s24, v4
	v_cmp_le_u32_e32 vcc_lo, s24, v4
	v_dual_cndmask_b32 v4, v4, v6 :: v_dual_add_nc_u32 v5, 1, v3
	s_delay_alu instid0(VALU_DEP_1) | instskip(NEXT) | instid1(VALU_DEP_2)
	v_cndmask_b32_e32 v3, v3, v5, vcc_lo
	v_cmp_le_u32_e32 vcc_lo, s24, v4
	s_delay_alu instid0(VALU_DEP_2) | instskip(NEXT) | instid1(VALU_DEP_1)
	v_add_nc_u32_e32 v5, 1, v3
	v_dual_cndmask_b32 v4, v3, v5 :: v_dual_mov_b32 v5, v2
; %bb.7:                                ;   in Loop: Header=BB48_3 Depth=1
	s_or_b32 exec_lo, exec_lo, s0
	s_delay_alu instid0(VALU_DEP_1) | instskip(SKIP_1) | instid1(VALU_DEP_1)
	v_or_b32_e32 v3, s29, v5
                                        ; implicit-def: $vgpr7_vgpr8
	s_mov_b32 s0, exec_lo
	v_cmpx_ne_u64_e32 0, v[2:3]
	s_xor_b32 s14, exec_lo, s0
	s_cbranch_execz .LBB48_9
; %bb.8:                                ;   in Loop: Header=BB48_3 Depth=1
	s_add_u32 s18, s28, s29
	s_mov_b32 s16, s29
	s_mov_b32 s17, s29
	s_addc_u32 s19, s29, s29
	s_delay_alu instid0(SALU_CYCLE_1) | instskip(NEXT) | instid1(SALU_CYCLE_1)
	s_xor_b64 s[18:19], s[18:19], s[16:17]
	v_cvt_f32_u32_e32 v3, s18
	v_cvt_f32_u32_e32 v6, s19
	s_sub_u32 s0, 0, s18
	s_subb_u32 s20, 0, s19
	s_delay_alu instid0(VALU_DEP_1) | instskip(NEXT) | instid1(VALU_DEP_1)
	v_fmac_f32_e32 v3, 0x4f800000, v6
	v_rcp_f32_e32 v3, v3
	s_waitcnt_depctr 0xfff
	v_mul_f32_e32 v3, 0x5f7ffffc, v3
	s_delay_alu instid0(VALU_DEP_1) | instskip(NEXT) | instid1(VALU_DEP_1)
	v_mul_f32_e32 v6, 0x2f800000, v3
	v_trunc_f32_e32 v6, v6
	s_delay_alu instid0(VALU_DEP_1) | instskip(SKIP_1) | instid1(VALU_DEP_2)
	v_fmac_f32_e32 v3, 0xcf800000, v6
	v_cvt_u32_f32_e32 v6, v6
	v_cvt_u32_f32_e32 v3, v3
	s_delay_alu instid0(VALU_DEP_2) | instskip(NEXT) | instid1(VALU_DEP_2)
	v_mul_lo_u32 v7, s0, v6
	v_mul_hi_u32 v8, s0, v3
	v_mul_lo_u32 v9, s20, v3
	s_delay_alu instid0(VALU_DEP_2) | instskip(SKIP_1) | instid1(VALU_DEP_2)
	v_add_nc_u32_e32 v7, v8, v7
	v_mul_lo_u32 v8, s0, v3
	v_add_nc_u32_e32 v7, v7, v9
	s_delay_alu instid0(VALU_DEP_2) | instskip(NEXT) | instid1(VALU_DEP_2)
	v_mul_hi_u32 v9, v3, v8
	v_mul_lo_u32 v10, v3, v7
	v_mul_hi_u32 v11, v3, v7
	v_mul_hi_u32 v12, v6, v8
	v_mul_lo_u32 v8, v6, v8
	v_mul_hi_u32 v13, v6, v7
	v_mul_lo_u32 v7, v6, v7
	v_add_co_u32 v9, vcc_lo, v9, v10
	v_add_co_ci_u32_e32 v10, vcc_lo, 0, v11, vcc_lo
	s_delay_alu instid0(VALU_DEP_2) | instskip(NEXT) | instid1(VALU_DEP_2)
	v_add_co_u32 v8, vcc_lo, v9, v8
	v_add_co_ci_u32_e32 v8, vcc_lo, v10, v12, vcc_lo
	v_add_co_ci_u32_e32 v9, vcc_lo, 0, v13, vcc_lo
	v_ashrrev_i32_e32 v12, 31, v5
	s_delay_alu instid0(VALU_DEP_3) | instskip(NEXT) | instid1(VALU_DEP_3)
	v_add_co_u32 v7, vcc_lo, v8, v7
	v_add_co_ci_u32_e32 v8, vcc_lo, 0, v9, vcc_lo
	s_delay_alu instid0(VALU_DEP_2) | instskip(NEXT) | instid1(VALU_DEP_2)
	v_add_co_u32 v3, vcc_lo, v3, v7
	v_add_co_ci_u32_e32 v6, vcc_lo, v6, v8, vcc_lo
	s_delay_alu instid0(VALU_DEP_2) | instskip(SKIP_1) | instid1(VALU_DEP_3)
	v_mul_hi_u32 v7, s0, v3
	v_mul_lo_u32 v9, s20, v3
	v_mul_lo_u32 v8, s0, v6
	s_delay_alu instid0(VALU_DEP_1) | instskip(SKIP_1) | instid1(VALU_DEP_2)
	v_add_nc_u32_e32 v7, v7, v8
	v_mul_lo_u32 v8, s0, v3
	v_add_nc_u32_e32 v7, v7, v9
	s_delay_alu instid0(VALU_DEP_2) | instskip(NEXT) | instid1(VALU_DEP_2)
	v_mul_hi_u32 v9, v3, v8
	v_mul_lo_u32 v10, v3, v7
	v_mul_hi_u32 v11, v3, v7
	v_mul_hi_u32 v13, v6, v8
	v_mul_lo_u32 v8, v6, v8
	v_mul_hi_u32 v14, v6, v7
	v_mul_lo_u32 v7, v6, v7
	v_add_co_u32 v9, vcc_lo, v9, v10
	v_add_co_ci_u32_e32 v10, vcc_lo, 0, v11, vcc_lo
	s_delay_alu instid0(VALU_DEP_2) | instskip(NEXT) | instid1(VALU_DEP_2)
	v_add_co_u32 v8, vcc_lo, v9, v8
	v_add_co_ci_u32_e32 v8, vcc_lo, v10, v13, vcc_lo
	v_add_co_ci_u32_e32 v9, vcc_lo, 0, v14, vcc_lo
	v_add_co_u32 v10, vcc_lo, v4, v12
	v_add_co_ci_u32_e32 v5, vcc_lo, v5, v12, vcc_lo
	s_delay_alu instid0(VALU_DEP_4) | instskip(NEXT) | instid1(VALU_DEP_4)
	v_add_co_u32 v7, vcc_lo, v8, v7
	v_add_co_ci_u32_e32 v8, vcc_lo, 0, v9, vcc_lo
	s_delay_alu instid0(VALU_DEP_4) | instskip(NEXT) | instid1(VALU_DEP_3)
	v_xor_b32_e32 v11, v10, v12
	v_add_co_u32 v3, vcc_lo, v3, v7
	s_delay_alu instid0(VALU_DEP_3) | instskip(SKIP_1) | instid1(VALU_DEP_3)
	v_add_co_ci_u32_e32 v13, vcc_lo, v6, v8, vcc_lo
	v_xor_b32_e32 v14, v5, v12
	v_mul_hi_u32 v15, v11, v3
	s_delay_alu instid0(VALU_DEP_3) | instskip(NEXT) | instid1(VALU_DEP_3)
	v_mad_u64_u32 v[5:6], null, v11, v13, 0
	v_mad_u64_u32 v[7:8], null, v14, v3, 0
	;; [unrolled: 1-line block ×3, first 2 shown]
	s_delay_alu instid0(VALU_DEP_3) | instskip(NEXT) | instid1(VALU_DEP_4)
	v_add_co_u32 v3, vcc_lo, v15, v5
	v_add_co_ci_u32_e32 v5, vcc_lo, 0, v6, vcc_lo
	s_delay_alu instid0(VALU_DEP_2) | instskip(NEXT) | instid1(VALU_DEP_2)
	v_add_co_u32 v3, vcc_lo, v3, v7
	v_add_co_ci_u32_e32 v3, vcc_lo, v5, v8, vcc_lo
	v_add_co_ci_u32_e32 v5, vcc_lo, 0, v10, vcc_lo
	s_delay_alu instid0(VALU_DEP_2) | instskip(NEXT) | instid1(VALU_DEP_2)
	v_add_co_u32 v3, vcc_lo, v3, v9
	v_add_co_ci_u32_e32 v7, vcc_lo, 0, v5, vcc_lo
	s_delay_alu instid0(VALU_DEP_2) | instskip(SKIP_1) | instid1(VALU_DEP_3)
	v_mul_lo_u32 v8, s19, v3
	v_mad_u64_u32 v[5:6], null, s18, v3, 0
	v_mul_lo_u32 v9, s18, v7
	s_delay_alu instid0(VALU_DEP_2) | instskip(NEXT) | instid1(VALU_DEP_2)
	v_sub_co_u32 v5, vcc_lo, v11, v5
	v_add3_u32 v6, v6, v9, v8
	s_delay_alu instid0(VALU_DEP_1) | instskip(NEXT) | instid1(VALU_DEP_1)
	v_sub_nc_u32_e32 v8, v14, v6
	v_subrev_co_ci_u32_e64 v8, s0, s19, v8, vcc_lo
	v_add_co_u32 v9, s0, v3, 2
	s_delay_alu instid0(VALU_DEP_1) | instskip(SKIP_3) | instid1(VALU_DEP_3)
	v_add_co_ci_u32_e64 v10, s0, 0, v7, s0
	v_sub_co_u32 v11, s0, v5, s18
	v_sub_co_ci_u32_e32 v6, vcc_lo, v14, v6, vcc_lo
	v_subrev_co_ci_u32_e64 v8, s0, 0, v8, s0
	v_cmp_le_u32_e32 vcc_lo, s18, v11
	s_delay_alu instid0(VALU_DEP_3) | instskip(SKIP_1) | instid1(VALU_DEP_4)
	v_cmp_eq_u32_e64 s0, s19, v6
	v_cndmask_b32_e64 v11, 0, -1, vcc_lo
	v_cmp_le_u32_e32 vcc_lo, s19, v8
	v_cndmask_b32_e64 v13, 0, -1, vcc_lo
	v_cmp_le_u32_e32 vcc_lo, s18, v5
	;; [unrolled: 2-line block ×3, first 2 shown]
	v_cndmask_b32_e64 v14, 0, -1, vcc_lo
	v_cmp_eq_u32_e32 vcc_lo, s19, v8
	s_delay_alu instid0(VALU_DEP_2) | instskip(SKIP_3) | instid1(VALU_DEP_3)
	v_cndmask_b32_e64 v5, v14, v5, s0
	v_cndmask_b32_e32 v8, v13, v11, vcc_lo
	v_add_co_u32 v11, vcc_lo, v3, 1
	v_add_co_ci_u32_e32 v13, vcc_lo, 0, v7, vcc_lo
	v_cmp_ne_u32_e32 vcc_lo, 0, v8
	s_delay_alu instid0(VALU_DEP_3) | instskip(NEXT) | instid1(VALU_DEP_3)
	v_cndmask_b32_e32 v8, v11, v9, vcc_lo
	v_cndmask_b32_e32 v6, v13, v10, vcc_lo
	v_cmp_ne_u32_e32 vcc_lo, 0, v5
	v_xor_b32_e32 v5, s16, v12
	s_delay_alu instid0(VALU_DEP_4) | instskip(NEXT) | instid1(VALU_DEP_4)
	v_cndmask_b32_e32 v3, v3, v8, vcc_lo
	v_cndmask_b32_e32 v6, v7, v6, vcc_lo
	v_xor_b32_e32 v8, s17, v12
	s_delay_alu instid0(VALU_DEP_3) | instskip(NEXT) | instid1(VALU_DEP_2)
	v_xor_b32_e32 v3, v3, v5
	v_xor_b32_e32 v6, v6, v8
	s_delay_alu instid0(VALU_DEP_2) | instskip(NEXT) | instid1(VALU_DEP_2)
	v_sub_co_u32 v7, vcc_lo, v3, v5
	v_sub_co_ci_u32_e32 v8, vcc_lo, v6, v8, vcc_lo
.LBB48_9:                               ;   in Loop: Header=BB48_3 Depth=1
	s_and_not1_saveexec_b32 s0, s14
	s_cbranch_execz .LBB48_11
; %bb.10:                               ;   in Loop: Header=BB48_3 Depth=1
	v_cvt_f32_u32_e32 v3, s28
	s_sub_i32 s14, 0, s28
	v_mov_b32_e32 v8, v2
	s_delay_alu instid0(VALU_DEP_2) | instskip(SKIP_2) | instid1(VALU_DEP_1)
	v_rcp_iflag_f32_e32 v3, v3
	s_waitcnt_depctr 0xfff
	v_mul_f32_e32 v3, 0x4f7ffffe, v3
	v_cvt_u32_f32_e32 v3, v3
	s_delay_alu instid0(VALU_DEP_1) | instskip(NEXT) | instid1(VALU_DEP_1)
	v_mul_lo_u32 v5, s14, v3
	v_mul_hi_u32 v5, v3, v5
	s_delay_alu instid0(VALU_DEP_1) | instskip(NEXT) | instid1(VALU_DEP_1)
	v_add_nc_u32_e32 v3, v3, v5
	v_mul_hi_u32 v3, v4, v3
	s_delay_alu instid0(VALU_DEP_1) | instskip(SKIP_1) | instid1(VALU_DEP_2)
	v_mul_lo_u32 v5, v3, s28
	v_add_nc_u32_e32 v6, 1, v3
	v_sub_nc_u32_e32 v5, v4, v5
	s_delay_alu instid0(VALU_DEP_1) | instskip(SKIP_1) | instid1(VALU_DEP_2)
	v_subrev_nc_u32_e32 v7, s28, v5
	v_cmp_le_u32_e32 vcc_lo, s28, v5
	v_cndmask_b32_e32 v5, v5, v7, vcc_lo
	v_cndmask_b32_e32 v3, v3, v6, vcc_lo
	s_delay_alu instid0(VALU_DEP_2) | instskip(NEXT) | instid1(VALU_DEP_2)
	v_cmp_le_u32_e32 vcc_lo, s28, v5
	v_add_nc_u32_e32 v6, 1, v3
	s_delay_alu instid0(VALU_DEP_1)
	v_cndmask_b32_e32 v7, v3, v6, vcc_lo
.LBB48_11:                              ;   in Loop: Header=BB48_3 Depth=1
	s_or_b32 exec_lo, exec_lo, s0
	v_mad_u64_u32 v[5:6], null, v4, s24, 0
	s_delay_alu instid0(VALU_DEP_2) | instskip(SKIP_1) | instid1(VALU_DEP_2)
	v_mad_u64_u32 v[9:10], null, v7, s28, 0
	s_mov_b32 s39, exec_lo
	v_sub_co_u32 v27, null, v0, v5
	s_delay_alu instid0(VALU_DEP_2) | instskip(NEXT) | instid1(VALU_DEP_1)
	v_sub_co_u32 v26, null, v4, v9
	v_sub_nc_u32_e32 v6, v27, v26
	s_delay_alu instid0(VALU_DEP_1) | instskip(NEXT) | instid1(VALU_DEP_1)
	v_add_nc_u32_e32 v3, 4, v6
	v_ashrrev_i32_e32 v4, 31, v3
	s_delay_alu instid0(VALU_DEP_1)
	v_cmpx_lt_i64_e64 s[4:5], v[3:4]
	s_cbranch_execz .LBB48_2
; %bb.12:                               ;   in Loop: Header=BB48_3 Depth=1
	s_clause 0x1
	s_load_b32 s40, s[8:9], 0x0
	s_load_b32 s0, s[10:11], 0x0
	s_and_not1_b32 vcc_lo, exec_lo, s37
	s_waitcnt lgkmcnt(0)
	v_mul_lo_u32 v3, s40, v27
	s_delay_alu instid0(VALU_DEP_1)
	v_mad_u64_u32 v[4:5], null, s0, v26, v[3:4]
	s_cbranch_vccnz .LBB48_58
; %bb.13:                               ;   in Loop: Header=BB48_3 Depth=1
	s_and_not1_b32 vcc_lo, exec_lo, s35
	s_cbranch_vccnz .LBB48_21
; %bb.14:                               ;   in Loop: Header=BB48_3 Depth=1
	v_dual_mov_b32 v10, v8 :: v_dual_mov_b32 v9, v7
	s_mov_b32 s22, s33
	s_mov_b32 s14, s31
.LBB48_15:                              ;   Parent Loop BB48_3 Depth=1
                                        ; =>  This Inner Loop Header: Depth=2
	s_delay_alu instid0(SALU_CYCLE_1) | instskip(NEXT) | instid1(SALU_CYCLE_1)
	s_lshl_b64 s[16:17], s[14:15], 2
                                        ; implicit-def: $vgpr7_vgpr8
	s_add_u32 s18, s26, s16
	s_addc_u32 s19, s27, s17
	s_load_b32 s23, s[18:19], 0x0
	s_mov_b32 s18, exec_lo
	s_waitcnt lgkmcnt(0)
	s_ashr_i32 s0, s23, 31
	s_delay_alu instid0(SALU_CYCLE_1) | instskip(NEXT) | instid1(VALU_DEP_1)
	v_or_b32_e32 v3, s0, v10
	v_cmpx_ne_u64_e32 0, v[2:3]
	s_xor_b32 s41, exec_lo, s18
	s_cbranch_execz .LBB48_17
; %bb.16:                               ;   in Loop: Header=BB48_15 Depth=2
	s_add_u32 s20, s23, s0
	s_mov_b32 s18, s0
	s_mov_b32 s19, s0
	s_addc_u32 s21, s0, s0
	s_delay_alu instid0(SALU_CYCLE_1) | instskip(NEXT) | instid1(SALU_CYCLE_1)
	s_xor_b64 s[20:21], s[20:21], s[18:19]
	v_cvt_f32_u32_e32 v3, s20
	v_cvt_f32_u32_e32 v5, s21
	s_sub_u32 s0, 0, s20
	s_subb_u32 s42, 0, s21
	s_delay_alu instid0(VALU_DEP_1) | instskip(NEXT) | instid1(VALU_DEP_1)
	v_fmac_f32_e32 v3, 0x4f800000, v5
	v_rcp_f32_e32 v3, v3
	s_waitcnt_depctr 0xfff
	v_mul_f32_e32 v3, 0x5f7ffffc, v3
	s_delay_alu instid0(VALU_DEP_1) | instskip(NEXT) | instid1(VALU_DEP_1)
	v_mul_f32_e32 v5, 0x2f800000, v3
	v_trunc_f32_e32 v5, v5
	s_delay_alu instid0(VALU_DEP_1) | instskip(SKIP_1) | instid1(VALU_DEP_2)
	v_fmac_f32_e32 v3, 0xcf800000, v5
	v_cvt_u32_f32_e32 v5, v5
	v_cvt_u32_f32_e32 v3, v3
	s_delay_alu instid0(VALU_DEP_2) | instskip(NEXT) | instid1(VALU_DEP_2)
	v_mul_lo_u32 v7, s0, v5
	v_mul_hi_u32 v8, s0, v3
	v_mul_lo_u32 v11, s42, v3
	s_delay_alu instid0(VALU_DEP_2) | instskip(SKIP_1) | instid1(VALU_DEP_2)
	v_add_nc_u32_e32 v7, v8, v7
	v_mul_lo_u32 v8, s0, v3
	v_add_nc_u32_e32 v7, v7, v11
	s_delay_alu instid0(VALU_DEP_2) | instskip(NEXT) | instid1(VALU_DEP_2)
	v_mul_hi_u32 v11, v3, v8
	v_mul_lo_u32 v12, v3, v7
	v_mul_hi_u32 v13, v3, v7
	v_mul_hi_u32 v14, v5, v8
	v_mul_lo_u32 v8, v5, v8
	v_mul_hi_u32 v15, v5, v7
	v_mul_lo_u32 v7, v5, v7
	v_add_co_u32 v11, vcc_lo, v11, v12
	v_add_co_ci_u32_e32 v12, vcc_lo, 0, v13, vcc_lo
	s_delay_alu instid0(VALU_DEP_2) | instskip(NEXT) | instid1(VALU_DEP_2)
	v_add_co_u32 v8, vcc_lo, v11, v8
	v_add_co_ci_u32_e32 v8, vcc_lo, v12, v14, vcc_lo
	v_add_co_ci_u32_e32 v11, vcc_lo, 0, v15, vcc_lo
	v_ashrrev_i32_e32 v14, 31, v10
	s_delay_alu instid0(VALU_DEP_3) | instskip(NEXT) | instid1(VALU_DEP_3)
	v_add_co_u32 v7, vcc_lo, v8, v7
	v_add_co_ci_u32_e32 v8, vcc_lo, 0, v11, vcc_lo
	s_delay_alu instid0(VALU_DEP_2) | instskip(NEXT) | instid1(VALU_DEP_2)
	v_add_co_u32 v3, vcc_lo, v3, v7
	v_add_co_ci_u32_e32 v5, vcc_lo, v5, v8, vcc_lo
	s_delay_alu instid0(VALU_DEP_2) | instskip(SKIP_1) | instid1(VALU_DEP_3)
	v_mul_hi_u32 v7, s0, v3
	v_mul_lo_u32 v11, s42, v3
	v_mul_lo_u32 v8, s0, v5
	s_delay_alu instid0(VALU_DEP_1) | instskip(SKIP_1) | instid1(VALU_DEP_2)
	v_add_nc_u32_e32 v7, v7, v8
	v_mul_lo_u32 v8, s0, v3
	v_add_nc_u32_e32 v7, v7, v11
	s_delay_alu instid0(VALU_DEP_2) | instskip(NEXT) | instid1(VALU_DEP_2)
	v_mul_hi_u32 v11, v3, v8
	v_mul_lo_u32 v12, v3, v7
	v_mul_hi_u32 v13, v3, v7
	v_mul_hi_u32 v15, v5, v8
	v_mul_lo_u32 v8, v5, v8
	v_mul_hi_u32 v16, v5, v7
	v_mul_lo_u32 v7, v5, v7
	v_add_co_u32 v11, vcc_lo, v11, v12
	v_add_co_ci_u32_e32 v12, vcc_lo, 0, v13, vcc_lo
	s_delay_alu instid0(VALU_DEP_2) | instskip(NEXT) | instid1(VALU_DEP_2)
	v_add_co_u32 v8, vcc_lo, v11, v8
	v_add_co_ci_u32_e32 v8, vcc_lo, v12, v15, vcc_lo
	v_add_co_ci_u32_e32 v11, vcc_lo, 0, v16, vcc_lo
	v_add_co_u32 v12, vcc_lo, v9, v14
	v_add_co_ci_u32_e32 v10, vcc_lo, v10, v14, vcc_lo
	s_delay_alu instid0(VALU_DEP_4) | instskip(NEXT) | instid1(VALU_DEP_4)
	v_add_co_u32 v7, vcc_lo, v8, v7
	v_add_co_ci_u32_e32 v8, vcc_lo, 0, v11, vcc_lo
	s_delay_alu instid0(VALU_DEP_4) | instskip(NEXT) | instid1(VALU_DEP_3)
	v_xor_b32_e32 v15, v12, v14
	v_add_co_u32 v3, vcc_lo, v3, v7
	s_delay_alu instid0(VALU_DEP_3) | instskip(SKIP_1) | instid1(VALU_DEP_3)
	v_add_co_ci_u32_e32 v5, vcc_lo, v5, v8, vcc_lo
	v_xor_b32_e32 v16, v10, v14
	v_mul_hi_u32 v17, v15, v3
	s_delay_alu instid0(VALU_DEP_3) | instskip(NEXT) | instid1(VALU_DEP_3)
	v_mad_u64_u32 v[7:8], null, v15, v5, 0
	v_mad_u64_u32 v[10:11], null, v16, v3, 0
	v_mad_u64_u32 v[12:13], null, v16, v5, 0
	s_delay_alu instid0(VALU_DEP_3) | instskip(NEXT) | instid1(VALU_DEP_4)
	v_add_co_u32 v3, vcc_lo, v17, v7
	v_add_co_ci_u32_e32 v5, vcc_lo, 0, v8, vcc_lo
	s_delay_alu instid0(VALU_DEP_2) | instskip(NEXT) | instid1(VALU_DEP_2)
	v_add_co_u32 v3, vcc_lo, v3, v10
	v_add_co_ci_u32_e32 v3, vcc_lo, v5, v11, vcc_lo
	v_add_co_ci_u32_e32 v5, vcc_lo, 0, v13, vcc_lo
	s_delay_alu instid0(VALU_DEP_2) | instskip(NEXT) | instid1(VALU_DEP_2)
	v_add_co_u32 v3, vcc_lo, v3, v12
	v_add_co_ci_u32_e32 v5, vcc_lo, 0, v5, vcc_lo
	s_delay_alu instid0(VALU_DEP_2) | instskip(SKIP_1) | instid1(VALU_DEP_3)
	v_mul_lo_u32 v10, s21, v3
	v_mad_u64_u32 v[7:8], null, s20, v3, 0
	v_mul_lo_u32 v11, s20, v5
	s_delay_alu instid0(VALU_DEP_2) | instskip(NEXT) | instid1(VALU_DEP_2)
	v_sub_co_u32 v7, vcc_lo, v15, v7
	v_add3_u32 v8, v8, v11, v10
	s_delay_alu instid0(VALU_DEP_1) | instskip(NEXT) | instid1(VALU_DEP_1)
	v_sub_nc_u32_e32 v10, v16, v8
	v_subrev_co_ci_u32_e64 v10, s0, s21, v10, vcc_lo
	v_add_co_u32 v11, s0, v3, 2
	s_delay_alu instid0(VALU_DEP_1) | instskip(SKIP_3) | instid1(VALU_DEP_3)
	v_add_co_ci_u32_e64 v12, s0, 0, v5, s0
	v_sub_co_u32 v13, s0, v7, s20
	v_sub_co_ci_u32_e32 v8, vcc_lo, v16, v8, vcc_lo
	v_subrev_co_ci_u32_e64 v10, s0, 0, v10, s0
	v_cmp_le_u32_e32 vcc_lo, s20, v13
	s_delay_alu instid0(VALU_DEP_3) | instskip(SKIP_1) | instid1(VALU_DEP_4)
	v_cmp_eq_u32_e64 s0, s21, v8
	v_cndmask_b32_e64 v13, 0, -1, vcc_lo
	v_cmp_le_u32_e32 vcc_lo, s21, v10
	v_cndmask_b32_e64 v15, 0, -1, vcc_lo
	v_cmp_le_u32_e32 vcc_lo, s20, v7
	;; [unrolled: 2-line block ×3, first 2 shown]
	v_cndmask_b32_e64 v16, 0, -1, vcc_lo
	v_cmp_eq_u32_e32 vcc_lo, s21, v10
	s_delay_alu instid0(VALU_DEP_2) | instskip(SKIP_3) | instid1(VALU_DEP_3)
	v_cndmask_b32_e64 v7, v16, v7, s0
	v_cndmask_b32_e32 v10, v15, v13, vcc_lo
	v_add_co_u32 v13, vcc_lo, v3, 1
	v_add_co_ci_u32_e32 v15, vcc_lo, 0, v5, vcc_lo
	v_cmp_ne_u32_e32 vcc_lo, 0, v10
	s_delay_alu instid0(VALU_DEP_3) | instskip(NEXT) | instid1(VALU_DEP_3)
	v_cndmask_b32_e32 v10, v13, v11, vcc_lo
	v_cndmask_b32_e32 v8, v15, v12, vcc_lo
	v_cmp_ne_u32_e32 vcc_lo, 0, v7
	v_xor_b32_e32 v7, s18, v14
	s_delay_alu instid0(VALU_DEP_4) | instskip(NEXT) | instid1(VALU_DEP_4)
	v_cndmask_b32_e32 v3, v3, v10, vcc_lo
	v_cndmask_b32_e32 v5, v5, v8, vcc_lo
	v_xor_b32_e32 v8, s19, v14
	s_delay_alu instid0(VALU_DEP_3) | instskip(NEXT) | instid1(VALU_DEP_2)
	v_xor_b32_e32 v3, v3, v7
	v_xor_b32_e32 v5, v5, v8
	s_delay_alu instid0(VALU_DEP_2) | instskip(NEXT) | instid1(VALU_DEP_2)
	v_sub_co_u32 v7, vcc_lo, v3, v7
	v_sub_co_ci_u32_e32 v8, vcc_lo, v5, v8, vcc_lo
.LBB48_17:                              ;   in Loop: Header=BB48_15 Depth=2
	s_and_not1_saveexec_b32 s0, s41
	s_cbranch_execz .LBB48_19
; %bb.18:                               ;   in Loop: Header=BB48_15 Depth=2
	v_cvt_f32_u32_e32 v3, s23
	s_sub_i32 s18, 0, s23
	s_delay_alu instid0(VALU_DEP_1) | instskip(SKIP_2) | instid1(VALU_DEP_1)
	v_rcp_iflag_f32_e32 v3, v3
	s_waitcnt_depctr 0xfff
	v_mul_f32_e32 v3, 0x4f7ffffe, v3
	v_cvt_u32_f32_e32 v3, v3
	s_delay_alu instid0(VALU_DEP_1) | instskip(NEXT) | instid1(VALU_DEP_1)
	v_mul_lo_u32 v5, s18, v3
	v_mul_hi_u32 v5, v3, v5
	s_delay_alu instid0(VALU_DEP_1) | instskip(NEXT) | instid1(VALU_DEP_1)
	v_add_nc_u32_e32 v3, v3, v5
	v_mul_hi_u32 v3, v9, v3
	s_delay_alu instid0(VALU_DEP_1) | instskip(SKIP_1) | instid1(VALU_DEP_2)
	v_mul_lo_u32 v5, v3, s23
	v_add_nc_u32_e32 v7, 1, v3
	v_sub_nc_u32_e32 v5, v9, v5
	s_delay_alu instid0(VALU_DEP_1) | instskip(SKIP_1) | instid1(VALU_DEP_2)
	v_subrev_nc_u32_e32 v8, s23, v5
	v_cmp_le_u32_e32 vcc_lo, s23, v5
	v_dual_cndmask_b32 v5, v5, v8 :: v_dual_mov_b32 v8, v2
	v_cndmask_b32_e32 v3, v3, v7, vcc_lo
	s_delay_alu instid0(VALU_DEP_2) | instskip(NEXT) | instid1(VALU_DEP_2)
	v_cmp_le_u32_e32 vcc_lo, s23, v5
	v_add_nc_u32_e32 v7, 1, v3
	s_delay_alu instid0(VALU_DEP_1)
	v_cndmask_b32_e32 v7, v3, v7, vcc_lo
.LBB48_19:                              ;   in Loop: Header=BB48_15 Depth=2
	s_or_b32 exec_lo, exec_lo, s0
	s_add_u32 s16, s30, s16
	s_addc_u32 s17, s1, s17
	s_delay_alu instid0(VALU_DEP_1) | instskip(SKIP_4) | instid1(VALU_DEP_1)
	v_mul_lo_u32 v3, v7, s23
	s_load_b32 s0, s[16:17], 0x0
	s_add_i32 s22, s22, -1
	s_add_i32 s14, s14, -1
	s_cmp_lg_u32 s22, 0
	v_sub_nc_u32_e32 v3, v9, v3
	s_waitcnt lgkmcnt(0)
	s_delay_alu instid0(VALU_DEP_1) | instskip(NEXT) | instid1(VALU_DEP_1)
	v_mad_u64_u32 v[9:10], null, s0, v3, v[4:5]
	v_mov_b32_e32 v4, v9
	s_cbranch_scc0 .LBB48_22
; %bb.20:                               ;   in Loop: Header=BB48_15 Depth=2
	v_dual_mov_b32 v10, v8 :: v_dual_mov_b32 v9, v7
	s_branch .LBB48_15
.LBB48_21:                              ;   in Loop: Header=BB48_3 Depth=1
	s_mov_b32 s14, s31
.LBB48_22:                              ;   in Loop: Header=BB48_3 Depth=1
	s_and_not1_b32 vcc_lo, exec_lo, s36
	s_cbranch_vccnz .LBB48_58
; %bb.23:                               ;   in Loop: Header=BB48_3 Depth=1
	s_add_i32 s16, s14, -7
.LBB48_24:                              ;   Parent Loop BB48_3 Depth=1
                                        ; =>  This Inner Loop Header: Depth=2
	s_delay_alu instid0(SALU_CYCLE_1) | instskip(NEXT) | instid1(SALU_CYCLE_1)
	s_add_i32 s14, s16, 7
                                        ; implicit-def: $vgpr9_vgpr10
	s_lshl_b64 s[18:19], s[14:15], 2
	s_mov_b32 s14, exec_lo
	s_add_u32 s20, s26, s18
	s_addc_u32 s21, s27, s19
	s_load_b32 s41, s[20:21], 0x0
	s_waitcnt lgkmcnt(0)
	s_ashr_i32 s0, s41, 31
	s_delay_alu instid0(SALU_CYCLE_1) | instskip(NEXT) | instid1(VALU_DEP_1)
	v_or_b32_e32 v3, s0, v8
	v_cmpx_ne_u64_e32 0, v[2:3]
	s_xor_b32 s14, exec_lo, s14
	s_cbranch_execz .LBB48_26
; %bb.25:                               ;   in Loop: Header=BB48_24 Depth=2
	s_add_u32 s22, s41, s0
	s_mov_b32 s20, s0
	s_mov_b32 s21, s0
	s_addc_u32 s23, s0, s0
	s_delay_alu instid0(SALU_CYCLE_1) | instskip(NEXT) | instid1(SALU_CYCLE_1)
	s_xor_b64 s[22:23], s[22:23], s[20:21]
	v_cvt_f32_u32_e32 v3, s22
	v_cvt_f32_u32_e32 v5, s23
	s_sub_u32 s0, 0, s22
	s_subb_u32 s17, 0, s23
	s_delay_alu instid0(VALU_DEP_1) | instskip(NEXT) | instid1(VALU_DEP_1)
	v_fmac_f32_e32 v3, 0x4f800000, v5
	v_rcp_f32_e32 v3, v3
	s_waitcnt_depctr 0xfff
	v_mul_f32_e32 v3, 0x5f7ffffc, v3
	s_delay_alu instid0(VALU_DEP_1) | instskip(NEXT) | instid1(VALU_DEP_1)
	v_mul_f32_e32 v5, 0x2f800000, v3
	v_trunc_f32_e32 v5, v5
	s_delay_alu instid0(VALU_DEP_1) | instskip(SKIP_1) | instid1(VALU_DEP_2)
	v_fmac_f32_e32 v3, 0xcf800000, v5
	v_cvt_u32_f32_e32 v5, v5
	v_cvt_u32_f32_e32 v3, v3
	s_delay_alu instid0(VALU_DEP_2) | instskip(NEXT) | instid1(VALU_DEP_2)
	v_mul_lo_u32 v9, s0, v5
	v_mul_hi_u32 v10, s0, v3
	v_mul_lo_u32 v11, s17, v3
	s_delay_alu instid0(VALU_DEP_2) | instskip(SKIP_1) | instid1(VALU_DEP_2)
	v_add_nc_u32_e32 v9, v10, v9
	v_mul_lo_u32 v10, s0, v3
	v_add_nc_u32_e32 v9, v9, v11
	s_delay_alu instid0(VALU_DEP_2) | instskip(NEXT) | instid1(VALU_DEP_2)
	v_mul_hi_u32 v11, v3, v10
	v_mul_lo_u32 v12, v3, v9
	v_mul_hi_u32 v13, v3, v9
	v_mul_hi_u32 v14, v5, v10
	v_mul_lo_u32 v10, v5, v10
	v_mul_hi_u32 v15, v5, v9
	v_mul_lo_u32 v9, v5, v9
	v_add_co_u32 v11, vcc_lo, v11, v12
	v_add_co_ci_u32_e32 v12, vcc_lo, 0, v13, vcc_lo
	s_delay_alu instid0(VALU_DEP_2) | instskip(NEXT) | instid1(VALU_DEP_2)
	v_add_co_u32 v10, vcc_lo, v11, v10
	v_add_co_ci_u32_e32 v10, vcc_lo, v12, v14, vcc_lo
	v_add_co_ci_u32_e32 v11, vcc_lo, 0, v15, vcc_lo
	v_ashrrev_i32_e32 v14, 31, v8
	s_delay_alu instid0(VALU_DEP_3) | instskip(NEXT) | instid1(VALU_DEP_3)
	v_add_co_u32 v9, vcc_lo, v10, v9
	v_add_co_ci_u32_e32 v10, vcc_lo, 0, v11, vcc_lo
	s_delay_alu instid0(VALU_DEP_2) | instskip(NEXT) | instid1(VALU_DEP_2)
	v_add_co_u32 v3, vcc_lo, v3, v9
	v_add_co_ci_u32_e32 v5, vcc_lo, v5, v10, vcc_lo
	s_delay_alu instid0(VALU_DEP_2) | instskip(SKIP_1) | instid1(VALU_DEP_3)
	v_mul_hi_u32 v9, s0, v3
	v_mul_lo_u32 v11, s17, v3
	v_mul_lo_u32 v10, s0, v5
	s_delay_alu instid0(VALU_DEP_1) | instskip(SKIP_1) | instid1(VALU_DEP_2)
	v_add_nc_u32_e32 v9, v9, v10
	v_mul_lo_u32 v10, s0, v3
	v_add_nc_u32_e32 v9, v9, v11
	s_delay_alu instid0(VALU_DEP_2) | instskip(NEXT) | instid1(VALU_DEP_2)
	v_mul_hi_u32 v11, v3, v10
	v_mul_lo_u32 v12, v3, v9
	v_mul_hi_u32 v13, v3, v9
	v_mul_hi_u32 v15, v5, v10
	v_mul_lo_u32 v10, v5, v10
	v_mul_hi_u32 v16, v5, v9
	v_mul_lo_u32 v9, v5, v9
	v_add_co_u32 v11, vcc_lo, v11, v12
	v_add_co_ci_u32_e32 v12, vcc_lo, 0, v13, vcc_lo
	s_delay_alu instid0(VALU_DEP_2) | instskip(NEXT) | instid1(VALU_DEP_2)
	v_add_co_u32 v10, vcc_lo, v11, v10
	v_add_co_ci_u32_e32 v10, vcc_lo, v12, v15, vcc_lo
	v_add_co_ci_u32_e32 v11, vcc_lo, 0, v16, vcc_lo
	v_add_co_u32 v12, vcc_lo, v7, v14
	v_add_co_ci_u32_e32 v8, vcc_lo, v8, v14, vcc_lo
	s_delay_alu instid0(VALU_DEP_4) | instskip(NEXT) | instid1(VALU_DEP_4)
	v_add_co_u32 v9, vcc_lo, v10, v9
	v_add_co_ci_u32_e32 v10, vcc_lo, 0, v11, vcc_lo
	s_delay_alu instid0(VALU_DEP_4) | instskip(NEXT) | instid1(VALU_DEP_3)
	v_xor_b32_e32 v15, v12, v14
	v_add_co_u32 v3, vcc_lo, v3, v9
	s_delay_alu instid0(VALU_DEP_3) | instskip(SKIP_1) | instid1(VALU_DEP_3)
	v_add_co_ci_u32_e32 v5, vcc_lo, v5, v10, vcc_lo
	v_xor_b32_e32 v16, v8, v14
	v_mul_hi_u32 v17, v15, v3
	s_delay_alu instid0(VALU_DEP_3) | instskip(NEXT) | instid1(VALU_DEP_3)
	v_mad_u64_u32 v[8:9], null, v15, v5, 0
	v_mad_u64_u32 v[10:11], null, v16, v3, 0
	;; [unrolled: 1-line block ×3, first 2 shown]
	s_delay_alu instid0(VALU_DEP_3) | instskip(NEXT) | instid1(VALU_DEP_4)
	v_add_co_u32 v3, vcc_lo, v17, v8
	v_add_co_ci_u32_e32 v5, vcc_lo, 0, v9, vcc_lo
	s_delay_alu instid0(VALU_DEP_2) | instskip(NEXT) | instid1(VALU_DEP_2)
	v_add_co_u32 v3, vcc_lo, v3, v10
	v_add_co_ci_u32_e32 v3, vcc_lo, v5, v11, vcc_lo
	v_add_co_ci_u32_e32 v5, vcc_lo, 0, v13, vcc_lo
	s_delay_alu instid0(VALU_DEP_2) | instskip(NEXT) | instid1(VALU_DEP_2)
	v_add_co_u32 v3, vcc_lo, v3, v12
	v_add_co_ci_u32_e32 v5, vcc_lo, 0, v5, vcc_lo
	s_delay_alu instid0(VALU_DEP_2) | instskip(SKIP_1) | instid1(VALU_DEP_3)
	v_mul_lo_u32 v10, s23, v3
	v_mad_u64_u32 v[8:9], null, s22, v3, 0
	v_mul_lo_u32 v11, s22, v5
	s_delay_alu instid0(VALU_DEP_2) | instskip(NEXT) | instid1(VALU_DEP_2)
	v_sub_co_u32 v8, vcc_lo, v15, v8
	v_add3_u32 v9, v9, v11, v10
	s_delay_alu instid0(VALU_DEP_1) | instskip(NEXT) | instid1(VALU_DEP_1)
	v_sub_nc_u32_e32 v10, v16, v9
	v_subrev_co_ci_u32_e64 v10, s0, s23, v10, vcc_lo
	v_add_co_u32 v11, s0, v3, 2
	s_delay_alu instid0(VALU_DEP_1) | instskip(SKIP_3) | instid1(VALU_DEP_3)
	v_add_co_ci_u32_e64 v12, s0, 0, v5, s0
	v_sub_co_u32 v13, s0, v8, s22
	v_sub_co_ci_u32_e32 v9, vcc_lo, v16, v9, vcc_lo
	v_subrev_co_ci_u32_e64 v10, s0, 0, v10, s0
	v_cmp_le_u32_e32 vcc_lo, s22, v13
	s_delay_alu instid0(VALU_DEP_3) | instskip(SKIP_1) | instid1(VALU_DEP_4)
	v_cmp_eq_u32_e64 s0, s23, v9
	v_cndmask_b32_e64 v13, 0, -1, vcc_lo
	v_cmp_le_u32_e32 vcc_lo, s23, v10
	v_cndmask_b32_e64 v15, 0, -1, vcc_lo
	v_cmp_le_u32_e32 vcc_lo, s22, v8
	;; [unrolled: 2-line block ×3, first 2 shown]
	v_cndmask_b32_e64 v16, 0, -1, vcc_lo
	v_cmp_eq_u32_e32 vcc_lo, s23, v10
	s_delay_alu instid0(VALU_DEP_2) | instskip(SKIP_3) | instid1(VALU_DEP_3)
	v_cndmask_b32_e64 v8, v16, v8, s0
	v_cndmask_b32_e32 v10, v15, v13, vcc_lo
	v_add_co_u32 v13, vcc_lo, v3, 1
	v_add_co_ci_u32_e32 v15, vcc_lo, 0, v5, vcc_lo
	v_cmp_ne_u32_e32 vcc_lo, 0, v10
	s_delay_alu instid0(VALU_DEP_2) | instskip(SKIP_2) | instid1(VALU_DEP_3)
	v_dual_cndmask_b32 v9, v15, v12 :: v_dual_cndmask_b32 v10, v13, v11
	v_cmp_ne_u32_e32 vcc_lo, 0, v8
	v_xor_b32_e32 v8, s20, v14
	v_cndmask_b32_e32 v3, v3, v10, vcc_lo
	s_delay_alu instid0(VALU_DEP_4) | instskip(SKIP_1) | instid1(VALU_DEP_3)
	v_cndmask_b32_e32 v5, v5, v9, vcc_lo
	v_xor_b32_e32 v10, s21, v14
	v_xor_b32_e32 v3, v3, v8
	s_delay_alu instid0(VALU_DEP_2) | instskip(NEXT) | instid1(VALU_DEP_2)
	v_xor_b32_e32 v5, v5, v10
	v_sub_co_u32 v9, vcc_lo, v3, v8
	s_delay_alu instid0(VALU_DEP_2)
	v_sub_co_ci_u32_e32 v10, vcc_lo, v5, v10, vcc_lo
.LBB48_26:                              ;   in Loop: Header=BB48_24 Depth=2
	s_and_not1_saveexec_b32 s0, s14
	s_cbranch_execz .LBB48_28
; %bb.27:                               ;   in Loop: Header=BB48_24 Depth=2
	v_cvt_f32_u32_e32 v3, s41
	s_sub_i32 s14, 0, s41
	v_mov_b32_e32 v10, v2
	s_delay_alu instid0(VALU_DEP_2) | instskip(SKIP_2) | instid1(VALU_DEP_1)
	v_rcp_iflag_f32_e32 v3, v3
	s_waitcnt_depctr 0xfff
	v_mul_f32_e32 v3, 0x4f7ffffe, v3
	v_cvt_u32_f32_e32 v3, v3
	s_delay_alu instid0(VALU_DEP_1) | instskip(NEXT) | instid1(VALU_DEP_1)
	v_mul_lo_u32 v5, s14, v3
	v_mul_hi_u32 v5, v3, v5
	s_delay_alu instid0(VALU_DEP_1) | instskip(NEXT) | instid1(VALU_DEP_1)
	v_add_nc_u32_e32 v3, v3, v5
	v_mul_hi_u32 v3, v7, v3
	s_delay_alu instid0(VALU_DEP_1) | instskip(NEXT) | instid1(VALU_DEP_1)
	v_mul_lo_u32 v5, v3, s41
	v_sub_nc_u32_e32 v5, v7, v5
	s_delay_alu instid0(VALU_DEP_1) | instskip(SKIP_1) | instid1(VALU_DEP_2)
	v_subrev_nc_u32_e32 v9, s41, v5
	v_cmp_le_u32_e32 vcc_lo, s41, v5
	v_dual_cndmask_b32 v5, v5, v9 :: v_dual_add_nc_u32 v8, 1, v3
	s_delay_alu instid0(VALU_DEP_1) | instskip(NEXT) | instid1(VALU_DEP_2)
	v_cndmask_b32_e32 v3, v3, v8, vcc_lo
	v_cmp_le_u32_e32 vcc_lo, s41, v5
	s_delay_alu instid0(VALU_DEP_2) | instskip(NEXT) | instid1(VALU_DEP_1)
	v_add_nc_u32_e32 v8, 1, v3
	v_cndmask_b32_e32 v9, v3, v8, vcc_lo
.LBB48_28:                              ;   in Loop: Header=BB48_24 Depth=2
	s_or_b32 exec_lo, exec_lo, s0
	s_add_u32 s20, s30, s18
	s_addc_u32 s21, s1, s19
	s_add_i32 s14, s16, 6
                                        ; implicit-def: $vgpr11_vgpr12
	s_delay_alu instid0(SALU_CYCLE_1)
	s_lshl_b64 s[18:19], s[14:15], 2
	s_mov_b32 s14, exec_lo
	s_add_u32 s22, s26, s18
	s_addc_u32 s23, s27, s19
	s_clause 0x1
	s_load_b32 s43, s[22:23], 0x0
	s_load_b32 s42, s[20:21], 0x0
	s_waitcnt lgkmcnt(0)
	s_ashr_i32 s0, s43, 31
	s_delay_alu instid0(SALU_CYCLE_1) | instskip(NEXT) | instid1(VALU_DEP_1)
	v_or_b32_e32 v3, s0, v10
	v_cmpx_ne_u64_e32 0, v[2:3]
	s_xor_b32 s14, exec_lo, s14
	s_cbranch_execz .LBB48_30
; %bb.29:                               ;   in Loop: Header=BB48_24 Depth=2
	s_add_u32 s22, s43, s0
	s_mov_b32 s20, s0
	s_mov_b32 s21, s0
	s_addc_u32 s23, s0, s0
	s_delay_alu instid0(SALU_CYCLE_1) | instskip(NEXT) | instid1(SALU_CYCLE_1)
	s_xor_b64 s[22:23], s[22:23], s[20:21]
	v_cvt_f32_u32_e32 v3, s22
	v_cvt_f32_u32_e32 v5, s23
	s_sub_u32 s0, 0, s22
	s_subb_u32 s17, 0, s23
	s_delay_alu instid0(VALU_DEP_1) | instskip(NEXT) | instid1(VALU_DEP_1)
	v_fmac_f32_e32 v3, 0x4f800000, v5
	v_rcp_f32_e32 v3, v3
	s_waitcnt_depctr 0xfff
	v_mul_f32_e32 v3, 0x5f7ffffc, v3
	s_delay_alu instid0(VALU_DEP_1) | instskip(NEXT) | instid1(VALU_DEP_1)
	v_mul_f32_e32 v5, 0x2f800000, v3
	v_trunc_f32_e32 v5, v5
	s_delay_alu instid0(VALU_DEP_1) | instskip(SKIP_1) | instid1(VALU_DEP_2)
	v_fmac_f32_e32 v3, 0xcf800000, v5
	v_cvt_u32_f32_e32 v5, v5
	v_cvt_u32_f32_e32 v3, v3
	s_delay_alu instid0(VALU_DEP_2) | instskip(NEXT) | instid1(VALU_DEP_2)
	v_mul_lo_u32 v8, s0, v5
	v_mul_hi_u32 v11, s0, v3
	v_mul_lo_u32 v12, s17, v3
	s_delay_alu instid0(VALU_DEP_2) | instskip(SKIP_1) | instid1(VALU_DEP_2)
	v_add_nc_u32_e32 v8, v11, v8
	v_mul_lo_u32 v11, s0, v3
	v_add_nc_u32_e32 v8, v8, v12
	s_delay_alu instid0(VALU_DEP_2) | instskip(NEXT) | instid1(VALU_DEP_2)
	v_mul_hi_u32 v12, v3, v11
	v_mul_lo_u32 v13, v3, v8
	v_mul_hi_u32 v14, v3, v8
	v_mul_hi_u32 v15, v5, v11
	v_mul_lo_u32 v11, v5, v11
	v_mul_hi_u32 v16, v5, v8
	v_mul_lo_u32 v8, v5, v8
	v_add_co_u32 v12, vcc_lo, v12, v13
	v_add_co_ci_u32_e32 v13, vcc_lo, 0, v14, vcc_lo
	s_delay_alu instid0(VALU_DEP_2) | instskip(NEXT) | instid1(VALU_DEP_2)
	v_add_co_u32 v11, vcc_lo, v12, v11
	v_add_co_ci_u32_e32 v11, vcc_lo, v13, v15, vcc_lo
	v_add_co_ci_u32_e32 v12, vcc_lo, 0, v16, vcc_lo
	v_ashrrev_i32_e32 v16, 31, v10
	s_delay_alu instid0(VALU_DEP_3) | instskip(NEXT) | instid1(VALU_DEP_3)
	v_add_co_u32 v8, vcc_lo, v11, v8
	v_add_co_ci_u32_e32 v11, vcc_lo, 0, v12, vcc_lo
	s_delay_alu instid0(VALU_DEP_2) | instskip(NEXT) | instid1(VALU_DEP_2)
	v_add_co_u32 v3, vcc_lo, v3, v8
	v_add_co_ci_u32_e32 v5, vcc_lo, v5, v11, vcc_lo
	s_delay_alu instid0(VALU_DEP_2) | instskip(SKIP_1) | instid1(VALU_DEP_3)
	v_mul_hi_u32 v8, s0, v3
	v_mul_lo_u32 v12, s17, v3
	v_mul_lo_u32 v11, s0, v5
	s_delay_alu instid0(VALU_DEP_1) | instskip(SKIP_1) | instid1(VALU_DEP_2)
	v_add_nc_u32_e32 v8, v8, v11
	v_mul_lo_u32 v11, s0, v3
	v_add_nc_u32_e32 v8, v8, v12
	s_delay_alu instid0(VALU_DEP_2) | instskip(NEXT) | instid1(VALU_DEP_2)
	v_mul_hi_u32 v12, v3, v11
	v_mul_lo_u32 v13, v3, v8
	v_mul_hi_u32 v14, v3, v8
	v_mul_hi_u32 v15, v5, v11
	v_mul_lo_u32 v11, v5, v11
	v_mul_hi_u32 v17, v5, v8
	v_mul_lo_u32 v8, v5, v8
	v_add_co_u32 v12, vcc_lo, v12, v13
	v_add_co_ci_u32_e32 v13, vcc_lo, 0, v14, vcc_lo
	s_delay_alu instid0(VALU_DEP_2) | instskip(NEXT) | instid1(VALU_DEP_2)
	v_add_co_u32 v11, vcc_lo, v12, v11
	v_add_co_ci_u32_e32 v11, vcc_lo, v13, v15, vcc_lo
	v_add_co_ci_u32_e32 v12, vcc_lo, 0, v17, vcc_lo
	v_add_co_u32 v13, vcc_lo, v9, v16
	v_add_co_ci_u32_e32 v10, vcc_lo, v10, v16, vcc_lo
	s_delay_alu instid0(VALU_DEP_4) | instskip(NEXT) | instid1(VALU_DEP_4)
	v_add_co_u32 v8, vcc_lo, v11, v8
	v_add_co_ci_u32_e32 v11, vcc_lo, 0, v12, vcc_lo
	s_delay_alu instid0(VALU_DEP_4) | instskip(NEXT) | instid1(VALU_DEP_3)
	v_xor_b32_e32 v17, v13, v16
	v_add_co_u32 v3, vcc_lo, v3, v8
	s_delay_alu instid0(VALU_DEP_3) | instskip(SKIP_1) | instid1(VALU_DEP_3)
	v_add_co_ci_u32_e32 v5, vcc_lo, v5, v11, vcc_lo
	v_xor_b32_e32 v8, v10, v16
	v_mul_hi_u32 v18, v17, v3
	s_delay_alu instid0(VALU_DEP_3) | instskip(NEXT) | instid1(VALU_DEP_3)
	v_mad_u64_u32 v[10:11], null, v17, v5, 0
	v_mad_u64_u32 v[12:13], null, v8, v3, 0
	;; [unrolled: 1-line block ×3, first 2 shown]
	s_delay_alu instid0(VALU_DEP_3) | instskip(NEXT) | instid1(VALU_DEP_4)
	v_add_co_u32 v3, vcc_lo, v18, v10
	v_add_co_ci_u32_e32 v5, vcc_lo, 0, v11, vcc_lo
	s_delay_alu instid0(VALU_DEP_2) | instskip(NEXT) | instid1(VALU_DEP_2)
	v_add_co_u32 v3, vcc_lo, v3, v12
	v_add_co_ci_u32_e32 v3, vcc_lo, v5, v13, vcc_lo
	v_add_co_ci_u32_e32 v5, vcc_lo, 0, v15, vcc_lo
	s_delay_alu instid0(VALU_DEP_2) | instskip(NEXT) | instid1(VALU_DEP_2)
	v_add_co_u32 v3, vcc_lo, v3, v14
	v_add_co_ci_u32_e32 v5, vcc_lo, 0, v5, vcc_lo
	s_delay_alu instid0(VALU_DEP_2) | instskip(SKIP_1) | instid1(VALU_DEP_3)
	v_mul_lo_u32 v12, s23, v3
	v_mad_u64_u32 v[10:11], null, s22, v3, 0
	v_mul_lo_u32 v13, s22, v5
	s_delay_alu instid0(VALU_DEP_2) | instskip(NEXT) | instid1(VALU_DEP_2)
	v_sub_co_u32 v10, vcc_lo, v17, v10
	v_add3_u32 v11, v11, v13, v12
	s_delay_alu instid0(VALU_DEP_1) | instskip(NEXT) | instid1(VALU_DEP_1)
	v_sub_nc_u32_e32 v12, v8, v11
	v_subrev_co_ci_u32_e64 v12, s0, s23, v12, vcc_lo
	v_add_co_u32 v13, s0, v3, 2
	s_delay_alu instid0(VALU_DEP_1) | instskip(SKIP_3) | instid1(VALU_DEP_3)
	v_add_co_ci_u32_e64 v14, s0, 0, v5, s0
	v_sub_co_u32 v15, s0, v10, s22
	v_sub_co_ci_u32_e32 v8, vcc_lo, v8, v11, vcc_lo
	v_subrev_co_ci_u32_e64 v12, s0, 0, v12, s0
	v_cmp_le_u32_e32 vcc_lo, s22, v15
	s_delay_alu instid0(VALU_DEP_3) | instskip(SKIP_1) | instid1(VALU_DEP_4)
	v_cmp_eq_u32_e64 s0, s23, v8
	v_cndmask_b32_e64 v11, 0, -1, vcc_lo
	v_cmp_le_u32_e32 vcc_lo, s23, v12
	v_cndmask_b32_e64 v15, 0, -1, vcc_lo
	v_cmp_le_u32_e32 vcc_lo, s22, v10
	;; [unrolled: 2-line block ×3, first 2 shown]
	v_cndmask_b32_e64 v17, 0, -1, vcc_lo
	v_cmp_eq_u32_e32 vcc_lo, s23, v12
	s_delay_alu instid0(VALU_DEP_2) | instskip(SKIP_3) | instid1(VALU_DEP_3)
	v_cndmask_b32_e64 v8, v17, v10, s0
	v_cndmask_b32_e32 v11, v15, v11, vcc_lo
	v_add_co_u32 v12, vcc_lo, v3, 1
	v_add_co_ci_u32_e32 v15, vcc_lo, 0, v5, vcc_lo
	v_cmp_ne_u32_e32 vcc_lo, 0, v11
	s_delay_alu instid0(VALU_DEP_2) | instskip(SKIP_2) | instid1(VALU_DEP_3)
	v_dual_cndmask_b32 v10, v15, v14 :: v_dual_cndmask_b32 v11, v12, v13
	v_cmp_ne_u32_e32 vcc_lo, 0, v8
	v_xor_b32_e32 v8, s20, v16
	v_cndmask_b32_e32 v3, v3, v11, vcc_lo
	s_delay_alu instid0(VALU_DEP_4) | instskip(SKIP_1) | instid1(VALU_DEP_3)
	v_cndmask_b32_e32 v5, v5, v10, vcc_lo
	v_xor_b32_e32 v10, s21, v16
	v_xor_b32_e32 v3, v3, v8
	s_delay_alu instid0(VALU_DEP_2) | instskip(NEXT) | instid1(VALU_DEP_2)
	v_xor_b32_e32 v5, v5, v10
	v_sub_co_u32 v11, vcc_lo, v3, v8
	s_delay_alu instid0(VALU_DEP_2)
	v_sub_co_ci_u32_e32 v12, vcc_lo, v5, v10, vcc_lo
.LBB48_30:                              ;   in Loop: Header=BB48_24 Depth=2
	s_and_not1_saveexec_b32 s0, s14
	s_cbranch_execz .LBB48_32
; %bb.31:                               ;   in Loop: Header=BB48_24 Depth=2
	v_cvt_f32_u32_e32 v3, s43
	s_sub_i32 s14, 0, s43
	v_mov_b32_e32 v12, v2
	s_delay_alu instid0(VALU_DEP_2) | instskip(SKIP_2) | instid1(VALU_DEP_1)
	v_rcp_iflag_f32_e32 v3, v3
	s_waitcnt_depctr 0xfff
	v_mul_f32_e32 v3, 0x4f7ffffe, v3
	v_cvt_u32_f32_e32 v3, v3
	s_delay_alu instid0(VALU_DEP_1) | instskip(NEXT) | instid1(VALU_DEP_1)
	v_mul_lo_u32 v5, s14, v3
	v_mul_hi_u32 v5, v3, v5
	s_delay_alu instid0(VALU_DEP_1) | instskip(NEXT) | instid1(VALU_DEP_1)
	v_add_nc_u32_e32 v3, v3, v5
	v_mul_hi_u32 v3, v9, v3
	s_delay_alu instid0(VALU_DEP_1) | instskip(NEXT) | instid1(VALU_DEP_1)
	v_mul_lo_u32 v5, v3, s43
	v_sub_nc_u32_e32 v5, v9, v5
	s_delay_alu instid0(VALU_DEP_1) | instskip(SKIP_1) | instid1(VALU_DEP_2)
	v_subrev_nc_u32_e32 v10, s43, v5
	v_cmp_le_u32_e32 vcc_lo, s43, v5
	v_dual_cndmask_b32 v5, v5, v10 :: v_dual_add_nc_u32 v8, 1, v3
	s_delay_alu instid0(VALU_DEP_1) | instskip(NEXT) | instid1(VALU_DEP_2)
	v_cndmask_b32_e32 v3, v3, v8, vcc_lo
	v_cmp_le_u32_e32 vcc_lo, s43, v5
	s_delay_alu instid0(VALU_DEP_2) | instskip(NEXT) | instid1(VALU_DEP_1)
	v_add_nc_u32_e32 v8, 1, v3
	v_cndmask_b32_e32 v11, v3, v8, vcc_lo
.LBB48_32:                              ;   in Loop: Header=BB48_24 Depth=2
	s_or_b32 exec_lo, exec_lo, s0
	s_add_u32 s20, s30, s18
	s_addc_u32 s21, s1, s19
	s_add_i32 s14, s16, 5
                                        ; implicit-def: $vgpr13_vgpr14
	s_delay_alu instid0(SALU_CYCLE_1)
	s_lshl_b64 s[18:19], s[14:15], 2
	s_mov_b32 s14, exec_lo
	s_add_u32 s22, s26, s18
	s_addc_u32 s23, s27, s19
	s_clause 0x1
	s_load_b32 s45, s[22:23], 0x0
	s_load_b32 s44, s[20:21], 0x0
	s_waitcnt lgkmcnt(0)
	s_ashr_i32 s0, s45, 31
	s_delay_alu instid0(SALU_CYCLE_1) | instskip(NEXT) | instid1(VALU_DEP_1)
	v_or_b32_e32 v3, s0, v12
	v_cmpx_ne_u64_e32 0, v[2:3]
	s_xor_b32 s14, exec_lo, s14
	s_cbranch_execz .LBB48_34
; %bb.33:                               ;   in Loop: Header=BB48_24 Depth=2
	s_add_u32 s22, s45, s0
	s_mov_b32 s20, s0
	s_mov_b32 s21, s0
	s_addc_u32 s23, s0, s0
	v_ashrrev_i32_e32 v18, 31, v12
	s_xor_b64 s[22:23], s[22:23], s[20:21]
	s_delay_alu instid0(SALU_CYCLE_1) | instskip(SKIP_3) | instid1(VALU_DEP_1)
	v_cvt_f32_u32_e32 v3, s22
	v_cvt_f32_u32_e32 v5, s23
	s_sub_u32 s0, 0, s22
	s_subb_u32 s17, 0, s23
	v_fmac_f32_e32 v3, 0x4f800000, v5
	s_delay_alu instid0(VALU_DEP_1) | instskip(SKIP_2) | instid1(VALU_DEP_1)
	v_rcp_f32_e32 v3, v3
	s_waitcnt_depctr 0xfff
	v_mul_f32_e32 v3, 0x5f7ffffc, v3
	v_mul_f32_e32 v5, 0x2f800000, v3
	s_delay_alu instid0(VALU_DEP_1) | instskip(NEXT) | instid1(VALU_DEP_1)
	v_trunc_f32_e32 v5, v5
	v_fmac_f32_e32 v3, 0xcf800000, v5
	v_cvt_u32_f32_e32 v5, v5
	s_delay_alu instid0(VALU_DEP_2) | instskip(NEXT) | instid1(VALU_DEP_2)
	v_cvt_u32_f32_e32 v3, v3
	v_mul_lo_u32 v8, s0, v5
	s_delay_alu instid0(VALU_DEP_2) | instskip(SKIP_1) | instid1(VALU_DEP_2)
	v_mul_hi_u32 v10, s0, v3
	v_mul_lo_u32 v13, s17, v3
	v_add_nc_u32_e32 v8, v10, v8
	v_mul_lo_u32 v10, s0, v3
	s_delay_alu instid0(VALU_DEP_2) | instskip(NEXT) | instid1(VALU_DEP_2)
	v_add_nc_u32_e32 v8, v8, v13
	v_mul_hi_u32 v13, v3, v10
	s_delay_alu instid0(VALU_DEP_2)
	v_mul_lo_u32 v14, v3, v8
	v_mul_hi_u32 v15, v3, v8
	v_mul_hi_u32 v16, v5, v10
	v_mul_lo_u32 v10, v5, v10
	v_mul_hi_u32 v17, v5, v8
	v_mul_lo_u32 v8, v5, v8
	v_add_co_u32 v13, vcc_lo, v13, v14
	v_add_co_ci_u32_e32 v14, vcc_lo, 0, v15, vcc_lo
	s_delay_alu instid0(VALU_DEP_2) | instskip(NEXT) | instid1(VALU_DEP_2)
	v_add_co_u32 v10, vcc_lo, v13, v10
	v_add_co_ci_u32_e32 v10, vcc_lo, v14, v16, vcc_lo
	v_add_co_ci_u32_e32 v13, vcc_lo, 0, v17, vcc_lo
	s_delay_alu instid0(VALU_DEP_2) | instskip(NEXT) | instid1(VALU_DEP_2)
	v_add_co_u32 v8, vcc_lo, v10, v8
	v_add_co_ci_u32_e32 v10, vcc_lo, 0, v13, vcc_lo
	s_delay_alu instid0(VALU_DEP_2) | instskip(NEXT) | instid1(VALU_DEP_2)
	v_add_co_u32 v3, vcc_lo, v3, v8
	v_add_co_ci_u32_e32 v5, vcc_lo, v5, v10, vcc_lo
	s_delay_alu instid0(VALU_DEP_2) | instskip(SKIP_1) | instid1(VALU_DEP_3)
	v_mul_hi_u32 v8, s0, v3
	v_mul_lo_u32 v13, s17, v3
	v_mul_lo_u32 v10, s0, v5
	s_delay_alu instid0(VALU_DEP_1) | instskip(SKIP_1) | instid1(VALU_DEP_2)
	v_add_nc_u32_e32 v8, v8, v10
	v_mul_lo_u32 v10, s0, v3
	v_add_nc_u32_e32 v8, v8, v13
	s_delay_alu instid0(VALU_DEP_2) | instskip(NEXT) | instid1(VALU_DEP_2)
	v_mul_hi_u32 v13, v3, v10
	v_mul_lo_u32 v14, v3, v8
	v_mul_hi_u32 v15, v3, v8
	v_mul_hi_u32 v16, v5, v10
	v_mul_lo_u32 v10, v5, v10
	v_mul_hi_u32 v17, v5, v8
	v_mul_lo_u32 v8, v5, v8
	v_add_co_u32 v13, vcc_lo, v13, v14
	v_add_co_ci_u32_e32 v14, vcc_lo, 0, v15, vcc_lo
	s_delay_alu instid0(VALU_DEP_2) | instskip(NEXT) | instid1(VALU_DEP_2)
	v_add_co_u32 v10, vcc_lo, v13, v10
	v_add_co_ci_u32_e32 v10, vcc_lo, v14, v16, vcc_lo
	v_add_co_ci_u32_e32 v13, vcc_lo, 0, v17, vcc_lo
	v_add_co_u32 v14, vcc_lo, v11, v18
	v_add_co_ci_u32_e32 v12, vcc_lo, v12, v18, vcc_lo
	s_delay_alu instid0(VALU_DEP_4) | instskip(NEXT) | instid1(VALU_DEP_4)
	v_add_co_u32 v8, vcc_lo, v10, v8
	v_add_co_ci_u32_e32 v10, vcc_lo, 0, v13, vcc_lo
	s_delay_alu instid0(VALU_DEP_4) | instskip(NEXT) | instid1(VALU_DEP_3)
	v_xor_b32_e32 v19, v14, v18
	v_add_co_u32 v3, vcc_lo, v3, v8
	s_delay_alu instid0(VALU_DEP_3) | instskip(SKIP_1) | instid1(VALU_DEP_3)
	v_add_co_ci_u32_e32 v5, vcc_lo, v5, v10, vcc_lo
	v_xor_b32_e32 v8, v12, v18
	v_mul_hi_u32 v10, v19, v3
	s_delay_alu instid0(VALU_DEP_3) | instskip(NEXT) | instid1(VALU_DEP_3)
	v_mad_u64_u32 v[12:13], null, v19, v5, 0
	v_mad_u64_u32 v[14:15], null, v8, v3, 0
	;; [unrolled: 1-line block ×3, first 2 shown]
	s_delay_alu instid0(VALU_DEP_3) | instskip(NEXT) | instid1(VALU_DEP_4)
	v_add_co_u32 v3, vcc_lo, v10, v12
	v_add_co_ci_u32_e32 v5, vcc_lo, 0, v13, vcc_lo
	s_delay_alu instid0(VALU_DEP_2) | instskip(NEXT) | instid1(VALU_DEP_2)
	v_add_co_u32 v3, vcc_lo, v3, v14
	v_add_co_ci_u32_e32 v3, vcc_lo, v5, v15, vcc_lo
	v_add_co_ci_u32_e32 v5, vcc_lo, 0, v17, vcc_lo
	s_delay_alu instid0(VALU_DEP_2) | instskip(NEXT) | instid1(VALU_DEP_2)
	v_add_co_u32 v3, vcc_lo, v3, v16
	v_add_co_ci_u32_e32 v5, vcc_lo, 0, v5, vcc_lo
	s_delay_alu instid0(VALU_DEP_2) | instskip(SKIP_1) | instid1(VALU_DEP_3)
	v_mul_lo_u32 v10, s23, v3
	v_mad_u64_u32 v[12:13], null, s22, v3, 0
	v_mul_lo_u32 v14, s22, v5
	s_delay_alu instid0(VALU_DEP_2) | instskip(NEXT) | instid1(VALU_DEP_2)
	v_sub_co_u32 v12, vcc_lo, v19, v12
	v_add3_u32 v10, v13, v14, v10
	s_delay_alu instid0(VALU_DEP_1) | instskip(NEXT) | instid1(VALU_DEP_1)
	v_sub_nc_u32_e32 v13, v8, v10
	v_subrev_co_ci_u32_e64 v13, s0, s23, v13, vcc_lo
	v_add_co_u32 v14, s0, v3, 2
	s_delay_alu instid0(VALU_DEP_1) | instskip(SKIP_3) | instid1(VALU_DEP_3)
	v_add_co_ci_u32_e64 v15, s0, 0, v5, s0
	v_sub_co_u32 v16, s0, v12, s22
	v_sub_co_ci_u32_e32 v8, vcc_lo, v8, v10, vcc_lo
	v_subrev_co_ci_u32_e64 v13, s0, 0, v13, s0
	v_cmp_le_u32_e32 vcc_lo, s22, v16
	s_delay_alu instid0(VALU_DEP_3) | instskip(SKIP_1) | instid1(VALU_DEP_4)
	v_cmp_eq_u32_e64 s0, s23, v8
	v_cndmask_b32_e64 v10, 0, -1, vcc_lo
	v_cmp_le_u32_e32 vcc_lo, s23, v13
	v_cndmask_b32_e64 v16, 0, -1, vcc_lo
	v_cmp_le_u32_e32 vcc_lo, s22, v12
	;; [unrolled: 2-line block ×3, first 2 shown]
	v_cndmask_b32_e64 v17, 0, -1, vcc_lo
	v_cmp_eq_u32_e32 vcc_lo, s23, v13
	s_delay_alu instid0(VALU_DEP_2) | instskip(SKIP_3) | instid1(VALU_DEP_3)
	v_cndmask_b32_e64 v8, v17, v12, s0
	v_cndmask_b32_e32 v10, v16, v10, vcc_lo
	v_add_co_u32 v13, vcc_lo, v3, 1
	v_add_co_ci_u32_e32 v16, vcc_lo, 0, v5, vcc_lo
	v_cmp_ne_u32_e32 vcc_lo, 0, v10
	s_delay_alu instid0(VALU_DEP_3) | instskip(NEXT) | instid1(VALU_DEP_3)
	v_cndmask_b32_e32 v12, v13, v14, vcc_lo
	v_cndmask_b32_e32 v10, v16, v15, vcc_lo
	v_cmp_ne_u32_e32 vcc_lo, 0, v8
	v_xor_b32_e32 v8, s20, v18
	s_delay_alu instid0(VALU_DEP_4) | instskip(NEXT) | instid1(VALU_DEP_4)
	v_cndmask_b32_e32 v3, v3, v12, vcc_lo
	v_cndmask_b32_e32 v5, v5, v10, vcc_lo
	v_xor_b32_e32 v10, s21, v18
	s_delay_alu instid0(VALU_DEP_3) | instskip(NEXT) | instid1(VALU_DEP_2)
	v_xor_b32_e32 v3, v3, v8
	v_xor_b32_e32 v5, v5, v10
	s_delay_alu instid0(VALU_DEP_2) | instskip(NEXT) | instid1(VALU_DEP_2)
	v_sub_co_u32 v13, vcc_lo, v3, v8
	v_sub_co_ci_u32_e32 v14, vcc_lo, v5, v10, vcc_lo
.LBB48_34:                              ;   in Loop: Header=BB48_24 Depth=2
	s_and_not1_saveexec_b32 s0, s14
	s_cbranch_execz .LBB48_36
; %bb.35:                               ;   in Loop: Header=BB48_24 Depth=2
	v_cvt_f32_u32_e32 v3, s45
	s_sub_i32 s14, 0, s45
	v_mov_b32_e32 v14, v2
	s_delay_alu instid0(VALU_DEP_2) | instskip(SKIP_2) | instid1(VALU_DEP_1)
	v_rcp_iflag_f32_e32 v3, v3
	s_waitcnt_depctr 0xfff
	v_mul_f32_e32 v3, 0x4f7ffffe, v3
	v_cvt_u32_f32_e32 v3, v3
	s_delay_alu instid0(VALU_DEP_1) | instskip(NEXT) | instid1(VALU_DEP_1)
	v_mul_lo_u32 v5, s14, v3
	v_mul_hi_u32 v5, v3, v5
	s_delay_alu instid0(VALU_DEP_1) | instskip(NEXT) | instid1(VALU_DEP_1)
	v_add_nc_u32_e32 v3, v3, v5
	v_mul_hi_u32 v3, v11, v3
	s_delay_alu instid0(VALU_DEP_1) | instskip(NEXT) | instid1(VALU_DEP_1)
	v_mul_lo_u32 v5, v3, s45
	v_sub_nc_u32_e32 v5, v11, v5
	s_delay_alu instid0(VALU_DEP_1) | instskip(SKIP_1) | instid1(VALU_DEP_2)
	v_subrev_nc_u32_e32 v10, s45, v5
	v_cmp_le_u32_e32 vcc_lo, s45, v5
	v_dual_cndmask_b32 v5, v5, v10 :: v_dual_add_nc_u32 v8, 1, v3
	s_delay_alu instid0(VALU_DEP_1) | instskip(NEXT) | instid1(VALU_DEP_2)
	v_cndmask_b32_e32 v3, v3, v8, vcc_lo
	v_cmp_le_u32_e32 vcc_lo, s45, v5
	s_delay_alu instid0(VALU_DEP_2) | instskip(NEXT) | instid1(VALU_DEP_1)
	v_add_nc_u32_e32 v8, 1, v3
	v_cndmask_b32_e32 v13, v3, v8, vcc_lo
.LBB48_36:                              ;   in Loop: Header=BB48_24 Depth=2
	s_or_b32 exec_lo, exec_lo, s0
	s_add_u32 s20, s30, s18
	s_addc_u32 s21, s1, s19
	s_add_i32 s14, s16, 4
                                        ; implicit-def: $vgpr15_vgpr16
	s_delay_alu instid0(SALU_CYCLE_1)
	s_lshl_b64 s[18:19], s[14:15], 2
	s_mov_b32 s14, exec_lo
	s_add_u32 s22, s26, s18
	s_addc_u32 s23, s27, s19
	s_clause 0x1
	s_load_b32 s47, s[22:23], 0x0
	s_load_b32 s46, s[20:21], 0x0
	s_waitcnt lgkmcnt(0)
	s_ashr_i32 s0, s47, 31
	s_delay_alu instid0(SALU_CYCLE_1) | instskip(NEXT) | instid1(VALU_DEP_1)
	v_or_b32_e32 v3, s0, v14
	v_cmpx_ne_u64_e32 0, v[2:3]
	s_xor_b32 s14, exec_lo, s14
	s_cbranch_execz .LBB48_38
; %bb.37:                               ;   in Loop: Header=BB48_24 Depth=2
	s_add_u32 s22, s47, s0
	s_mov_b32 s20, s0
	s_mov_b32 s21, s0
	s_addc_u32 s23, s0, s0
	v_ashrrev_i32_e32 v20, 31, v14
	s_xor_b64 s[22:23], s[22:23], s[20:21]
	s_delay_alu instid0(SALU_CYCLE_1) | instskip(SKIP_3) | instid1(VALU_DEP_1)
	v_cvt_f32_u32_e32 v3, s22
	v_cvt_f32_u32_e32 v5, s23
	s_sub_u32 s0, 0, s22
	s_subb_u32 s17, 0, s23
	v_fmac_f32_e32 v3, 0x4f800000, v5
	s_delay_alu instid0(VALU_DEP_1) | instskip(SKIP_2) | instid1(VALU_DEP_1)
	v_rcp_f32_e32 v3, v3
	s_waitcnt_depctr 0xfff
	v_mul_f32_e32 v3, 0x5f7ffffc, v3
	v_mul_f32_e32 v5, 0x2f800000, v3
	s_delay_alu instid0(VALU_DEP_1) | instskip(NEXT) | instid1(VALU_DEP_1)
	v_trunc_f32_e32 v5, v5
	v_fmac_f32_e32 v3, 0xcf800000, v5
	v_cvt_u32_f32_e32 v5, v5
	s_delay_alu instid0(VALU_DEP_2) | instskip(NEXT) | instid1(VALU_DEP_2)
	v_cvt_u32_f32_e32 v3, v3
	v_mul_lo_u32 v8, s0, v5
	s_delay_alu instid0(VALU_DEP_2) | instskip(SKIP_1) | instid1(VALU_DEP_2)
	v_mul_hi_u32 v10, s0, v3
	v_mul_lo_u32 v12, s17, v3
	v_add_nc_u32_e32 v8, v10, v8
	v_mul_lo_u32 v10, s0, v3
	s_delay_alu instid0(VALU_DEP_2) | instskip(NEXT) | instid1(VALU_DEP_2)
	v_add_nc_u32_e32 v8, v8, v12
	v_mul_hi_u32 v12, v3, v10
	s_delay_alu instid0(VALU_DEP_2)
	v_mul_lo_u32 v15, v3, v8
	v_mul_hi_u32 v16, v3, v8
	v_mul_hi_u32 v17, v5, v10
	v_mul_lo_u32 v10, v5, v10
	v_mul_hi_u32 v18, v5, v8
	v_mul_lo_u32 v8, v5, v8
	v_add_co_u32 v12, vcc_lo, v12, v15
	v_add_co_ci_u32_e32 v15, vcc_lo, 0, v16, vcc_lo
	s_delay_alu instid0(VALU_DEP_2) | instskip(NEXT) | instid1(VALU_DEP_2)
	v_add_co_u32 v10, vcc_lo, v12, v10
	v_add_co_ci_u32_e32 v10, vcc_lo, v15, v17, vcc_lo
	v_add_co_ci_u32_e32 v12, vcc_lo, 0, v18, vcc_lo
	s_delay_alu instid0(VALU_DEP_2) | instskip(NEXT) | instid1(VALU_DEP_2)
	v_add_co_u32 v8, vcc_lo, v10, v8
	v_add_co_ci_u32_e32 v10, vcc_lo, 0, v12, vcc_lo
	s_delay_alu instid0(VALU_DEP_2) | instskip(NEXT) | instid1(VALU_DEP_2)
	v_add_co_u32 v3, vcc_lo, v3, v8
	v_add_co_ci_u32_e32 v5, vcc_lo, v5, v10, vcc_lo
	s_delay_alu instid0(VALU_DEP_2) | instskip(SKIP_1) | instid1(VALU_DEP_3)
	v_mul_hi_u32 v8, s0, v3
	v_mul_lo_u32 v12, s17, v3
	v_mul_lo_u32 v10, s0, v5
	s_delay_alu instid0(VALU_DEP_1) | instskip(SKIP_1) | instid1(VALU_DEP_2)
	v_add_nc_u32_e32 v8, v8, v10
	v_mul_lo_u32 v10, s0, v3
	v_add_nc_u32_e32 v8, v8, v12
	s_delay_alu instid0(VALU_DEP_2) | instskip(NEXT) | instid1(VALU_DEP_2)
	v_mul_hi_u32 v12, v3, v10
	v_mul_lo_u32 v15, v3, v8
	v_mul_hi_u32 v16, v3, v8
	v_mul_hi_u32 v17, v5, v10
	v_mul_lo_u32 v10, v5, v10
	v_mul_hi_u32 v18, v5, v8
	v_mul_lo_u32 v8, v5, v8
	v_add_co_u32 v12, vcc_lo, v12, v15
	v_add_co_ci_u32_e32 v15, vcc_lo, 0, v16, vcc_lo
	s_delay_alu instid0(VALU_DEP_2) | instskip(NEXT) | instid1(VALU_DEP_2)
	v_add_co_u32 v10, vcc_lo, v12, v10
	v_add_co_ci_u32_e32 v10, vcc_lo, v15, v17, vcc_lo
	v_add_co_ci_u32_e32 v12, vcc_lo, 0, v18, vcc_lo
	v_add_co_u32 v15, vcc_lo, v13, v20
	v_add_co_ci_u32_e32 v14, vcc_lo, v14, v20, vcc_lo
	s_delay_alu instid0(VALU_DEP_4) | instskip(NEXT) | instid1(VALU_DEP_4)
	v_add_co_u32 v8, vcc_lo, v10, v8
	v_add_co_ci_u32_e32 v10, vcc_lo, 0, v12, vcc_lo
	s_delay_alu instid0(VALU_DEP_4) | instskip(NEXT) | instid1(VALU_DEP_3)
	v_xor_b32_e32 v12, v15, v20
	v_add_co_u32 v3, vcc_lo, v3, v8
	s_delay_alu instid0(VALU_DEP_3) | instskip(SKIP_1) | instid1(VALU_DEP_3)
	v_add_co_ci_u32_e32 v5, vcc_lo, v5, v10, vcc_lo
	v_xor_b32_e32 v8, v14, v20
	v_mul_hi_u32 v10, v12, v3
	s_delay_alu instid0(VALU_DEP_3) | instskip(NEXT) | instid1(VALU_DEP_3)
	v_mad_u64_u32 v[14:15], null, v12, v5, 0
	v_mad_u64_u32 v[16:17], null, v8, v3, 0
	;; [unrolled: 1-line block ×3, first 2 shown]
	s_delay_alu instid0(VALU_DEP_3) | instskip(NEXT) | instid1(VALU_DEP_4)
	v_add_co_u32 v3, vcc_lo, v10, v14
	v_add_co_ci_u32_e32 v5, vcc_lo, 0, v15, vcc_lo
	s_delay_alu instid0(VALU_DEP_2) | instskip(NEXT) | instid1(VALU_DEP_2)
	v_add_co_u32 v3, vcc_lo, v3, v16
	v_add_co_ci_u32_e32 v3, vcc_lo, v5, v17, vcc_lo
	v_add_co_ci_u32_e32 v5, vcc_lo, 0, v19, vcc_lo
	s_delay_alu instid0(VALU_DEP_2) | instskip(NEXT) | instid1(VALU_DEP_2)
	v_add_co_u32 v3, vcc_lo, v3, v18
	v_add_co_ci_u32_e32 v5, vcc_lo, 0, v5, vcc_lo
	s_delay_alu instid0(VALU_DEP_2) | instskip(SKIP_1) | instid1(VALU_DEP_3)
	v_mul_lo_u32 v10, s23, v3
	v_mad_u64_u32 v[14:15], null, s22, v3, 0
	v_mul_lo_u32 v16, s22, v5
	s_delay_alu instid0(VALU_DEP_2) | instskip(NEXT) | instid1(VALU_DEP_2)
	v_sub_co_u32 v12, vcc_lo, v12, v14
	v_add3_u32 v10, v15, v16, v10
	s_delay_alu instid0(VALU_DEP_1) | instskip(NEXT) | instid1(VALU_DEP_1)
	v_sub_nc_u32_e32 v15, v8, v10
	v_subrev_co_ci_u32_e64 v14, s0, s23, v15, vcc_lo
	v_add_co_u32 v15, s0, v3, 2
	s_delay_alu instid0(VALU_DEP_1) | instskip(SKIP_3) | instid1(VALU_DEP_3)
	v_add_co_ci_u32_e64 v16, s0, 0, v5, s0
	v_sub_co_u32 v17, s0, v12, s22
	v_sub_co_ci_u32_e32 v8, vcc_lo, v8, v10, vcc_lo
	v_subrev_co_ci_u32_e64 v14, s0, 0, v14, s0
	v_cmp_le_u32_e32 vcc_lo, s22, v17
	s_delay_alu instid0(VALU_DEP_3) | instskip(SKIP_1) | instid1(VALU_DEP_4)
	v_cmp_eq_u32_e64 s0, s23, v8
	v_cndmask_b32_e64 v10, 0, -1, vcc_lo
	v_cmp_le_u32_e32 vcc_lo, s23, v14
	v_cndmask_b32_e64 v17, 0, -1, vcc_lo
	v_cmp_le_u32_e32 vcc_lo, s22, v12
	;; [unrolled: 2-line block ×3, first 2 shown]
	v_cndmask_b32_e64 v18, 0, -1, vcc_lo
	v_cmp_eq_u32_e32 vcc_lo, s23, v14
	s_delay_alu instid0(VALU_DEP_2) | instskip(SKIP_3) | instid1(VALU_DEP_3)
	v_cndmask_b32_e64 v8, v18, v12, s0
	v_cndmask_b32_e32 v10, v17, v10, vcc_lo
	v_add_co_u32 v14, vcc_lo, v3, 1
	v_add_co_ci_u32_e32 v17, vcc_lo, 0, v5, vcc_lo
	v_cmp_ne_u32_e32 vcc_lo, 0, v10
	s_delay_alu instid0(VALU_DEP_2) | instskip(NEXT) | instid1(VALU_DEP_4)
	v_cndmask_b32_e32 v10, v17, v16, vcc_lo
	v_cndmask_b32_e32 v12, v14, v15, vcc_lo
	v_cmp_ne_u32_e32 vcc_lo, 0, v8
	v_xor_b32_e32 v8, s20, v20
	s_delay_alu instid0(VALU_DEP_4) | instskip(NEXT) | instid1(VALU_DEP_4)
	v_cndmask_b32_e32 v5, v5, v10, vcc_lo
	v_cndmask_b32_e32 v3, v3, v12, vcc_lo
	v_xor_b32_e32 v10, s21, v20
	s_delay_alu instid0(VALU_DEP_2) | instskip(NEXT) | instid1(VALU_DEP_2)
	v_xor_b32_e32 v3, v3, v8
	v_xor_b32_e32 v5, v5, v10
	s_delay_alu instid0(VALU_DEP_2) | instskip(NEXT) | instid1(VALU_DEP_2)
	v_sub_co_u32 v15, vcc_lo, v3, v8
	v_sub_co_ci_u32_e32 v16, vcc_lo, v5, v10, vcc_lo
.LBB48_38:                              ;   in Loop: Header=BB48_24 Depth=2
	s_and_not1_saveexec_b32 s0, s14
	s_cbranch_execz .LBB48_40
; %bb.39:                               ;   in Loop: Header=BB48_24 Depth=2
	v_cvt_f32_u32_e32 v3, s47
	s_sub_i32 s14, 0, s47
	v_mov_b32_e32 v16, v2
	s_delay_alu instid0(VALU_DEP_2) | instskip(SKIP_2) | instid1(VALU_DEP_1)
	v_rcp_iflag_f32_e32 v3, v3
	s_waitcnt_depctr 0xfff
	v_mul_f32_e32 v3, 0x4f7ffffe, v3
	v_cvt_u32_f32_e32 v3, v3
	s_delay_alu instid0(VALU_DEP_1) | instskip(NEXT) | instid1(VALU_DEP_1)
	v_mul_lo_u32 v5, s14, v3
	v_mul_hi_u32 v5, v3, v5
	s_delay_alu instid0(VALU_DEP_1) | instskip(NEXT) | instid1(VALU_DEP_1)
	v_add_nc_u32_e32 v3, v3, v5
	v_mul_hi_u32 v3, v13, v3
	s_delay_alu instid0(VALU_DEP_1) | instskip(NEXT) | instid1(VALU_DEP_1)
	v_mul_lo_u32 v5, v3, s47
	v_sub_nc_u32_e32 v5, v13, v5
	s_delay_alu instid0(VALU_DEP_1) | instskip(SKIP_1) | instid1(VALU_DEP_2)
	v_subrev_nc_u32_e32 v10, s47, v5
	v_cmp_le_u32_e32 vcc_lo, s47, v5
	v_dual_cndmask_b32 v5, v5, v10 :: v_dual_add_nc_u32 v8, 1, v3
	s_delay_alu instid0(VALU_DEP_1) | instskip(NEXT) | instid1(VALU_DEP_2)
	v_cndmask_b32_e32 v3, v3, v8, vcc_lo
	v_cmp_le_u32_e32 vcc_lo, s47, v5
	s_delay_alu instid0(VALU_DEP_2) | instskip(NEXT) | instid1(VALU_DEP_1)
	v_add_nc_u32_e32 v8, 1, v3
	v_cndmask_b32_e32 v15, v3, v8, vcc_lo
.LBB48_40:                              ;   in Loop: Header=BB48_24 Depth=2
	s_or_b32 exec_lo, exec_lo, s0
	s_add_u32 s20, s30, s18
	s_addc_u32 s21, s1, s19
	s_add_i32 s14, s16, 3
                                        ; implicit-def: $vgpr17_vgpr18
	s_delay_alu instid0(SALU_CYCLE_1)
	s_lshl_b64 s[18:19], s[14:15], 2
	s_mov_b32 s14, exec_lo
	s_add_u32 s22, s26, s18
	s_addc_u32 s23, s27, s19
	s_clause 0x1
	s_load_b32 s49, s[22:23], 0x0
	s_load_b32 s48, s[20:21], 0x0
	s_waitcnt lgkmcnt(0)
	s_ashr_i32 s0, s49, 31
	s_delay_alu instid0(SALU_CYCLE_1) | instskip(NEXT) | instid1(VALU_DEP_1)
	v_or_b32_e32 v3, s0, v16
	v_cmpx_ne_u64_e32 0, v[2:3]
	s_xor_b32 s14, exec_lo, s14
	s_cbranch_execz .LBB48_42
; %bb.41:                               ;   in Loop: Header=BB48_24 Depth=2
	s_add_u32 s22, s49, s0
	s_mov_b32 s20, s0
	s_mov_b32 s21, s0
	s_addc_u32 s23, s0, s0
	v_ashrrev_i32_e32 v22, 31, v16
	s_xor_b64 s[22:23], s[22:23], s[20:21]
	s_delay_alu instid0(SALU_CYCLE_1) | instskip(SKIP_3) | instid1(VALU_DEP_1)
	v_cvt_f32_u32_e32 v3, s22
	v_cvt_f32_u32_e32 v5, s23
	s_sub_u32 s0, 0, s22
	s_subb_u32 s17, 0, s23
	v_fmac_f32_e32 v3, 0x4f800000, v5
	s_delay_alu instid0(VALU_DEP_1) | instskip(SKIP_2) | instid1(VALU_DEP_1)
	v_rcp_f32_e32 v3, v3
	s_waitcnt_depctr 0xfff
	v_mul_f32_e32 v3, 0x5f7ffffc, v3
	v_mul_f32_e32 v5, 0x2f800000, v3
	s_delay_alu instid0(VALU_DEP_1) | instskip(NEXT) | instid1(VALU_DEP_1)
	v_trunc_f32_e32 v5, v5
	v_fmac_f32_e32 v3, 0xcf800000, v5
	v_cvt_u32_f32_e32 v5, v5
	s_delay_alu instid0(VALU_DEP_2) | instskip(NEXT) | instid1(VALU_DEP_2)
	v_cvt_u32_f32_e32 v3, v3
	v_mul_lo_u32 v8, s0, v5
	s_delay_alu instid0(VALU_DEP_2) | instskip(SKIP_1) | instid1(VALU_DEP_2)
	v_mul_hi_u32 v10, s0, v3
	v_mul_lo_u32 v12, s17, v3
	v_add_nc_u32_e32 v8, v10, v8
	v_mul_lo_u32 v10, s0, v3
	s_delay_alu instid0(VALU_DEP_2) | instskip(NEXT) | instid1(VALU_DEP_2)
	v_add_nc_u32_e32 v8, v8, v12
	v_mul_hi_u32 v12, v3, v10
	s_delay_alu instid0(VALU_DEP_2)
	v_mul_lo_u32 v14, v3, v8
	v_mul_hi_u32 v17, v3, v8
	v_mul_hi_u32 v18, v5, v10
	v_mul_lo_u32 v10, v5, v10
	v_mul_hi_u32 v19, v5, v8
	v_mul_lo_u32 v8, v5, v8
	v_add_co_u32 v12, vcc_lo, v12, v14
	v_add_co_ci_u32_e32 v14, vcc_lo, 0, v17, vcc_lo
	s_delay_alu instid0(VALU_DEP_2) | instskip(NEXT) | instid1(VALU_DEP_2)
	v_add_co_u32 v10, vcc_lo, v12, v10
	v_add_co_ci_u32_e32 v10, vcc_lo, v14, v18, vcc_lo
	v_add_co_ci_u32_e32 v12, vcc_lo, 0, v19, vcc_lo
	s_delay_alu instid0(VALU_DEP_2) | instskip(NEXT) | instid1(VALU_DEP_2)
	v_add_co_u32 v8, vcc_lo, v10, v8
	v_add_co_ci_u32_e32 v10, vcc_lo, 0, v12, vcc_lo
	s_delay_alu instid0(VALU_DEP_2) | instskip(NEXT) | instid1(VALU_DEP_2)
	v_add_co_u32 v3, vcc_lo, v3, v8
	v_add_co_ci_u32_e32 v5, vcc_lo, v5, v10, vcc_lo
	s_delay_alu instid0(VALU_DEP_2) | instskip(SKIP_1) | instid1(VALU_DEP_3)
	v_mul_hi_u32 v8, s0, v3
	v_mul_lo_u32 v12, s17, v3
	v_mul_lo_u32 v10, s0, v5
	s_delay_alu instid0(VALU_DEP_1) | instskip(SKIP_1) | instid1(VALU_DEP_2)
	v_add_nc_u32_e32 v8, v8, v10
	v_mul_lo_u32 v10, s0, v3
	v_add_nc_u32_e32 v8, v8, v12
	s_delay_alu instid0(VALU_DEP_2) | instskip(NEXT) | instid1(VALU_DEP_2)
	v_mul_hi_u32 v12, v3, v10
	v_mul_lo_u32 v14, v3, v8
	v_mul_hi_u32 v17, v3, v8
	v_mul_hi_u32 v18, v5, v10
	v_mul_lo_u32 v10, v5, v10
	v_mul_hi_u32 v19, v5, v8
	v_mul_lo_u32 v8, v5, v8
	v_add_co_u32 v12, vcc_lo, v12, v14
	v_add_co_ci_u32_e32 v14, vcc_lo, 0, v17, vcc_lo
	s_delay_alu instid0(VALU_DEP_2) | instskip(NEXT) | instid1(VALU_DEP_2)
	v_add_co_u32 v10, vcc_lo, v12, v10
	v_add_co_ci_u32_e32 v10, vcc_lo, v14, v18, vcc_lo
	v_add_co_ci_u32_e32 v12, vcc_lo, 0, v19, vcc_lo
	v_add_co_u32 v14, vcc_lo, v15, v22
	v_add_co_ci_u32_e32 v16, vcc_lo, v16, v22, vcc_lo
	s_delay_alu instid0(VALU_DEP_4) | instskip(NEXT) | instid1(VALU_DEP_4)
	v_add_co_u32 v8, vcc_lo, v10, v8
	v_add_co_ci_u32_e32 v10, vcc_lo, 0, v12, vcc_lo
	s_delay_alu instid0(VALU_DEP_4) | instskip(NEXT) | instid1(VALU_DEP_3)
	v_xor_b32_e32 v12, v14, v22
	v_add_co_u32 v3, vcc_lo, v3, v8
	s_delay_alu instid0(VALU_DEP_3) | instskip(SKIP_1) | instid1(VALU_DEP_3)
	v_add_co_ci_u32_e32 v5, vcc_lo, v5, v10, vcc_lo
	v_xor_b32_e32 v8, v16, v22
	v_mul_hi_u32 v10, v12, v3
	s_delay_alu instid0(VALU_DEP_3) | instskip(NEXT) | instid1(VALU_DEP_3)
	v_mad_u64_u32 v[16:17], null, v12, v5, 0
	v_mad_u64_u32 v[18:19], null, v8, v3, 0
	;; [unrolled: 1-line block ×3, first 2 shown]
	s_delay_alu instid0(VALU_DEP_3) | instskip(NEXT) | instid1(VALU_DEP_4)
	v_add_co_u32 v3, vcc_lo, v10, v16
	v_add_co_ci_u32_e32 v5, vcc_lo, 0, v17, vcc_lo
	s_delay_alu instid0(VALU_DEP_2) | instskip(NEXT) | instid1(VALU_DEP_2)
	v_add_co_u32 v3, vcc_lo, v3, v18
	v_add_co_ci_u32_e32 v3, vcc_lo, v5, v19, vcc_lo
	v_add_co_ci_u32_e32 v5, vcc_lo, 0, v21, vcc_lo
	s_delay_alu instid0(VALU_DEP_2) | instskip(NEXT) | instid1(VALU_DEP_2)
	v_add_co_u32 v3, vcc_lo, v3, v20
	v_add_co_ci_u32_e32 v5, vcc_lo, 0, v5, vcc_lo
	s_delay_alu instid0(VALU_DEP_2) | instskip(SKIP_1) | instid1(VALU_DEP_3)
	v_mul_lo_u32 v10, s23, v3
	v_mad_u64_u32 v[16:17], null, s22, v3, 0
	v_mul_lo_u32 v14, s22, v5
	s_delay_alu instid0(VALU_DEP_2) | instskip(NEXT) | instid1(VALU_DEP_2)
	v_sub_co_u32 v12, vcc_lo, v12, v16
	v_add3_u32 v10, v17, v14, v10
	s_delay_alu instid0(VALU_DEP_1) | instskip(NEXT) | instid1(VALU_DEP_1)
	v_sub_nc_u32_e32 v14, v8, v10
	v_subrev_co_ci_u32_e64 v14, s0, s23, v14, vcc_lo
	v_add_co_u32 v16, s0, v3, 2
	s_delay_alu instid0(VALU_DEP_1) | instskip(SKIP_3) | instid1(VALU_DEP_3)
	v_add_co_ci_u32_e64 v17, s0, 0, v5, s0
	v_sub_co_u32 v18, s0, v12, s22
	v_sub_co_ci_u32_e32 v8, vcc_lo, v8, v10, vcc_lo
	v_subrev_co_ci_u32_e64 v14, s0, 0, v14, s0
	v_cmp_le_u32_e32 vcc_lo, s22, v18
	s_delay_alu instid0(VALU_DEP_3) | instskip(SKIP_1) | instid1(VALU_DEP_4)
	v_cmp_eq_u32_e64 s0, s23, v8
	v_cndmask_b32_e64 v10, 0, -1, vcc_lo
	v_cmp_le_u32_e32 vcc_lo, s23, v14
	v_cndmask_b32_e64 v18, 0, -1, vcc_lo
	v_cmp_le_u32_e32 vcc_lo, s22, v12
	;; [unrolled: 2-line block ×3, first 2 shown]
	v_cndmask_b32_e64 v19, 0, -1, vcc_lo
	v_cmp_eq_u32_e32 vcc_lo, s23, v14
	s_delay_alu instid0(VALU_DEP_2) | instskip(SKIP_3) | instid1(VALU_DEP_3)
	v_cndmask_b32_e64 v8, v19, v12, s0
	v_cndmask_b32_e32 v10, v18, v10, vcc_lo
	v_add_co_u32 v14, vcc_lo, v3, 1
	v_add_co_ci_u32_e32 v18, vcc_lo, 0, v5, vcc_lo
	v_cmp_ne_u32_e32 vcc_lo, 0, v10
	s_delay_alu instid0(VALU_DEP_2) | instskip(NEXT) | instid1(VALU_DEP_4)
	v_cndmask_b32_e32 v10, v18, v17, vcc_lo
	v_cndmask_b32_e32 v12, v14, v16, vcc_lo
	v_cmp_ne_u32_e32 vcc_lo, 0, v8
	v_xor_b32_e32 v8, s20, v22
	s_delay_alu instid0(VALU_DEP_4) | instskip(NEXT) | instid1(VALU_DEP_4)
	v_cndmask_b32_e32 v5, v5, v10, vcc_lo
	v_cndmask_b32_e32 v3, v3, v12, vcc_lo
	v_xor_b32_e32 v10, s21, v22
	s_delay_alu instid0(VALU_DEP_2) | instskip(NEXT) | instid1(VALU_DEP_2)
	v_xor_b32_e32 v3, v3, v8
	v_xor_b32_e32 v5, v5, v10
	s_delay_alu instid0(VALU_DEP_2) | instskip(NEXT) | instid1(VALU_DEP_2)
	v_sub_co_u32 v17, vcc_lo, v3, v8
	v_sub_co_ci_u32_e32 v18, vcc_lo, v5, v10, vcc_lo
.LBB48_42:                              ;   in Loop: Header=BB48_24 Depth=2
	s_and_not1_saveexec_b32 s0, s14
	s_cbranch_execz .LBB48_44
; %bb.43:                               ;   in Loop: Header=BB48_24 Depth=2
	v_cvt_f32_u32_e32 v3, s49
	s_sub_i32 s14, 0, s49
	v_mov_b32_e32 v18, v2
	s_delay_alu instid0(VALU_DEP_2) | instskip(SKIP_2) | instid1(VALU_DEP_1)
	v_rcp_iflag_f32_e32 v3, v3
	s_waitcnt_depctr 0xfff
	v_mul_f32_e32 v3, 0x4f7ffffe, v3
	v_cvt_u32_f32_e32 v3, v3
	s_delay_alu instid0(VALU_DEP_1) | instskip(NEXT) | instid1(VALU_DEP_1)
	v_mul_lo_u32 v5, s14, v3
	v_mul_hi_u32 v5, v3, v5
	s_delay_alu instid0(VALU_DEP_1) | instskip(NEXT) | instid1(VALU_DEP_1)
	v_add_nc_u32_e32 v3, v3, v5
	v_mul_hi_u32 v3, v15, v3
	s_delay_alu instid0(VALU_DEP_1) | instskip(NEXT) | instid1(VALU_DEP_1)
	v_mul_lo_u32 v5, v3, s49
	v_sub_nc_u32_e32 v5, v15, v5
	s_delay_alu instid0(VALU_DEP_1) | instskip(SKIP_1) | instid1(VALU_DEP_2)
	v_subrev_nc_u32_e32 v10, s49, v5
	v_cmp_le_u32_e32 vcc_lo, s49, v5
	v_dual_cndmask_b32 v5, v5, v10 :: v_dual_add_nc_u32 v8, 1, v3
	s_delay_alu instid0(VALU_DEP_1) | instskip(NEXT) | instid1(VALU_DEP_2)
	v_cndmask_b32_e32 v3, v3, v8, vcc_lo
	v_cmp_le_u32_e32 vcc_lo, s49, v5
	s_delay_alu instid0(VALU_DEP_2) | instskip(NEXT) | instid1(VALU_DEP_1)
	v_add_nc_u32_e32 v8, 1, v3
	v_cndmask_b32_e32 v17, v3, v8, vcc_lo
.LBB48_44:                              ;   in Loop: Header=BB48_24 Depth=2
	s_or_b32 exec_lo, exec_lo, s0
	s_add_u32 s20, s30, s18
	s_addc_u32 s21, s1, s19
	s_add_i32 s14, s16, 2
                                        ; implicit-def: $vgpr19_vgpr20
	s_delay_alu instid0(SALU_CYCLE_1)
	s_lshl_b64 s[18:19], s[14:15], 2
	s_mov_b32 s14, exec_lo
	s_add_u32 s22, s26, s18
	s_addc_u32 s23, s27, s19
	s_clause 0x1
	s_load_b32 s51, s[22:23], 0x0
	s_load_b32 s50, s[20:21], 0x0
	s_waitcnt lgkmcnt(0)
	s_ashr_i32 s0, s51, 31
	s_delay_alu instid0(SALU_CYCLE_1) | instskip(NEXT) | instid1(VALU_DEP_1)
	v_or_b32_e32 v3, s0, v18
	v_cmpx_ne_u64_e32 0, v[2:3]
	s_xor_b32 s14, exec_lo, s14
	s_cbranch_execz .LBB48_46
; %bb.45:                               ;   in Loop: Header=BB48_24 Depth=2
	s_add_u32 s22, s51, s0
	s_mov_b32 s20, s0
	s_mov_b32 s21, s0
	s_addc_u32 s23, s0, s0
	v_ashrrev_i32_e32 v24, 31, v18
	s_xor_b64 s[22:23], s[22:23], s[20:21]
	s_delay_alu instid0(SALU_CYCLE_1) | instskip(SKIP_3) | instid1(VALU_DEP_1)
	v_cvt_f32_u32_e32 v3, s22
	v_cvt_f32_u32_e32 v5, s23
	s_sub_u32 s0, 0, s22
	s_subb_u32 s17, 0, s23
	v_fmac_f32_e32 v3, 0x4f800000, v5
	s_delay_alu instid0(VALU_DEP_1) | instskip(SKIP_2) | instid1(VALU_DEP_1)
	v_rcp_f32_e32 v3, v3
	s_waitcnt_depctr 0xfff
	v_mul_f32_e32 v3, 0x5f7ffffc, v3
	v_mul_f32_e32 v5, 0x2f800000, v3
	s_delay_alu instid0(VALU_DEP_1) | instskip(NEXT) | instid1(VALU_DEP_1)
	v_trunc_f32_e32 v5, v5
	v_fmac_f32_e32 v3, 0xcf800000, v5
	v_cvt_u32_f32_e32 v5, v5
	s_delay_alu instid0(VALU_DEP_2) | instskip(NEXT) | instid1(VALU_DEP_2)
	v_cvt_u32_f32_e32 v3, v3
	v_mul_lo_u32 v8, s0, v5
	s_delay_alu instid0(VALU_DEP_2) | instskip(SKIP_1) | instid1(VALU_DEP_2)
	v_mul_hi_u32 v10, s0, v3
	v_mul_lo_u32 v12, s17, v3
	v_add_nc_u32_e32 v8, v10, v8
	v_mul_lo_u32 v10, s0, v3
	s_delay_alu instid0(VALU_DEP_2) | instskip(NEXT) | instid1(VALU_DEP_2)
	v_add_nc_u32_e32 v8, v8, v12
	v_mul_hi_u32 v12, v3, v10
	s_delay_alu instid0(VALU_DEP_2)
	v_mul_lo_u32 v14, v3, v8
	v_mul_hi_u32 v16, v3, v8
	v_mul_hi_u32 v19, v5, v10
	v_mul_lo_u32 v10, v5, v10
	v_mul_hi_u32 v20, v5, v8
	v_mul_lo_u32 v8, v5, v8
	v_add_co_u32 v12, vcc_lo, v12, v14
	v_add_co_ci_u32_e32 v14, vcc_lo, 0, v16, vcc_lo
	s_delay_alu instid0(VALU_DEP_2) | instskip(NEXT) | instid1(VALU_DEP_2)
	v_add_co_u32 v10, vcc_lo, v12, v10
	v_add_co_ci_u32_e32 v10, vcc_lo, v14, v19, vcc_lo
	v_add_co_ci_u32_e32 v12, vcc_lo, 0, v20, vcc_lo
	s_delay_alu instid0(VALU_DEP_2) | instskip(NEXT) | instid1(VALU_DEP_2)
	v_add_co_u32 v8, vcc_lo, v10, v8
	v_add_co_ci_u32_e32 v10, vcc_lo, 0, v12, vcc_lo
	s_delay_alu instid0(VALU_DEP_2) | instskip(NEXT) | instid1(VALU_DEP_2)
	v_add_co_u32 v3, vcc_lo, v3, v8
	v_add_co_ci_u32_e32 v5, vcc_lo, v5, v10, vcc_lo
	s_delay_alu instid0(VALU_DEP_2) | instskip(SKIP_1) | instid1(VALU_DEP_3)
	v_mul_hi_u32 v8, s0, v3
	v_mul_lo_u32 v12, s17, v3
	v_mul_lo_u32 v10, s0, v5
	s_delay_alu instid0(VALU_DEP_1) | instskip(SKIP_1) | instid1(VALU_DEP_2)
	v_add_nc_u32_e32 v8, v8, v10
	v_mul_lo_u32 v10, s0, v3
	v_add_nc_u32_e32 v8, v8, v12
	s_delay_alu instid0(VALU_DEP_2) | instskip(NEXT) | instid1(VALU_DEP_2)
	v_mul_hi_u32 v12, v3, v10
	v_mul_lo_u32 v14, v3, v8
	v_mul_hi_u32 v16, v3, v8
	v_mul_hi_u32 v19, v5, v10
	v_mul_lo_u32 v10, v5, v10
	v_mul_hi_u32 v20, v5, v8
	v_mul_lo_u32 v8, v5, v8
	v_add_co_u32 v12, vcc_lo, v12, v14
	v_add_co_ci_u32_e32 v14, vcc_lo, 0, v16, vcc_lo
	s_delay_alu instid0(VALU_DEP_2) | instskip(NEXT) | instid1(VALU_DEP_2)
	v_add_co_u32 v10, vcc_lo, v12, v10
	v_add_co_ci_u32_e32 v10, vcc_lo, v14, v19, vcc_lo
	v_add_co_ci_u32_e32 v12, vcc_lo, 0, v20, vcc_lo
	v_add_co_u32 v14, vcc_lo, v17, v24
	v_add_co_ci_u32_e32 v16, vcc_lo, v18, v24, vcc_lo
	s_delay_alu instid0(VALU_DEP_4) | instskip(NEXT) | instid1(VALU_DEP_4)
	v_add_co_u32 v8, vcc_lo, v10, v8
	v_add_co_ci_u32_e32 v10, vcc_lo, 0, v12, vcc_lo
	s_delay_alu instid0(VALU_DEP_4) | instskip(NEXT) | instid1(VALU_DEP_3)
	v_xor_b32_e32 v12, v14, v24
	v_add_co_u32 v3, vcc_lo, v3, v8
	s_delay_alu instid0(VALU_DEP_3) | instskip(SKIP_1) | instid1(VALU_DEP_3)
	v_add_co_ci_u32_e32 v5, vcc_lo, v5, v10, vcc_lo
	v_xor_b32_e32 v8, v16, v24
	v_mul_hi_u32 v10, v12, v3
	s_delay_alu instid0(VALU_DEP_3) | instskip(NEXT) | instid1(VALU_DEP_3)
	v_mad_u64_u32 v[18:19], null, v12, v5, 0
	v_mad_u64_u32 v[20:21], null, v8, v3, 0
	;; [unrolled: 1-line block ×3, first 2 shown]
	s_delay_alu instid0(VALU_DEP_3) | instskip(NEXT) | instid1(VALU_DEP_4)
	v_add_co_u32 v3, vcc_lo, v10, v18
	v_add_co_ci_u32_e32 v5, vcc_lo, 0, v19, vcc_lo
	s_delay_alu instid0(VALU_DEP_2) | instskip(NEXT) | instid1(VALU_DEP_2)
	v_add_co_u32 v3, vcc_lo, v3, v20
	v_add_co_ci_u32_e32 v3, vcc_lo, v5, v21, vcc_lo
	v_add_co_ci_u32_e32 v5, vcc_lo, 0, v23, vcc_lo
	s_delay_alu instid0(VALU_DEP_2) | instskip(NEXT) | instid1(VALU_DEP_2)
	v_add_co_u32 v3, vcc_lo, v3, v22
	v_add_co_ci_u32_e32 v5, vcc_lo, 0, v5, vcc_lo
	s_delay_alu instid0(VALU_DEP_2) | instskip(SKIP_1) | instid1(VALU_DEP_3)
	v_mul_lo_u32 v10, s23, v3
	v_mad_u64_u32 v[18:19], null, s22, v3, 0
	v_mul_lo_u32 v14, s22, v5
	s_delay_alu instid0(VALU_DEP_2) | instskip(NEXT) | instid1(VALU_DEP_2)
	v_sub_co_u32 v12, vcc_lo, v12, v18
	v_add3_u32 v10, v19, v14, v10
	s_delay_alu instid0(VALU_DEP_1) | instskip(NEXT) | instid1(VALU_DEP_1)
	v_sub_nc_u32_e32 v14, v8, v10
	v_subrev_co_ci_u32_e64 v14, s0, s23, v14, vcc_lo
	v_add_co_u32 v16, s0, v3, 2
	s_delay_alu instid0(VALU_DEP_1) | instskip(SKIP_3) | instid1(VALU_DEP_3)
	v_add_co_ci_u32_e64 v18, s0, 0, v5, s0
	v_sub_co_u32 v19, s0, v12, s22
	v_sub_co_ci_u32_e32 v8, vcc_lo, v8, v10, vcc_lo
	v_subrev_co_ci_u32_e64 v14, s0, 0, v14, s0
	v_cmp_le_u32_e32 vcc_lo, s22, v19
	s_delay_alu instid0(VALU_DEP_3) | instskip(SKIP_1) | instid1(VALU_DEP_4)
	v_cmp_eq_u32_e64 s0, s23, v8
	v_cndmask_b32_e64 v10, 0, -1, vcc_lo
	v_cmp_le_u32_e32 vcc_lo, s23, v14
	v_cndmask_b32_e64 v19, 0, -1, vcc_lo
	v_cmp_le_u32_e32 vcc_lo, s22, v12
	;; [unrolled: 2-line block ×3, first 2 shown]
	v_cndmask_b32_e64 v20, 0, -1, vcc_lo
	v_cmp_eq_u32_e32 vcc_lo, s23, v14
	s_delay_alu instid0(VALU_DEP_2) | instskip(SKIP_3) | instid1(VALU_DEP_3)
	v_cndmask_b32_e64 v8, v20, v12, s0
	v_cndmask_b32_e32 v10, v19, v10, vcc_lo
	v_add_co_u32 v14, vcc_lo, v3, 1
	v_add_co_ci_u32_e32 v19, vcc_lo, 0, v5, vcc_lo
	v_cmp_ne_u32_e32 vcc_lo, 0, v10
	s_delay_alu instid0(VALU_DEP_2) | instskip(NEXT) | instid1(VALU_DEP_4)
	v_cndmask_b32_e32 v10, v19, v18, vcc_lo
	v_cndmask_b32_e32 v12, v14, v16, vcc_lo
	v_cmp_ne_u32_e32 vcc_lo, 0, v8
	v_xor_b32_e32 v8, s20, v24
	s_delay_alu instid0(VALU_DEP_4) | instskip(NEXT) | instid1(VALU_DEP_4)
	v_cndmask_b32_e32 v5, v5, v10, vcc_lo
	v_cndmask_b32_e32 v3, v3, v12, vcc_lo
	v_xor_b32_e32 v10, s21, v24
	s_delay_alu instid0(VALU_DEP_2) | instskip(NEXT) | instid1(VALU_DEP_2)
	v_xor_b32_e32 v3, v3, v8
	v_xor_b32_e32 v5, v5, v10
	s_delay_alu instid0(VALU_DEP_2) | instskip(NEXT) | instid1(VALU_DEP_2)
	v_sub_co_u32 v19, vcc_lo, v3, v8
	v_sub_co_ci_u32_e32 v20, vcc_lo, v5, v10, vcc_lo
.LBB48_46:                              ;   in Loop: Header=BB48_24 Depth=2
	s_and_not1_saveexec_b32 s0, s14
	s_cbranch_execz .LBB48_48
; %bb.47:                               ;   in Loop: Header=BB48_24 Depth=2
	v_cvt_f32_u32_e32 v3, s51
	s_sub_i32 s14, 0, s51
	v_mov_b32_e32 v20, v2
	s_delay_alu instid0(VALU_DEP_2) | instskip(SKIP_2) | instid1(VALU_DEP_1)
	v_rcp_iflag_f32_e32 v3, v3
	s_waitcnt_depctr 0xfff
	v_mul_f32_e32 v3, 0x4f7ffffe, v3
	v_cvt_u32_f32_e32 v3, v3
	s_delay_alu instid0(VALU_DEP_1) | instskip(NEXT) | instid1(VALU_DEP_1)
	v_mul_lo_u32 v5, s14, v3
	v_mul_hi_u32 v5, v3, v5
	s_delay_alu instid0(VALU_DEP_1) | instskip(NEXT) | instid1(VALU_DEP_1)
	v_add_nc_u32_e32 v3, v3, v5
	v_mul_hi_u32 v3, v17, v3
	s_delay_alu instid0(VALU_DEP_1) | instskip(NEXT) | instid1(VALU_DEP_1)
	v_mul_lo_u32 v5, v3, s51
	v_sub_nc_u32_e32 v5, v17, v5
	s_delay_alu instid0(VALU_DEP_1) | instskip(SKIP_1) | instid1(VALU_DEP_2)
	v_subrev_nc_u32_e32 v10, s51, v5
	v_cmp_le_u32_e32 vcc_lo, s51, v5
	v_dual_cndmask_b32 v5, v5, v10 :: v_dual_add_nc_u32 v8, 1, v3
	s_delay_alu instid0(VALU_DEP_1) | instskip(NEXT) | instid1(VALU_DEP_2)
	v_cndmask_b32_e32 v3, v3, v8, vcc_lo
	v_cmp_le_u32_e32 vcc_lo, s51, v5
	s_delay_alu instid0(VALU_DEP_2) | instskip(NEXT) | instid1(VALU_DEP_1)
	v_add_nc_u32_e32 v8, 1, v3
	v_cndmask_b32_e32 v19, v3, v8, vcc_lo
.LBB48_48:                              ;   in Loop: Header=BB48_24 Depth=2
	s_or_b32 exec_lo, exec_lo, s0
	s_add_u32 s20, s30, s18
	s_addc_u32 s21, s1, s19
	s_add_i32 s14, s16, 1
	s_mov_b32 s17, exec_lo
	s_lshl_b64 s[18:19], s[14:15], 2
                                        ; implicit-def: $vgpr21_vgpr22
	s_delay_alu instid0(SALU_CYCLE_1)
	s_add_u32 s22, s26, s18
	s_addc_u32 s23, s27, s19
	s_clause 0x1
	s_load_b32 s52, s[22:23], 0x0
	s_load_b32 s14, s[20:21], 0x0
	s_waitcnt lgkmcnt(0)
	s_ashr_i32 s0, s52, 31
	s_delay_alu instid0(SALU_CYCLE_1) | instskip(NEXT) | instid1(VALU_DEP_1)
	v_or_b32_e32 v3, s0, v20
	v_cmpx_ne_u64_e32 0, v[2:3]
	s_xor_b32 s17, exec_lo, s17
	s_cbranch_execz .LBB48_50
; %bb.49:                               ;   in Loop: Header=BB48_24 Depth=2
	s_add_u32 s22, s52, s0
	s_mov_b32 s20, s0
	s_mov_b32 s21, s0
	s_addc_u32 s23, s0, s0
	s_delay_alu instid0(SALU_CYCLE_1) | instskip(NEXT) | instid1(SALU_CYCLE_1)
	s_xor_b64 s[22:23], s[22:23], s[20:21]
	v_cvt_f32_u32_e32 v3, s22
	v_cvt_f32_u32_e32 v5, s23
	s_sub_u32 s0, 0, s22
	s_subb_u32 s53, 0, s23
	s_delay_alu instid0(VALU_DEP_1) | instskip(NEXT) | instid1(VALU_DEP_1)
	v_fmac_f32_e32 v3, 0x4f800000, v5
	v_rcp_f32_e32 v3, v3
	s_waitcnt_depctr 0xfff
	v_mul_f32_e32 v3, 0x5f7ffffc, v3
	s_delay_alu instid0(VALU_DEP_1) | instskip(NEXT) | instid1(VALU_DEP_1)
	v_mul_f32_e32 v5, 0x2f800000, v3
	v_trunc_f32_e32 v5, v5
	s_delay_alu instid0(VALU_DEP_1) | instskip(SKIP_1) | instid1(VALU_DEP_2)
	v_fmac_f32_e32 v3, 0xcf800000, v5
	v_cvt_u32_f32_e32 v5, v5
	v_cvt_u32_f32_e32 v3, v3
	s_delay_alu instid0(VALU_DEP_2) | instskip(NEXT) | instid1(VALU_DEP_2)
	v_mul_lo_u32 v8, s0, v5
	v_mul_hi_u32 v10, s0, v3
	v_mul_lo_u32 v12, s53, v3
	s_delay_alu instid0(VALU_DEP_2) | instskip(SKIP_1) | instid1(VALU_DEP_2)
	v_add_nc_u32_e32 v8, v10, v8
	v_mul_lo_u32 v10, s0, v3
	v_add_nc_u32_e32 v8, v8, v12
	s_delay_alu instid0(VALU_DEP_2) | instskip(NEXT) | instid1(VALU_DEP_2)
	v_mul_hi_u32 v12, v3, v10
	v_mul_lo_u32 v14, v3, v8
	v_mul_hi_u32 v16, v3, v8
	v_mul_hi_u32 v18, v5, v10
	v_mul_lo_u32 v10, v5, v10
	v_mul_hi_u32 v21, v5, v8
	v_mul_lo_u32 v8, v5, v8
	v_add_co_u32 v12, vcc_lo, v12, v14
	v_add_co_ci_u32_e32 v14, vcc_lo, 0, v16, vcc_lo
	s_delay_alu instid0(VALU_DEP_2) | instskip(NEXT) | instid1(VALU_DEP_2)
	v_add_co_u32 v10, vcc_lo, v12, v10
	v_add_co_ci_u32_e32 v10, vcc_lo, v14, v18, vcc_lo
	v_add_co_ci_u32_e32 v12, vcc_lo, 0, v21, vcc_lo
	v_ashrrev_i32_e32 v18, 31, v20
	s_delay_alu instid0(VALU_DEP_3) | instskip(NEXT) | instid1(VALU_DEP_3)
	v_add_co_u32 v8, vcc_lo, v10, v8
	v_add_co_ci_u32_e32 v10, vcc_lo, 0, v12, vcc_lo
	s_delay_alu instid0(VALU_DEP_2) | instskip(NEXT) | instid1(VALU_DEP_2)
	v_add_co_u32 v3, vcc_lo, v3, v8
	v_add_co_ci_u32_e32 v5, vcc_lo, v5, v10, vcc_lo
	s_delay_alu instid0(VALU_DEP_2) | instskip(SKIP_1) | instid1(VALU_DEP_3)
	v_mul_hi_u32 v8, s0, v3
	v_mul_lo_u32 v12, s53, v3
	v_mul_lo_u32 v10, s0, v5
	s_delay_alu instid0(VALU_DEP_1) | instskip(SKIP_1) | instid1(VALU_DEP_2)
	v_add_nc_u32_e32 v8, v8, v10
	v_mul_lo_u32 v10, s0, v3
	v_add_nc_u32_e32 v8, v8, v12
	s_delay_alu instid0(VALU_DEP_2) | instskip(NEXT) | instid1(VALU_DEP_2)
	v_mul_hi_u32 v12, v3, v10
	v_mul_lo_u32 v14, v3, v8
	v_mul_hi_u32 v16, v3, v8
	v_mul_hi_u32 v21, v5, v10
	v_mul_lo_u32 v10, v5, v10
	v_mul_hi_u32 v22, v5, v8
	v_mul_lo_u32 v8, v5, v8
	v_add_co_u32 v12, vcc_lo, v12, v14
	v_add_co_ci_u32_e32 v14, vcc_lo, 0, v16, vcc_lo
	s_delay_alu instid0(VALU_DEP_2) | instskip(NEXT) | instid1(VALU_DEP_2)
	v_add_co_u32 v10, vcc_lo, v12, v10
	v_add_co_ci_u32_e32 v10, vcc_lo, v14, v21, vcc_lo
	v_add_co_ci_u32_e32 v12, vcc_lo, 0, v22, vcc_lo
	v_add_co_u32 v14, vcc_lo, v19, v18
	v_add_co_ci_u32_e32 v16, vcc_lo, v20, v18, vcc_lo
	s_delay_alu instid0(VALU_DEP_4) | instskip(NEXT) | instid1(VALU_DEP_4)
	v_add_co_u32 v8, vcc_lo, v10, v8
	v_add_co_ci_u32_e32 v10, vcc_lo, 0, v12, vcc_lo
	s_delay_alu instid0(VALU_DEP_4) | instskip(NEXT) | instid1(VALU_DEP_3)
	v_xor_b32_e32 v12, v14, v18
	v_add_co_u32 v3, vcc_lo, v3, v8
	s_delay_alu instid0(VALU_DEP_3) | instskip(SKIP_1) | instid1(VALU_DEP_3)
	v_add_co_ci_u32_e32 v5, vcc_lo, v5, v10, vcc_lo
	v_xor_b32_e32 v8, v16, v18
	v_mul_hi_u32 v10, v12, v3
	s_delay_alu instid0(VALU_DEP_3) | instskip(NEXT) | instid1(VALU_DEP_3)
	v_mad_u64_u32 v[20:21], null, v12, v5, 0
	v_mad_u64_u32 v[22:23], null, v8, v3, 0
	v_mad_u64_u32 v[28:29], null, v8, v5, 0
	s_delay_alu instid0(VALU_DEP_3) | instskip(NEXT) | instid1(VALU_DEP_4)
	v_add_co_u32 v3, vcc_lo, v10, v20
	v_add_co_ci_u32_e32 v5, vcc_lo, 0, v21, vcc_lo
	s_delay_alu instid0(VALU_DEP_2) | instskip(NEXT) | instid1(VALU_DEP_2)
	v_add_co_u32 v3, vcc_lo, v3, v22
	v_add_co_ci_u32_e32 v3, vcc_lo, v5, v23, vcc_lo
	v_add_co_ci_u32_e32 v5, vcc_lo, 0, v29, vcc_lo
	s_delay_alu instid0(VALU_DEP_2) | instskip(NEXT) | instid1(VALU_DEP_2)
	v_add_co_u32 v3, vcc_lo, v3, v28
	v_add_co_ci_u32_e32 v5, vcc_lo, 0, v5, vcc_lo
	s_delay_alu instid0(VALU_DEP_2) | instskip(SKIP_1) | instid1(VALU_DEP_3)
	v_mul_lo_u32 v10, s23, v3
	v_mad_u64_u32 v[20:21], null, s22, v3, 0
	v_mul_lo_u32 v14, s22, v5
	s_delay_alu instid0(VALU_DEP_2) | instskip(NEXT) | instid1(VALU_DEP_2)
	v_sub_co_u32 v12, vcc_lo, v12, v20
	v_add3_u32 v10, v21, v14, v10
	s_delay_alu instid0(VALU_DEP_1) | instskip(NEXT) | instid1(VALU_DEP_1)
	v_sub_nc_u32_e32 v14, v8, v10
	v_subrev_co_ci_u32_e64 v14, s0, s23, v14, vcc_lo
	v_add_co_u32 v16, s0, v3, 2
	s_delay_alu instid0(VALU_DEP_1) | instskip(SKIP_3) | instid1(VALU_DEP_3)
	v_add_co_ci_u32_e64 v20, s0, 0, v5, s0
	v_sub_co_u32 v21, s0, v12, s22
	v_sub_co_ci_u32_e32 v8, vcc_lo, v8, v10, vcc_lo
	v_subrev_co_ci_u32_e64 v14, s0, 0, v14, s0
	v_cmp_le_u32_e32 vcc_lo, s22, v21
	s_delay_alu instid0(VALU_DEP_3) | instskip(SKIP_1) | instid1(VALU_DEP_4)
	v_cmp_eq_u32_e64 s0, s23, v8
	v_cndmask_b32_e64 v10, 0, -1, vcc_lo
	v_cmp_le_u32_e32 vcc_lo, s23, v14
	v_cndmask_b32_e64 v21, 0, -1, vcc_lo
	v_cmp_le_u32_e32 vcc_lo, s22, v12
	;; [unrolled: 2-line block ×3, first 2 shown]
	v_cndmask_b32_e64 v22, 0, -1, vcc_lo
	v_cmp_eq_u32_e32 vcc_lo, s23, v14
	s_delay_alu instid0(VALU_DEP_2) | instskip(SKIP_3) | instid1(VALU_DEP_3)
	v_cndmask_b32_e64 v8, v22, v12, s0
	v_cndmask_b32_e32 v10, v21, v10, vcc_lo
	v_add_co_u32 v14, vcc_lo, v3, 1
	v_add_co_ci_u32_e32 v21, vcc_lo, 0, v5, vcc_lo
	v_cmp_ne_u32_e32 vcc_lo, 0, v10
	s_delay_alu instid0(VALU_DEP_2) | instskip(NEXT) | instid1(VALU_DEP_4)
	v_cndmask_b32_e32 v10, v21, v20, vcc_lo
	v_cndmask_b32_e32 v12, v14, v16, vcc_lo
	v_cmp_ne_u32_e32 vcc_lo, 0, v8
	v_xor_b32_e32 v8, s20, v18
	s_delay_alu instid0(VALU_DEP_4) | instskip(NEXT) | instid1(VALU_DEP_4)
	v_cndmask_b32_e32 v5, v5, v10, vcc_lo
	v_cndmask_b32_e32 v3, v3, v12, vcc_lo
	v_xor_b32_e32 v10, s21, v18
	s_delay_alu instid0(VALU_DEP_2) | instskip(NEXT) | instid1(VALU_DEP_2)
	v_xor_b32_e32 v3, v3, v8
	v_xor_b32_e32 v5, v5, v10
	s_delay_alu instid0(VALU_DEP_2) | instskip(NEXT) | instid1(VALU_DEP_2)
	v_sub_co_u32 v21, vcc_lo, v3, v8
	v_sub_co_ci_u32_e32 v22, vcc_lo, v5, v10, vcc_lo
.LBB48_50:                              ;   in Loop: Header=BB48_24 Depth=2
	s_and_not1_saveexec_b32 s0, s17
	s_cbranch_execz .LBB48_52
; %bb.51:                               ;   in Loop: Header=BB48_24 Depth=2
	v_cvt_f32_u32_e32 v3, s52
	s_sub_i32 s17, 0, s52
	v_mov_b32_e32 v22, v2
	s_delay_alu instid0(VALU_DEP_2) | instskip(SKIP_2) | instid1(VALU_DEP_1)
	v_rcp_iflag_f32_e32 v3, v3
	s_waitcnt_depctr 0xfff
	v_mul_f32_e32 v3, 0x4f7ffffe, v3
	v_cvt_u32_f32_e32 v3, v3
	s_delay_alu instid0(VALU_DEP_1) | instskip(NEXT) | instid1(VALU_DEP_1)
	v_mul_lo_u32 v5, s17, v3
	v_mul_hi_u32 v5, v3, v5
	s_delay_alu instid0(VALU_DEP_1) | instskip(NEXT) | instid1(VALU_DEP_1)
	v_add_nc_u32_e32 v3, v3, v5
	v_mul_hi_u32 v3, v19, v3
	s_delay_alu instid0(VALU_DEP_1) | instskip(NEXT) | instid1(VALU_DEP_1)
	v_mul_lo_u32 v5, v3, s52
	v_sub_nc_u32_e32 v5, v19, v5
	s_delay_alu instid0(VALU_DEP_1) | instskip(SKIP_1) | instid1(VALU_DEP_2)
	v_subrev_nc_u32_e32 v10, s52, v5
	v_cmp_le_u32_e32 vcc_lo, s52, v5
	v_dual_cndmask_b32 v5, v5, v10 :: v_dual_add_nc_u32 v8, 1, v3
	s_delay_alu instid0(VALU_DEP_1) | instskip(NEXT) | instid1(VALU_DEP_2)
	v_cndmask_b32_e32 v3, v3, v8, vcc_lo
	v_cmp_le_u32_e32 vcc_lo, s52, v5
	s_delay_alu instid0(VALU_DEP_2) | instskip(NEXT) | instid1(VALU_DEP_1)
	v_add_nc_u32_e32 v8, 1, v3
	v_cndmask_b32_e32 v21, v3, v8, vcc_lo
.LBB48_52:                              ;   in Loop: Header=BB48_24 Depth=2
	s_or_b32 exec_lo, exec_lo, s0
	s_mov_b32 s17, s15
	s_add_u32 s20, s30, s18
	s_addc_u32 s21, s1, s19
	s_lshl_b64 s[18:19], s[16:17], 2
                                        ; implicit-def: $vgpr23_vgpr24
	s_delay_alu instid0(SALU_CYCLE_1)
	s_add_u32 s22, s26, s18
	s_addc_u32 s23, s27, s19
	s_clause 0x1
	s_load_b32 s53, s[22:23], 0x0
	s_load_b32 s17, s[20:21], 0x0
	s_mov_b32 s20, exec_lo
	s_waitcnt lgkmcnt(0)
	s_ashr_i32 s0, s53, 31
	s_delay_alu instid0(SALU_CYCLE_1) | instskip(NEXT) | instid1(VALU_DEP_1)
	v_or_b32_e32 v3, s0, v22
	v_cmpx_ne_u64_e32 0, v[2:3]
	s_xor_b32 s54, exec_lo, s20
	s_cbranch_execz .LBB48_54
; %bb.53:                               ;   in Loop: Header=BB48_24 Depth=2
	s_add_u32 s22, s53, s0
	s_mov_b32 s20, s0
	s_mov_b32 s21, s0
	s_addc_u32 s23, s0, s0
	s_delay_alu instid0(SALU_CYCLE_1) | instskip(NEXT) | instid1(SALU_CYCLE_1)
	s_xor_b64 s[22:23], s[22:23], s[20:21]
	v_cvt_f32_u32_e32 v3, s22
	v_cvt_f32_u32_e32 v5, s23
	s_sub_u32 s0, 0, s22
	s_subb_u32 s55, 0, s23
	s_delay_alu instid0(VALU_DEP_1) | instskip(NEXT) | instid1(VALU_DEP_1)
	v_fmac_f32_e32 v3, 0x4f800000, v5
	v_rcp_f32_e32 v3, v3
	s_waitcnt_depctr 0xfff
	v_mul_f32_e32 v3, 0x5f7ffffc, v3
	s_delay_alu instid0(VALU_DEP_1) | instskip(NEXT) | instid1(VALU_DEP_1)
	v_mul_f32_e32 v5, 0x2f800000, v3
	v_trunc_f32_e32 v5, v5
	s_delay_alu instid0(VALU_DEP_1) | instskip(SKIP_1) | instid1(VALU_DEP_2)
	v_fmac_f32_e32 v3, 0xcf800000, v5
	v_cvt_u32_f32_e32 v5, v5
	v_cvt_u32_f32_e32 v3, v3
	s_delay_alu instid0(VALU_DEP_2) | instskip(NEXT) | instid1(VALU_DEP_2)
	v_mul_lo_u32 v8, s0, v5
	v_mul_hi_u32 v10, s0, v3
	v_mul_lo_u32 v12, s55, v3
	s_delay_alu instid0(VALU_DEP_2) | instskip(SKIP_1) | instid1(VALU_DEP_2)
	v_add_nc_u32_e32 v8, v10, v8
	v_mul_lo_u32 v10, s0, v3
	v_add_nc_u32_e32 v8, v8, v12
	s_delay_alu instid0(VALU_DEP_2) | instskip(NEXT) | instid1(VALU_DEP_2)
	v_mul_hi_u32 v12, v3, v10
	v_mul_lo_u32 v14, v3, v8
	v_mul_hi_u32 v16, v3, v8
	v_mul_hi_u32 v18, v5, v10
	v_mul_lo_u32 v10, v5, v10
	v_mul_hi_u32 v20, v5, v8
	v_mul_lo_u32 v8, v5, v8
	v_add_co_u32 v12, vcc_lo, v12, v14
	v_add_co_ci_u32_e32 v14, vcc_lo, 0, v16, vcc_lo
	s_delay_alu instid0(VALU_DEP_2) | instskip(NEXT) | instid1(VALU_DEP_2)
	v_add_co_u32 v10, vcc_lo, v12, v10
	v_add_co_ci_u32_e32 v10, vcc_lo, v14, v18, vcc_lo
	v_add_co_ci_u32_e32 v12, vcc_lo, 0, v20, vcc_lo
	v_ashrrev_i32_e32 v18, 31, v22
	s_delay_alu instid0(VALU_DEP_3) | instskip(NEXT) | instid1(VALU_DEP_3)
	v_add_co_u32 v8, vcc_lo, v10, v8
	v_add_co_ci_u32_e32 v10, vcc_lo, 0, v12, vcc_lo
	s_delay_alu instid0(VALU_DEP_2) | instskip(NEXT) | instid1(VALU_DEP_2)
	v_add_co_u32 v3, vcc_lo, v3, v8
	v_add_co_ci_u32_e32 v5, vcc_lo, v5, v10, vcc_lo
	s_delay_alu instid0(VALU_DEP_2) | instskip(SKIP_1) | instid1(VALU_DEP_3)
	v_mul_hi_u32 v8, s0, v3
	v_mul_lo_u32 v12, s55, v3
	v_mul_lo_u32 v10, s0, v5
	s_delay_alu instid0(VALU_DEP_1) | instskip(SKIP_1) | instid1(VALU_DEP_2)
	v_add_nc_u32_e32 v8, v8, v10
	v_mul_lo_u32 v10, s0, v3
	v_add_nc_u32_e32 v8, v8, v12
	s_delay_alu instid0(VALU_DEP_2) | instskip(NEXT) | instid1(VALU_DEP_2)
	v_mul_hi_u32 v12, v3, v10
	v_mul_lo_u32 v14, v3, v8
	v_mul_hi_u32 v16, v3, v8
	v_mul_hi_u32 v20, v5, v10
	v_mul_lo_u32 v10, v5, v10
	v_mul_hi_u32 v23, v5, v8
	v_mul_lo_u32 v8, v5, v8
	v_add_co_u32 v12, vcc_lo, v12, v14
	v_add_co_ci_u32_e32 v14, vcc_lo, 0, v16, vcc_lo
	s_delay_alu instid0(VALU_DEP_2) | instskip(NEXT) | instid1(VALU_DEP_2)
	v_add_co_u32 v10, vcc_lo, v12, v10
	v_add_co_ci_u32_e32 v10, vcc_lo, v14, v20, vcc_lo
	v_add_co_ci_u32_e32 v12, vcc_lo, 0, v23, vcc_lo
	v_add_co_u32 v14, vcc_lo, v21, v18
	v_add_co_ci_u32_e32 v16, vcc_lo, v22, v18, vcc_lo
	s_delay_alu instid0(VALU_DEP_4) | instskip(NEXT) | instid1(VALU_DEP_4)
	v_add_co_u32 v8, vcc_lo, v10, v8
	v_add_co_ci_u32_e32 v10, vcc_lo, 0, v12, vcc_lo
	s_delay_alu instid0(VALU_DEP_4) | instskip(NEXT) | instid1(VALU_DEP_3)
	v_xor_b32_e32 v12, v14, v18
	v_add_co_u32 v3, vcc_lo, v3, v8
	s_delay_alu instid0(VALU_DEP_3) | instskip(SKIP_1) | instid1(VALU_DEP_3)
	v_add_co_ci_u32_e32 v5, vcc_lo, v5, v10, vcc_lo
	v_xor_b32_e32 v8, v16, v18
	v_mul_hi_u32 v10, v12, v3
	s_delay_alu instid0(VALU_DEP_3) | instskip(NEXT) | instid1(VALU_DEP_3)
	v_mad_u64_u32 v[22:23], null, v12, v5, 0
	v_mad_u64_u32 v[28:29], null, v8, v3, 0
	;; [unrolled: 1-line block ×3, first 2 shown]
	s_delay_alu instid0(VALU_DEP_3) | instskip(NEXT) | instid1(VALU_DEP_4)
	v_add_co_u32 v3, vcc_lo, v10, v22
	v_add_co_ci_u32_e32 v5, vcc_lo, 0, v23, vcc_lo
	s_delay_alu instid0(VALU_DEP_2) | instskip(NEXT) | instid1(VALU_DEP_2)
	v_add_co_u32 v3, vcc_lo, v3, v28
	v_add_co_ci_u32_e32 v3, vcc_lo, v5, v29, vcc_lo
	v_add_co_ci_u32_e32 v5, vcc_lo, 0, v31, vcc_lo
	s_delay_alu instid0(VALU_DEP_2) | instskip(NEXT) | instid1(VALU_DEP_2)
	v_add_co_u32 v3, vcc_lo, v3, v30
	v_add_co_ci_u32_e32 v5, vcc_lo, 0, v5, vcc_lo
	s_delay_alu instid0(VALU_DEP_2) | instskip(SKIP_1) | instid1(VALU_DEP_3)
	v_mul_lo_u32 v10, s23, v3
	v_mad_u64_u32 v[22:23], null, s22, v3, 0
	v_mul_lo_u32 v14, s22, v5
	s_delay_alu instid0(VALU_DEP_2) | instskip(NEXT) | instid1(VALU_DEP_2)
	v_sub_co_u32 v12, vcc_lo, v12, v22
	v_add3_u32 v10, v23, v14, v10
	s_delay_alu instid0(VALU_DEP_1) | instskip(NEXT) | instid1(VALU_DEP_1)
	v_sub_nc_u32_e32 v14, v8, v10
	v_subrev_co_ci_u32_e64 v14, s0, s23, v14, vcc_lo
	v_add_co_u32 v16, s0, v3, 2
	s_delay_alu instid0(VALU_DEP_1) | instskip(SKIP_3) | instid1(VALU_DEP_3)
	v_add_co_ci_u32_e64 v20, s0, 0, v5, s0
	v_sub_co_u32 v22, s0, v12, s22
	v_sub_co_ci_u32_e32 v8, vcc_lo, v8, v10, vcc_lo
	v_subrev_co_ci_u32_e64 v14, s0, 0, v14, s0
	v_cmp_le_u32_e32 vcc_lo, s22, v22
	s_delay_alu instid0(VALU_DEP_3) | instskip(SKIP_1) | instid1(VALU_DEP_4)
	v_cmp_eq_u32_e64 s0, s23, v8
	v_cndmask_b32_e64 v10, 0, -1, vcc_lo
	v_cmp_le_u32_e32 vcc_lo, s23, v14
	v_cndmask_b32_e64 v22, 0, -1, vcc_lo
	v_cmp_le_u32_e32 vcc_lo, s22, v12
	;; [unrolled: 2-line block ×3, first 2 shown]
	v_cndmask_b32_e64 v23, 0, -1, vcc_lo
	v_cmp_eq_u32_e32 vcc_lo, s23, v14
	s_delay_alu instid0(VALU_DEP_2) | instskip(SKIP_3) | instid1(VALU_DEP_3)
	v_cndmask_b32_e64 v8, v23, v12, s0
	v_cndmask_b32_e32 v10, v22, v10, vcc_lo
	v_add_co_u32 v14, vcc_lo, v3, 1
	v_add_co_ci_u32_e32 v22, vcc_lo, 0, v5, vcc_lo
	v_cmp_ne_u32_e32 vcc_lo, 0, v10
	s_delay_alu instid0(VALU_DEP_2) | instskip(NEXT) | instid1(VALU_DEP_4)
	v_cndmask_b32_e32 v10, v22, v20, vcc_lo
	v_cndmask_b32_e32 v12, v14, v16, vcc_lo
	v_cmp_ne_u32_e32 vcc_lo, 0, v8
	v_xor_b32_e32 v8, s20, v18
	s_delay_alu instid0(VALU_DEP_4) | instskip(NEXT) | instid1(VALU_DEP_4)
	v_cndmask_b32_e32 v5, v5, v10, vcc_lo
	v_cndmask_b32_e32 v3, v3, v12, vcc_lo
	v_xor_b32_e32 v10, s21, v18
	s_delay_alu instid0(VALU_DEP_2) | instskip(NEXT) | instid1(VALU_DEP_2)
	v_xor_b32_e32 v3, v3, v8
	v_xor_b32_e32 v5, v5, v10
	s_delay_alu instid0(VALU_DEP_2) | instskip(NEXT) | instid1(VALU_DEP_2)
	v_sub_co_u32 v23, vcc_lo, v3, v8
	v_sub_co_ci_u32_e32 v24, vcc_lo, v5, v10, vcc_lo
.LBB48_54:                              ;   in Loop: Header=BB48_24 Depth=2
	s_and_not1_saveexec_b32 s0, s54
	s_cbranch_execz .LBB48_56
; %bb.55:                               ;   in Loop: Header=BB48_24 Depth=2
	v_cvt_f32_u32_e32 v3, s53
	s_sub_i32 s20, 0, s53
	v_mov_b32_e32 v24, v2
	s_delay_alu instid0(VALU_DEP_2) | instskip(SKIP_2) | instid1(VALU_DEP_1)
	v_rcp_iflag_f32_e32 v3, v3
	s_waitcnt_depctr 0xfff
	v_mul_f32_e32 v3, 0x4f7ffffe, v3
	v_cvt_u32_f32_e32 v3, v3
	s_delay_alu instid0(VALU_DEP_1) | instskip(NEXT) | instid1(VALU_DEP_1)
	v_mul_lo_u32 v5, s20, v3
	v_mul_hi_u32 v5, v3, v5
	s_delay_alu instid0(VALU_DEP_1) | instskip(NEXT) | instid1(VALU_DEP_1)
	v_add_nc_u32_e32 v3, v3, v5
	v_mul_hi_u32 v3, v21, v3
	s_delay_alu instid0(VALU_DEP_1) | instskip(NEXT) | instid1(VALU_DEP_1)
	v_mul_lo_u32 v5, v3, s53
	v_sub_nc_u32_e32 v5, v21, v5
	s_delay_alu instid0(VALU_DEP_1) | instskip(SKIP_1) | instid1(VALU_DEP_2)
	v_subrev_nc_u32_e32 v10, s53, v5
	v_cmp_le_u32_e32 vcc_lo, s53, v5
	v_dual_cndmask_b32 v5, v5, v10 :: v_dual_add_nc_u32 v8, 1, v3
	s_delay_alu instid0(VALU_DEP_1) | instskip(NEXT) | instid1(VALU_DEP_2)
	v_cndmask_b32_e32 v3, v3, v8, vcc_lo
	v_cmp_le_u32_e32 vcc_lo, s53, v5
	s_delay_alu instid0(VALU_DEP_2) | instskip(NEXT) | instid1(VALU_DEP_1)
	v_add_nc_u32_e32 v8, 1, v3
	v_cndmask_b32_e32 v23, v3, v8, vcc_lo
.LBB48_56:                              ;   in Loop: Header=BB48_24 Depth=2
	s_or_b32 exec_lo, exec_lo, s0
	v_mul_lo_u32 v3, v9, s41
	v_mul_lo_u32 v5, v11, s43
	;; [unrolled: 1-line block ×4, first 2 shown]
	s_add_u32 s18, s30, s18
	s_addc_u32 s19, s1, s19
	v_mul_lo_u32 v12, v17, s49
	s_load_b32 s0, s[18:19], 0x0
	v_sub_nc_u32_e32 v3, v7, v3
	v_sub_nc_u32_e32 v5, v9, v5
	v_mul_lo_u32 v7, v19, s51
	v_sub_nc_u32_e32 v8, v11, v8
	v_sub_nc_u32_e32 v10, v13, v10
	v_mul_lo_u32 v3, s42, v3
	v_mul_lo_u32 v5, s44, v5
	;; [unrolled: 1-line block ×4, first 2 shown]
	v_sub_nc_u32_e32 v12, v15, v12
	v_sub_nc_u32_e32 v7, v17, v7
	v_mul_lo_u32 v8, s46, v8
	v_mul_lo_u32 v10, s48, v10
	s_add_i32 s16, s16, -8
	v_add3_u32 v3, v3, v4, v5
	v_mul_lo_u32 v4, s50, v12
	v_sub_nc_u32_e32 v5, v19, v9
	v_sub_nc_u32_e32 v9, v21, v11
	v_mul_lo_u32 v7, s14, v7
	s_cmp_eq_u32 s16, -8
	v_add3_u32 v3, v8, v3, v10
	v_mul_lo_u32 v5, s17, v5
	s_waitcnt lgkmcnt(0)
	v_mul_lo_u32 v8, s0, v9
	s_delay_alu instid0(VALU_DEP_3) | instskip(NEXT) | instid1(VALU_DEP_1)
	v_add3_u32 v3, v4, v3, v7
	v_add3_u32 v4, v5, v3, v8
	s_cbranch_scc1 .LBB48_58
; %bb.57:                               ;   in Loop: Header=BB48_24 Depth=2
	v_dual_mov_b32 v7, v23 :: v_dual_mov_b32 v8, v24
	s_branch .LBB48_24
.LBB48_58:                              ;   in Loop: Header=BB48_3 Depth=1
	s_load_b32 s0, s[12:13], 0x0
	s_waitcnt lgkmcnt(0)
	v_cmp_gt_i32_e32 vcc_lo, s0, v27
	s_and_b32 exec_lo, exec_lo, vcc_lo
	s_cbranch_execz .LBB48_2
; %bb.59:                               ;   in Loop: Header=BB48_3 Depth=1
	v_ashrrev_i32_e32 v7, 31, v6
	s_mov_b32 s14, exec_lo
	s_delay_alu instid0(VALU_DEP_1)
	v_cmpx_lt_i64_e64 s[4:5], v[6:7]
	s_cbranch_execz .LBB48_61
; %bb.60:                               ;   in Loop: Header=BB48_3 Depth=1
	v_ashrrev_i32_e32 v3, 31, v4
	v_add_co_u32 v5, vcc_lo, s2, v4
	s_delay_alu instid0(VALU_DEP_2)
	v_add_co_ci_u32_e32 v6, vcc_lo, s3, v3, vcc_lo
	global_store_b8 v[5:6], v2, off
.LBB48_61:                              ;   in Loop: Header=BB48_3 Depth=1
	s_or_b32 exec_lo, exec_lo, s14
	v_add_nc_u32_e32 v3, 1, v27
	s_delay_alu instid0(VALU_DEP_1)
	v_cmp_gt_i32_e32 vcc_lo, s0, v3
	s_and_b32 exec_lo, exec_lo, vcc_lo
	s_cbranch_execz .LBB48_2
; %bb.62:                               ;   in Loop: Header=BB48_3 Depth=1
	v_sub_nc_u32_e32 v5, v3, v26
	s_mov_b32 s14, exec_lo
	s_delay_alu instid0(VALU_DEP_1) | instskip(NEXT) | instid1(VALU_DEP_1)
	v_ashrrev_i32_e32 v6, 31, v5
	v_cmpx_lt_i64_e64 s[4:5], v[5:6]
	s_cbranch_execz .LBB48_64
; %bb.63:                               ;   in Loop: Header=BB48_3 Depth=1
	v_add_nc_u32_e32 v3, s40, v4
	s_delay_alu instid0(VALU_DEP_1) | instskip(SKIP_1) | instid1(VALU_DEP_2)
	v_ashrrev_i32_e32 v6, 31, v3
	v_add_co_u32 v5, vcc_lo, s2, v3
	v_add_co_ci_u32_e32 v6, vcc_lo, s3, v6, vcc_lo
	global_store_b8 v[5:6], v2, off
.LBB48_64:                              ;   in Loop: Header=BB48_3 Depth=1
	s_or_b32 exec_lo, exec_lo, s14
	v_add_nc_u32_e32 v3, 2, v27
	s_delay_alu instid0(VALU_DEP_1)
	v_cmp_gt_i32_e32 vcc_lo, s0, v3
	s_and_b32 exec_lo, exec_lo, vcc_lo
	s_cbranch_execz .LBB48_2
; %bb.65:                               ;   in Loop: Header=BB48_3 Depth=1
	v_sub_nc_u32_e32 v5, v3, v26
	s_mov_b32 s14, exec_lo
	s_delay_alu instid0(VALU_DEP_1) | instskip(NEXT) | instid1(VALU_DEP_1)
	v_ashrrev_i32_e32 v6, 31, v5
	v_cmpx_lt_i64_e64 s[4:5], v[5:6]
	s_cbranch_execz .LBB48_67
; %bb.66:                               ;   in Loop: Header=BB48_3 Depth=1
	v_lshl_add_u32 v3, s40, 1, v4
	s_delay_alu instid0(VALU_DEP_1) | instskip(SKIP_1) | instid1(VALU_DEP_2)
	v_ashrrev_i32_e32 v6, 31, v3
	v_add_co_u32 v5, vcc_lo, s2, v3
	v_add_co_ci_u32_e32 v6, vcc_lo, s3, v6, vcc_lo
	global_store_b8 v[5:6], v2, off
.LBB48_67:                              ;   in Loop: Header=BB48_3 Depth=1
	s_or_b32 exec_lo, exec_lo, s14
	v_add_nc_u32_e32 v3, 3, v27
	s_delay_alu instid0(VALU_DEP_1)
	v_cmp_gt_i32_e32 vcc_lo, s0, v3
	s_and_b32 exec_lo, exec_lo, vcc_lo
	s_cbranch_execz .LBB48_2
; %bb.68:                               ;   in Loop: Header=BB48_3 Depth=1
	v_sub_nc_u32_e32 v5, v3, v26
	s_delay_alu instid0(VALU_DEP_1) | instskip(NEXT) | instid1(VALU_DEP_1)
	v_ashrrev_i32_e32 v6, 31, v5
	v_cmp_lt_i64_e32 vcc_lo, s[4:5], v[5:6]
	s_and_b32 exec_lo, exec_lo, vcc_lo
	s_cbranch_execz .LBB48_2
; %bb.69:                               ;   in Loop: Header=BB48_3 Depth=1
	v_mad_u64_u32 v[5:6], null, s40, 3, v[4:5]
	s_delay_alu instid0(VALU_DEP_1) | instskip(SKIP_1) | instid1(VALU_DEP_2)
	v_ashrrev_i32_e32 v4, 31, v5
	v_add_co_u32 v3, vcc_lo, s2, v5
	v_add_co_ci_u32_e32 v4, vcc_lo, s3, v4, vcc_lo
	global_store_b8 v[3:4], v2, off
	s_branch .LBB48_2
.LBB48_70:
	s_nop 0
	s_sendmsg sendmsg(MSG_DEALLOC_VGPRS)
	s_endpgm
	.section	.rodata,"a",@progbits
	.p2align	6, 0x0
	.amdhsa_kernel _ZN2at6native16triu_tril_kernelIbiLb0ELi4ELb1EEEvNS_4cuda6detail10TensorInfoIT_T0_EENS4_IKS5_S6_EEllS6_
		.amdhsa_group_segment_fixed_size 0
		.amdhsa_private_segment_fixed_size 0
		.amdhsa_kernarg_size 712
		.amdhsa_user_sgpr_count 15
		.amdhsa_user_sgpr_dispatch_ptr 0
		.amdhsa_user_sgpr_queue_ptr 0
		.amdhsa_user_sgpr_kernarg_segment_ptr 1
		.amdhsa_user_sgpr_dispatch_id 0
		.amdhsa_user_sgpr_private_segment_size 0
		.amdhsa_wavefront_size32 1
		.amdhsa_uses_dynamic_stack 0
		.amdhsa_enable_private_segment 0
		.amdhsa_system_sgpr_workgroup_id_x 1
		.amdhsa_system_sgpr_workgroup_id_y 0
		.amdhsa_system_sgpr_workgroup_id_z 0
		.amdhsa_system_sgpr_workgroup_info 0
		.amdhsa_system_vgpr_workitem_id 0
		.amdhsa_next_free_vgpr 32
		.amdhsa_next_free_sgpr 56
		.amdhsa_reserve_vcc 1
		.amdhsa_float_round_mode_32 0
		.amdhsa_float_round_mode_16_64 0
		.amdhsa_float_denorm_mode_32 3
		.amdhsa_float_denorm_mode_16_64 3
		.amdhsa_dx10_clamp 1
		.amdhsa_ieee_mode 1
		.amdhsa_fp16_overflow 0
		.amdhsa_workgroup_processor_mode 1
		.amdhsa_memory_ordered 1
		.amdhsa_forward_progress 0
		.amdhsa_shared_vgpr_count 0
		.amdhsa_exception_fp_ieee_invalid_op 0
		.amdhsa_exception_fp_denorm_src 0
		.amdhsa_exception_fp_ieee_div_zero 0
		.amdhsa_exception_fp_ieee_overflow 0
		.amdhsa_exception_fp_ieee_underflow 0
		.amdhsa_exception_fp_ieee_inexact 0
		.amdhsa_exception_int_div_zero 0
	.end_amdhsa_kernel
	.section	.text._ZN2at6native16triu_tril_kernelIbiLb0ELi4ELb1EEEvNS_4cuda6detail10TensorInfoIT_T0_EENS4_IKS5_S6_EEllS6_,"axG",@progbits,_ZN2at6native16triu_tril_kernelIbiLb0ELi4ELb1EEEvNS_4cuda6detail10TensorInfoIT_T0_EENS4_IKS5_S6_EEllS6_,comdat
.Lfunc_end48:
	.size	_ZN2at6native16triu_tril_kernelIbiLb0ELi4ELb1EEEvNS_4cuda6detail10TensorInfoIT_T0_EENS4_IKS5_S6_EEllS6_, .Lfunc_end48-_ZN2at6native16triu_tril_kernelIbiLb0ELi4ELb1EEEvNS_4cuda6detail10TensorInfoIT_T0_EENS4_IKS5_S6_EEllS6_
                                        ; -- End function
	.section	.AMDGPU.csdata,"",@progbits
; Kernel info:
; codeLenInByte = 12568
; NumSgprs: 58
; NumVgprs: 32
; ScratchSize: 0
; MemoryBound: 0
; FloatMode: 240
; IeeeMode: 1
; LDSByteSize: 0 bytes/workgroup (compile time only)
; SGPRBlocks: 7
; VGPRBlocks: 3
; NumSGPRsForWavesPerEU: 58
; NumVGPRsForWavesPerEU: 32
; Occupancy: 16
; WaveLimiterHint : 0
; COMPUTE_PGM_RSRC2:SCRATCH_EN: 0
; COMPUTE_PGM_RSRC2:USER_SGPR: 15
; COMPUTE_PGM_RSRC2:TRAP_HANDLER: 0
; COMPUTE_PGM_RSRC2:TGID_X_EN: 1
; COMPUTE_PGM_RSRC2:TGID_Y_EN: 0
; COMPUTE_PGM_RSRC2:TGID_Z_EN: 0
; COMPUTE_PGM_RSRC2:TIDIG_COMP_CNT: 0
	.section	.text._ZN2at6native16triu_tril_kernelIbiLb0ELi4ELb0EEEvNS_4cuda6detail10TensorInfoIT_T0_EENS4_IKS5_S6_EEllS6_,"axG",@progbits,_ZN2at6native16triu_tril_kernelIbiLb0ELi4ELb0EEEvNS_4cuda6detail10TensorInfoIT_T0_EENS4_IKS5_S6_EEllS6_,comdat
	.protected	_ZN2at6native16triu_tril_kernelIbiLb0ELi4ELb0EEEvNS_4cuda6detail10TensorInfoIT_T0_EENS4_IKS5_S6_EEllS6_ ; -- Begin function _ZN2at6native16triu_tril_kernelIbiLb0ELi4ELb0EEEvNS_4cuda6detail10TensorInfoIT_T0_EENS4_IKS5_S6_EEllS6_
	.globl	_ZN2at6native16triu_tril_kernelIbiLb0ELi4ELb0EEEvNS_4cuda6detail10TensorInfoIT_T0_EENS4_IKS5_S6_EEllS6_
	.p2align	8
	.type	_ZN2at6native16triu_tril_kernelIbiLb0ELi4ELb0EEEvNS_4cuda6detail10TensorInfoIT_T0_EENS4_IKS5_S6_EEllS6_,@function
_ZN2at6native16triu_tril_kernelIbiLb0ELi4ELb0EEEvNS_4cuda6detail10TensorInfoIT_T0_EENS4_IKS5_S6_EEllS6_: ; @_ZN2at6native16triu_tril_kernelIbiLb0ELi4ELb0EEEvNS_4cuda6detail10TensorInfoIT_T0_EENS4_IKS5_S6_EEllS6_
; %bb.0:
	s_clause 0x1
	s_load_b32 s4, s[0:1], 0x1d4
	s_load_b128 s[8:11], s[0:1], 0x1b0
	v_mov_b32_e32 v2, 0
	s_add_u32 s2, s0, 0x1c8
	s_addc_u32 s3, s1, 0
	s_mov_b32 s5, exec_lo
	s_delay_alu instid0(VALU_DEP_1)
	v_mov_b32_e32 v1, v2
	s_waitcnt lgkmcnt(0)
	s_and_b32 s4, s4, 0xffff
	s_delay_alu instid0(VALU_DEP_1) | instid1(SALU_CYCLE_1)
	v_mad_u64_u32 v[3:4], null, s4, s15, v[0:1]
	s_delay_alu instid0(VALU_DEP_1) | instskip(NEXT) | instid1(VALU_DEP_1)
	v_lshlrev_b64 v[0:1], 2, v[3:4]
	v_cmpx_gt_i64_e64 s[10:11], v[0:1]
	s_cbranch_execz .LBB49_55
; %bb.1:
	s_clause 0x1
	s_load_b32 s20, s[0:1], 0x1a8
	s_load_b32 s26, s[0:1], 0x1c0
	s_add_u32 s27, s0, 0xd8
	s_addc_u32 s28, s1, 0
	s_load_b32 s5, s[2:3], 0x0
	s_clause 0x1
	s_load_b64 s[12:13], s[0:1], 0xd8
	s_load_b64 s[18:19], s[0:1], 0x0
	s_mov_b32 s43, 0
	s_waitcnt lgkmcnt(0)
	s_ashr_i32 s21, s20, 31
	s_ashr_i32 s29, s26, 31
	s_lshl_b64 s[2:3], s[20:21], 2
	v_cvt_f32_u32_e32 v3, s26
	s_add_u32 s16, s2, -8
	s_addc_u32 s17, s3, -1
	s_add_u32 s2, s27, s16
	s_addc_u32 s3, s28, s17
	v_rcp_iflag_f32_e32 v3, v3
	s_clause 0x1
	s_load_b64 s[6:7], s[2:3], 0x8
	s_load_b64 s[14:15], s[2:3], 0x6c
	s_mul_i32 s5, s5, s4
	v_cmp_gt_i64_e64 s39, s[20:21], 2
	s_mov_b32 s21, 0
	s_waitcnt_depctr 0xfff
	v_mul_f32_e32 v3, 0x4f7ffffe, v3
	s_delay_alu instid0(VALU_DEP_1)
	v_cvt_u32_f32_e32 v3, v3
	s_waitcnt lgkmcnt(0)
	s_ashr_i32 s30, s6, 31
	s_add_u32 s31, s0, 0x6c
	s_addc_u32 s33, s1, 0
	s_add_u32 s2, s31, s16
	s_addc_u32 s3, s33, s17
	s_and_b32 s35, s20, 3
	s_add_i32 s34, s20, -3
	s_lshl_b32 s36, s5, 2
	s_cmp_lg_u32 s35, 2
	s_load_b64 s[16:17], s[2:3], 0x0
	s_cselect_b32 s37, -1, 0
	s_cmp_gt_u32 s34, 2
	s_mov_b32 s40, s6
	s_cselect_b32 s38, -1, 0
	s_sub_i32 s2, 0, s26
	s_ashr_i32 s41, s15, 31
	v_mul_lo_u32 v4, s2, v3
	s_delay_alu instid0(VALU_DEP_1) | instskip(SKIP_2) | instid1(VALU_DEP_1)
	v_mul_hi_u32 v4, v3, v4
	s_waitcnt lgkmcnt(0)
	s_ashr_i32 s42, s17, 31
	v_add_nc_u32_e32 v18, v3, v4
	s_branch .LBB49_3
.LBB49_2:                               ;   in Loop: Header=BB49_3 Depth=1
	s_or_b32 exec_lo, exec_lo, s0
	v_add_co_u32 v0, vcc_lo, v0, s36
	v_add_co_ci_u32_e32 v1, vcc_lo, 0, v1, vcc_lo
	s_delay_alu instid0(VALU_DEP_1) | instskip(SKIP_1) | instid1(SALU_CYCLE_1)
	v_cmp_le_i64_e32 vcc_lo, s[10:11], v[0:1]
	s_or_b32 s43, vcc_lo, s43
	s_and_not1_b32 exec_lo, exec_lo, s43
	s_cbranch_execz .LBB49_55
.LBB49_3:                               ; =>This Loop Header: Depth=1
                                        ;     Child Loop BB49_14 Depth 2
                                        ;     Child Loop BB49_22 Depth 2
	v_or_b32_e32 v3, s29, v1
                                        ; implicit-def: $vgpr4_vgpr5
	s_mov_b32 s0, exec_lo
	s_delay_alu instid0(VALU_DEP_1)
	v_cmpx_ne_u64_e32 0, v[2:3]
	s_xor_b32 s1, exec_lo, s0
	s_cbranch_execz .LBB49_5
; %bb.4:                                ;   in Loop: Header=BB49_3 Depth=1
	s_add_u32 s4, s26, s29
	s_mov_b32 s2, s29
	s_mov_b32 s3, s29
	s_addc_u32 s5, s29, s29
	s_delay_alu instid0(SALU_CYCLE_1) | instskip(NEXT) | instid1(SALU_CYCLE_1)
	s_xor_b64 s[4:5], s[4:5], s[2:3]
	v_cvt_f32_u32_e32 v3, s4
	v_cvt_f32_u32_e32 v4, s5
	s_sub_u32 s0, 0, s4
	s_subb_u32 s6, 0, s5
	s_delay_alu instid0(VALU_DEP_1) | instskip(NEXT) | instid1(VALU_DEP_1)
	v_fmac_f32_e32 v3, 0x4f800000, v4
	v_rcp_f32_e32 v3, v3
	s_waitcnt_depctr 0xfff
	v_mul_f32_e32 v3, 0x5f7ffffc, v3
	s_delay_alu instid0(VALU_DEP_1) | instskip(NEXT) | instid1(VALU_DEP_1)
	v_mul_f32_e32 v4, 0x2f800000, v3
	v_trunc_f32_e32 v4, v4
	s_delay_alu instid0(VALU_DEP_1) | instskip(SKIP_1) | instid1(VALU_DEP_2)
	v_fmac_f32_e32 v3, 0xcf800000, v4
	v_cvt_u32_f32_e32 v4, v4
	v_cvt_u32_f32_e32 v3, v3
	s_delay_alu instid0(VALU_DEP_2) | instskip(NEXT) | instid1(VALU_DEP_2)
	v_mul_lo_u32 v5, s0, v4
	v_mul_hi_u32 v6, s0, v3
	v_mul_lo_u32 v7, s6, v3
	s_delay_alu instid0(VALU_DEP_2) | instskip(SKIP_1) | instid1(VALU_DEP_2)
	v_add_nc_u32_e32 v5, v6, v5
	v_mul_lo_u32 v6, s0, v3
	v_add_nc_u32_e32 v5, v5, v7
	s_delay_alu instid0(VALU_DEP_2) | instskip(NEXT) | instid1(VALU_DEP_2)
	v_mul_hi_u32 v7, v3, v6
	v_mul_lo_u32 v8, v3, v5
	v_mul_hi_u32 v9, v3, v5
	v_mul_hi_u32 v10, v4, v6
	v_mul_lo_u32 v6, v4, v6
	v_mul_hi_u32 v11, v4, v5
	v_mul_lo_u32 v5, v4, v5
	v_add_co_u32 v7, vcc_lo, v7, v8
	v_add_co_ci_u32_e32 v8, vcc_lo, 0, v9, vcc_lo
	s_delay_alu instid0(VALU_DEP_2) | instskip(NEXT) | instid1(VALU_DEP_2)
	v_add_co_u32 v6, vcc_lo, v7, v6
	v_add_co_ci_u32_e32 v6, vcc_lo, v8, v10, vcc_lo
	v_add_co_ci_u32_e32 v7, vcc_lo, 0, v11, vcc_lo
	v_ashrrev_i32_e32 v10, 31, v1
	s_delay_alu instid0(VALU_DEP_3) | instskip(NEXT) | instid1(VALU_DEP_3)
	v_add_co_u32 v5, vcc_lo, v6, v5
	v_add_co_ci_u32_e32 v6, vcc_lo, 0, v7, vcc_lo
	s_delay_alu instid0(VALU_DEP_2) | instskip(NEXT) | instid1(VALU_DEP_2)
	v_add_co_u32 v3, vcc_lo, v3, v5
	v_add_co_ci_u32_e32 v4, vcc_lo, v4, v6, vcc_lo
	s_delay_alu instid0(VALU_DEP_2) | instskip(SKIP_1) | instid1(VALU_DEP_3)
	v_mul_hi_u32 v5, s0, v3
	v_mul_lo_u32 v7, s6, v3
	v_mul_lo_u32 v6, s0, v4
	s_delay_alu instid0(VALU_DEP_1) | instskip(SKIP_1) | instid1(VALU_DEP_2)
	v_add_nc_u32_e32 v5, v5, v6
	v_mul_lo_u32 v6, s0, v3
	v_add_nc_u32_e32 v5, v5, v7
	s_delay_alu instid0(VALU_DEP_2) | instskip(NEXT) | instid1(VALU_DEP_2)
	v_mul_hi_u32 v7, v3, v6
	v_mul_lo_u32 v8, v3, v5
	v_mul_hi_u32 v9, v3, v5
	v_mul_hi_u32 v11, v4, v6
	v_mul_lo_u32 v6, v4, v6
	v_mul_hi_u32 v12, v4, v5
	v_mul_lo_u32 v5, v4, v5
	v_add_co_u32 v7, vcc_lo, v7, v8
	v_add_co_ci_u32_e32 v8, vcc_lo, 0, v9, vcc_lo
	s_delay_alu instid0(VALU_DEP_2) | instskip(NEXT) | instid1(VALU_DEP_2)
	v_add_co_u32 v6, vcc_lo, v7, v6
	v_add_co_ci_u32_e32 v6, vcc_lo, v8, v11, vcc_lo
	v_add_co_ci_u32_e32 v7, vcc_lo, 0, v12, vcc_lo
	v_add_co_u32 v8, vcc_lo, v0, v10
	v_add_co_ci_u32_e32 v9, vcc_lo, v1, v10, vcc_lo
	s_delay_alu instid0(VALU_DEP_4) | instskip(NEXT) | instid1(VALU_DEP_4)
	v_add_co_u32 v5, vcc_lo, v6, v5
	v_add_co_ci_u32_e32 v6, vcc_lo, 0, v7, vcc_lo
	s_delay_alu instid0(VALU_DEP_4) | instskip(NEXT) | instid1(VALU_DEP_3)
	v_xor_b32_e32 v11, v8, v10
	v_add_co_u32 v7, vcc_lo, v3, v5
	s_delay_alu instid0(VALU_DEP_3) | instskip(SKIP_1) | instid1(VALU_DEP_3)
	v_add_co_ci_u32_e32 v12, vcc_lo, v4, v6, vcc_lo
	v_xor_b32_e32 v9, v9, v10
	v_mul_hi_u32 v13, v11, v7
	s_delay_alu instid0(VALU_DEP_3) | instskip(NEXT) | instid1(VALU_DEP_3)
	v_mad_u64_u32 v[3:4], null, v11, v12, 0
	v_mad_u64_u32 v[5:6], null, v9, v7, 0
	;; [unrolled: 1-line block ×3, first 2 shown]
	s_delay_alu instid0(VALU_DEP_3) | instskip(NEXT) | instid1(VALU_DEP_4)
	v_add_co_u32 v3, vcc_lo, v13, v3
	v_add_co_ci_u32_e32 v4, vcc_lo, 0, v4, vcc_lo
	s_delay_alu instid0(VALU_DEP_2) | instskip(NEXT) | instid1(VALU_DEP_2)
	v_add_co_u32 v3, vcc_lo, v3, v5
	v_add_co_ci_u32_e32 v3, vcc_lo, v4, v6, vcc_lo
	v_add_co_ci_u32_e32 v4, vcc_lo, 0, v8, vcc_lo
	s_delay_alu instid0(VALU_DEP_2) | instskip(NEXT) | instid1(VALU_DEP_2)
	v_add_co_u32 v5, vcc_lo, v3, v7
	v_add_co_ci_u32_e32 v6, vcc_lo, 0, v4, vcc_lo
	s_delay_alu instid0(VALU_DEP_2) | instskip(SKIP_1) | instid1(VALU_DEP_3)
	v_mul_lo_u32 v7, s5, v5
	v_mad_u64_u32 v[3:4], null, s4, v5, 0
	v_mul_lo_u32 v8, s4, v6
	s_delay_alu instid0(VALU_DEP_2) | instskip(NEXT) | instid1(VALU_DEP_2)
	v_sub_co_u32 v3, vcc_lo, v11, v3
	v_add3_u32 v4, v4, v8, v7
	s_delay_alu instid0(VALU_DEP_1) | instskip(NEXT) | instid1(VALU_DEP_1)
	v_sub_nc_u32_e32 v7, v9, v4
	v_subrev_co_ci_u32_e64 v7, s0, s5, v7, vcc_lo
	v_add_co_u32 v8, s0, v5, 2
	s_delay_alu instid0(VALU_DEP_1) | instskip(SKIP_3) | instid1(VALU_DEP_3)
	v_add_co_ci_u32_e64 v11, s0, 0, v6, s0
	v_sub_co_u32 v12, s0, v3, s4
	v_sub_co_ci_u32_e32 v4, vcc_lo, v9, v4, vcc_lo
	v_subrev_co_ci_u32_e64 v7, s0, 0, v7, s0
	v_cmp_le_u32_e32 vcc_lo, s4, v12
	s_delay_alu instid0(VALU_DEP_3) | instskip(SKIP_1) | instid1(VALU_DEP_4)
	v_cmp_eq_u32_e64 s0, s5, v4
	v_cndmask_b32_e64 v9, 0, -1, vcc_lo
	v_cmp_le_u32_e32 vcc_lo, s5, v7
	v_cndmask_b32_e64 v12, 0, -1, vcc_lo
	v_cmp_le_u32_e32 vcc_lo, s4, v3
	v_cndmask_b32_e64 v3, 0, -1, vcc_lo
	v_cmp_le_u32_e32 vcc_lo, s5, v4
	v_cndmask_b32_e64 v13, 0, -1, vcc_lo
	v_cmp_eq_u32_e32 vcc_lo, s5, v7
	s_delay_alu instid0(VALU_DEP_2) | instskip(SKIP_3) | instid1(VALU_DEP_3)
	v_cndmask_b32_e64 v3, v13, v3, s0
	v_cndmask_b32_e32 v7, v12, v9, vcc_lo
	v_add_co_u32 v9, vcc_lo, v5, 1
	v_add_co_ci_u32_e32 v12, vcc_lo, 0, v6, vcc_lo
	v_cmp_ne_u32_e32 vcc_lo, 0, v7
	s_delay_alu instid0(VALU_DEP_2) | instskip(SKIP_2) | instid1(VALU_DEP_3)
	v_dual_cndmask_b32 v4, v12, v11 :: v_dual_cndmask_b32 v7, v9, v8
	v_cmp_ne_u32_e32 vcc_lo, 0, v3
	v_xor_b32_e32 v3, s2, v10
	v_dual_cndmask_b32 v5, v5, v7 :: v_dual_cndmask_b32 v4, v6, v4
	v_xor_b32_e32 v6, s3, v10
	s_delay_alu instid0(VALU_DEP_2) | instskip(NEXT) | instid1(VALU_DEP_2)
	v_xor_b32_e32 v5, v5, v3
	v_xor_b32_e32 v7, v4, v6
	s_delay_alu instid0(VALU_DEP_2) | instskip(NEXT) | instid1(VALU_DEP_2)
	v_sub_co_u32 v4, vcc_lo, v5, v3
	v_sub_co_ci_u32_e32 v5, vcc_lo, v7, v6, vcc_lo
.LBB49_5:                               ;   in Loop: Header=BB49_3 Depth=1
	s_and_not1_saveexec_b32 s0, s1
; %bb.6:                                ;   in Loop: Header=BB49_3 Depth=1
	v_mul_hi_u32 v3, v0, v18
	s_delay_alu instid0(VALU_DEP_1) | instskip(NEXT) | instid1(VALU_DEP_1)
	v_mul_lo_u32 v4, v3, s26
	v_sub_nc_u32_e32 v4, v0, v4
	s_delay_alu instid0(VALU_DEP_1) | instskip(SKIP_1) | instid1(VALU_DEP_2)
	v_subrev_nc_u32_e32 v6, s26, v4
	v_cmp_le_u32_e32 vcc_lo, s26, v4
	v_dual_cndmask_b32 v4, v4, v6 :: v_dual_add_nc_u32 v5, 1, v3
	s_delay_alu instid0(VALU_DEP_1) | instskip(NEXT) | instid1(VALU_DEP_2)
	v_cndmask_b32_e32 v3, v3, v5, vcc_lo
	v_cmp_le_u32_e32 vcc_lo, s26, v4
	s_delay_alu instid0(VALU_DEP_2) | instskip(NEXT) | instid1(VALU_DEP_1)
	v_add_nc_u32_e32 v5, 1, v3
	v_dual_cndmask_b32 v4, v3, v5 :: v_dual_mov_b32 v5, v2
; %bb.7:                                ;   in Loop: Header=BB49_3 Depth=1
	s_or_b32 exec_lo, exec_lo, s0
	s_delay_alu instid0(VALU_DEP_1) | instskip(SKIP_1) | instid1(VALU_DEP_1)
	v_or_b32_e32 v3, s30, v5
                                        ; implicit-def: $vgpr8_vgpr9
	s_mov_b32 s0, exec_lo
	v_cmpx_ne_u64_e32 0, v[2:3]
	s_xor_b32 s1, exec_lo, s0
	s_cbranch_execz .LBB49_9
; %bb.8:                                ;   in Loop: Header=BB49_3 Depth=1
	s_add_u32 s4, s40, s30
	s_mov_b32 s2, s30
	s_mov_b32 s3, s30
	s_addc_u32 s5, s30, s30
	s_delay_alu instid0(SALU_CYCLE_1) | instskip(NEXT) | instid1(SALU_CYCLE_1)
	s_xor_b64 s[4:5], s[4:5], s[2:3]
	v_cvt_f32_u32_e32 v3, s4
	v_cvt_f32_u32_e32 v6, s5
	s_sub_u32 s0, 0, s4
	s_subb_u32 s6, 0, s5
	s_delay_alu instid0(VALU_DEP_1) | instskip(NEXT) | instid1(VALU_DEP_1)
	v_fmac_f32_e32 v3, 0x4f800000, v6
	v_rcp_f32_e32 v3, v3
	s_waitcnt_depctr 0xfff
	v_mul_f32_e32 v3, 0x5f7ffffc, v3
	s_delay_alu instid0(VALU_DEP_1) | instskip(NEXT) | instid1(VALU_DEP_1)
	v_mul_f32_e32 v6, 0x2f800000, v3
	v_trunc_f32_e32 v6, v6
	s_delay_alu instid0(VALU_DEP_1) | instskip(SKIP_1) | instid1(VALU_DEP_2)
	v_fmac_f32_e32 v3, 0xcf800000, v6
	v_cvt_u32_f32_e32 v6, v6
	v_cvt_u32_f32_e32 v3, v3
	s_delay_alu instid0(VALU_DEP_2) | instskip(NEXT) | instid1(VALU_DEP_2)
	v_mul_lo_u32 v7, s0, v6
	v_mul_hi_u32 v8, s0, v3
	v_mul_lo_u32 v9, s6, v3
	s_delay_alu instid0(VALU_DEP_2) | instskip(SKIP_1) | instid1(VALU_DEP_2)
	v_add_nc_u32_e32 v7, v8, v7
	v_mul_lo_u32 v8, s0, v3
	v_add_nc_u32_e32 v7, v7, v9
	s_delay_alu instid0(VALU_DEP_2) | instskip(NEXT) | instid1(VALU_DEP_2)
	v_mul_hi_u32 v9, v3, v8
	v_mul_lo_u32 v10, v3, v7
	v_mul_hi_u32 v11, v3, v7
	v_mul_hi_u32 v12, v6, v8
	v_mul_lo_u32 v8, v6, v8
	v_mul_hi_u32 v13, v6, v7
	v_mul_lo_u32 v7, v6, v7
	v_add_co_u32 v9, vcc_lo, v9, v10
	v_add_co_ci_u32_e32 v10, vcc_lo, 0, v11, vcc_lo
	s_delay_alu instid0(VALU_DEP_2) | instskip(NEXT) | instid1(VALU_DEP_2)
	v_add_co_u32 v8, vcc_lo, v9, v8
	v_add_co_ci_u32_e32 v8, vcc_lo, v10, v12, vcc_lo
	v_add_co_ci_u32_e32 v9, vcc_lo, 0, v13, vcc_lo
	v_ashrrev_i32_e32 v12, 31, v5
	s_delay_alu instid0(VALU_DEP_3) | instskip(NEXT) | instid1(VALU_DEP_3)
	v_add_co_u32 v7, vcc_lo, v8, v7
	v_add_co_ci_u32_e32 v8, vcc_lo, 0, v9, vcc_lo
	s_delay_alu instid0(VALU_DEP_2) | instskip(NEXT) | instid1(VALU_DEP_2)
	v_add_co_u32 v3, vcc_lo, v3, v7
	v_add_co_ci_u32_e32 v6, vcc_lo, v6, v8, vcc_lo
	s_delay_alu instid0(VALU_DEP_2) | instskip(SKIP_1) | instid1(VALU_DEP_3)
	v_mul_hi_u32 v7, s0, v3
	v_mul_lo_u32 v9, s6, v3
	v_mul_lo_u32 v8, s0, v6
	s_delay_alu instid0(VALU_DEP_1) | instskip(SKIP_1) | instid1(VALU_DEP_2)
	v_add_nc_u32_e32 v7, v7, v8
	v_mul_lo_u32 v8, s0, v3
	v_add_nc_u32_e32 v7, v7, v9
	s_delay_alu instid0(VALU_DEP_2) | instskip(NEXT) | instid1(VALU_DEP_2)
	v_mul_hi_u32 v9, v3, v8
	v_mul_lo_u32 v10, v3, v7
	v_mul_hi_u32 v11, v3, v7
	v_mul_hi_u32 v13, v6, v8
	v_mul_lo_u32 v8, v6, v8
	v_mul_hi_u32 v14, v6, v7
	v_mul_lo_u32 v7, v6, v7
	v_add_co_u32 v9, vcc_lo, v9, v10
	v_add_co_ci_u32_e32 v10, vcc_lo, 0, v11, vcc_lo
	s_delay_alu instid0(VALU_DEP_2) | instskip(NEXT) | instid1(VALU_DEP_2)
	v_add_co_u32 v8, vcc_lo, v9, v8
	v_add_co_ci_u32_e32 v8, vcc_lo, v10, v13, vcc_lo
	v_add_co_ci_u32_e32 v9, vcc_lo, 0, v14, vcc_lo
	v_add_co_u32 v10, vcc_lo, v4, v12
	v_add_co_ci_u32_e32 v5, vcc_lo, v5, v12, vcc_lo
	s_delay_alu instid0(VALU_DEP_4) | instskip(NEXT) | instid1(VALU_DEP_4)
	v_add_co_u32 v7, vcc_lo, v8, v7
	v_add_co_ci_u32_e32 v8, vcc_lo, 0, v9, vcc_lo
	s_delay_alu instid0(VALU_DEP_4) | instskip(NEXT) | instid1(VALU_DEP_3)
	v_xor_b32_e32 v11, v10, v12
	v_add_co_u32 v3, vcc_lo, v3, v7
	s_delay_alu instid0(VALU_DEP_3) | instskip(SKIP_1) | instid1(VALU_DEP_3)
	v_add_co_ci_u32_e32 v13, vcc_lo, v6, v8, vcc_lo
	v_xor_b32_e32 v14, v5, v12
	v_mul_hi_u32 v15, v11, v3
	s_delay_alu instid0(VALU_DEP_3) | instskip(NEXT) | instid1(VALU_DEP_3)
	v_mad_u64_u32 v[5:6], null, v11, v13, 0
	v_mad_u64_u32 v[7:8], null, v14, v3, 0
	;; [unrolled: 1-line block ×3, first 2 shown]
	s_delay_alu instid0(VALU_DEP_3) | instskip(NEXT) | instid1(VALU_DEP_4)
	v_add_co_u32 v3, vcc_lo, v15, v5
	v_add_co_ci_u32_e32 v5, vcc_lo, 0, v6, vcc_lo
	s_delay_alu instid0(VALU_DEP_2) | instskip(NEXT) | instid1(VALU_DEP_2)
	v_add_co_u32 v3, vcc_lo, v3, v7
	v_add_co_ci_u32_e32 v3, vcc_lo, v5, v8, vcc_lo
	v_add_co_ci_u32_e32 v5, vcc_lo, 0, v10, vcc_lo
	s_delay_alu instid0(VALU_DEP_2) | instskip(NEXT) | instid1(VALU_DEP_2)
	v_add_co_u32 v3, vcc_lo, v3, v9
	v_add_co_ci_u32_e32 v7, vcc_lo, 0, v5, vcc_lo
	s_delay_alu instid0(VALU_DEP_2) | instskip(SKIP_1) | instid1(VALU_DEP_3)
	v_mul_lo_u32 v8, s5, v3
	v_mad_u64_u32 v[5:6], null, s4, v3, 0
	v_mul_lo_u32 v9, s4, v7
	s_delay_alu instid0(VALU_DEP_2) | instskip(NEXT) | instid1(VALU_DEP_2)
	v_sub_co_u32 v5, vcc_lo, v11, v5
	v_add3_u32 v6, v6, v9, v8
	s_delay_alu instid0(VALU_DEP_1) | instskip(NEXT) | instid1(VALU_DEP_1)
	v_sub_nc_u32_e32 v8, v14, v6
	v_subrev_co_ci_u32_e64 v8, s0, s5, v8, vcc_lo
	v_add_co_u32 v9, s0, v3, 2
	s_delay_alu instid0(VALU_DEP_1) | instskip(SKIP_3) | instid1(VALU_DEP_3)
	v_add_co_ci_u32_e64 v10, s0, 0, v7, s0
	v_sub_co_u32 v11, s0, v5, s4
	v_sub_co_ci_u32_e32 v6, vcc_lo, v14, v6, vcc_lo
	v_subrev_co_ci_u32_e64 v8, s0, 0, v8, s0
	v_cmp_le_u32_e32 vcc_lo, s4, v11
	s_delay_alu instid0(VALU_DEP_3) | instskip(SKIP_1) | instid1(VALU_DEP_4)
	v_cmp_eq_u32_e64 s0, s5, v6
	v_cndmask_b32_e64 v11, 0, -1, vcc_lo
	v_cmp_le_u32_e32 vcc_lo, s5, v8
	v_cndmask_b32_e64 v13, 0, -1, vcc_lo
	v_cmp_le_u32_e32 vcc_lo, s4, v5
	;; [unrolled: 2-line block ×3, first 2 shown]
	v_cndmask_b32_e64 v14, 0, -1, vcc_lo
	v_cmp_eq_u32_e32 vcc_lo, s5, v8
	s_delay_alu instid0(VALU_DEP_2) | instskip(SKIP_3) | instid1(VALU_DEP_3)
	v_cndmask_b32_e64 v5, v14, v5, s0
	v_cndmask_b32_e32 v8, v13, v11, vcc_lo
	v_add_co_u32 v11, vcc_lo, v3, 1
	v_add_co_ci_u32_e32 v13, vcc_lo, 0, v7, vcc_lo
	v_cmp_ne_u32_e32 vcc_lo, 0, v8
	s_delay_alu instid0(VALU_DEP_3) | instskip(NEXT) | instid1(VALU_DEP_3)
	v_cndmask_b32_e32 v8, v11, v9, vcc_lo
	v_cndmask_b32_e32 v6, v13, v10, vcc_lo
	v_cmp_ne_u32_e32 vcc_lo, 0, v5
	v_xor_b32_e32 v5, s2, v12
	s_delay_alu instid0(VALU_DEP_4) | instskip(NEXT) | instid1(VALU_DEP_4)
	v_cndmask_b32_e32 v3, v3, v8, vcc_lo
	v_cndmask_b32_e32 v6, v7, v6, vcc_lo
	v_xor_b32_e32 v7, s3, v12
	s_delay_alu instid0(VALU_DEP_3) | instskip(NEXT) | instid1(VALU_DEP_2)
	v_xor_b32_e32 v3, v3, v5
	v_xor_b32_e32 v6, v6, v7
	s_delay_alu instid0(VALU_DEP_2) | instskip(NEXT) | instid1(VALU_DEP_2)
	v_sub_co_u32 v8, vcc_lo, v3, v5
	v_sub_co_ci_u32_e32 v9, vcc_lo, v6, v7, vcc_lo
.LBB49_9:                               ;   in Loop: Header=BB49_3 Depth=1
	s_and_not1_saveexec_b32 s0, s1
	s_cbranch_execz .LBB49_11
; %bb.10:                               ;   in Loop: Header=BB49_3 Depth=1
	v_cvt_f32_u32_e32 v3, s40
	s_sub_i32 s1, 0, s40
	v_mov_b32_e32 v9, v2
	s_delay_alu instid0(VALU_DEP_2) | instskip(SKIP_2) | instid1(VALU_DEP_1)
	v_rcp_iflag_f32_e32 v3, v3
	s_waitcnt_depctr 0xfff
	v_mul_f32_e32 v3, 0x4f7ffffe, v3
	v_cvt_u32_f32_e32 v3, v3
	s_delay_alu instid0(VALU_DEP_1) | instskip(NEXT) | instid1(VALU_DEP_1)
	v_mul_lo_u32 v5, s1, v3
	v_mul_hi_u32 v5, v3, v5
	s_delay_alu instid0(VALU_DEP_1) | instskip(NEXT) | instid1(VALU_DEP_1)
	v_add_nc_u32_e32 v3, v3, v5
	v_mul_hi_u32 v3, v4, v3
	s_delay_alu instid0(VALU_DEP_1) | instskip(SKIP_1) | instid1(VALU_DEP_2)
	v_mul_lo_u32 v5, v3, s40
	v_add_nc_u32_e32 v6, 1, v3
	v_sub_nc_u32_e32 v5, v4, v5
	s_delay_alu instid0(VALU_DEP_1) | instskip(SKIP_1) | instid1(VALU_DEP_4)
	v_cmp_le_u32_e32 vcc_lo, s40, v5
	v_subrev_nc_u32_e32 v7, s40, v5
	v_cndmask_b32_e32 v3, v3, v6, vcc_lo
	s_delay_alu instid0(VALU_DEP_1) | instskip(NEXT) | instid1(VALU_DEP_3)
	v_add_nc_u32_e32 v6, 1, v3
	v_cndmask_b32_e32 v5, v5, v7, vcc_lo
	s_delay_alu instid0(VALU_DEP_1) | instskip(NEXT) | instid1(VALU_DEP_3)
	v_cmp_le_u32_e32 vcc_lo, s40, v5
	v_cndmask_b32_e32 v8, v3, v6, vcc_lo
.LBB49_11:                              ;   in Loop: Header=BB49_3 Depth=1
	s_or_b32 exec_lo, exec_lo, s0
	v_mad_u64_u32 v[5:6], null, v4, s26, 0
	s_delay_alu instid0(VALU_DEP_2) | instskip(SKIP_1) | instid1(VALU_DEP_2)
	v_mad_u64_u32 v[6:7], null, v8, s40, 0
	s_and_not1_b32 vcc_lo, exec_lo, s39
	v_sub_co_u32 v19, null, v0, v5
	s_delay_alu instid0(VALU_DEP_2) | instskip(NEXT) | instid1(VALU_DEP_2)
	v_sub_co_u32 v20, null, v4, v6
	v_mul_lo_u32 v3, s15, v19
	v_mul_lo_u32 v10, s17, v19
	s_delay_alu instid0(VALU_DEP_2) | instskip(NEXT) | instid1(VALU_DEP_2)
	v_mad_u64_u32 v[6:7], null, s14, v20, v[3:4]
	v_mad_u64_u32 v[4:5], null, s16, v20, v[10:11]
	s_cbranch_vccnz .LBB49_40
; %bb.12:                               ;   in Loop: Header=BB49_3 Depth=1
	s_and_not1_b32 vcc_lo, exec_lo, s37
	s_mov_b32 s1, 1
	s_cbranch_vccnz .LBB49_20
; %bb.13:                               ;   in Loop: Header=BB49_3 Depth=1
	v_dual_mov_b32 v11, v9 :: v_dual_mov_b32 v10, v8
	s_mov_b32 s20, s34
.LBB49_14:                              ;   Parent Loop BB49_3 Depth=1
                                        ; =>  This Inner Loop Header: Depth=2
	s_delay_alu instid0(SALU_CYCLE_1)
	s_lshl_b64 s[4:5], s[20:21], 2
                                        ; implicit-def: $vgpr8_vgpr9
	s_mov_b32 s22, exec_lo
	s_add_u32 s2, s27, s4
	s_addc_u32 s3, s28, s5
	s_load_b32 s6, s[2:3], 0x8
	s_waitcnt lgkmcnt(0)
	s_ashr_i32 s0, s6, 31
	s_delay_alu instid0(SALU_CYCLE_1) | instskip(NEXT) | instid1(VALU_DEP_1)
	v_or_b32_e32 v3, s0, v11
	v_cmpx_ne_u64_e32 0, v[2:3]
	s_xor_b32 s44, exec_lo, s22
	s_cbranch_execz .LBB49_16
; %bb.15:                               ;   in Loop: Header=BB49_14 Depth=2
	s_add_u32 s24, s6, s0
	s_mov_b32 s22, s0
	s_mov_b32 s23, s0
	s_addc_u32 s25, s0, s0
	s_delay_alu instid0(SALU_CYCLE_1) | instskip(NEXT) | instid1(SALU_CYCLE_1)
	s_xor_b64 s[24:25], s[24:25], s[22:23]
	v_cvt_f32_u32_e32 v3, s24
	v_cvt_f32_u32_e32 v5, s25
	s_sub_u32 s0, 0, s24
	s_subb_u32 s45, 0, s25
	s_delay_alu instid0(VALU_DEP_1) | instskip(NEXT) | instid1(VALU_DEP_1)
	v_fmac_f32_e32 v3, 0x4f800000, v5
	v_rcp_f32_e32 v3, v3
	s_waitcnt_depctr 0xfff
	v_mul_f32_e32 v3, 0x5f7ffffc, v3
	s_delay_alu instid0(VALU_DEP_1) | instskip(NEXT) | instid1(VALU_DEP_1)
	v_mul_f32_e32 v5, 0x2f800000, v3
	v_trunc_f32_e32 v5, v5
	s_delay_alu instid0(VALU_DEP_1) | instskip(SKIP_1) | instid1(VALU_DEP_2)
	v_fmac_f32_e32 v3, 0xcf800000, v5
	v_cvt_u32_f32_e32 v5, v5
	v_cvt_u32_f32_e32 v3, v3
	s_delay_alu instid0(VALU_DEP_2) | instskip(NEXT) | instid1(VALU_DEP_2)
	v_mul_lo_u32 v7, s0, v5
	v_mul_hi_u32 v8, s0, v3
	v_mul_lo_u32 v9, s45, v3
	s_delay_alu instid0(VALU_DEP_2) | instskip(SKIP_1) | instid1(VALU_DEP_2)
	v_add_nc_u32_e32 v7, v8, v7
	v_mul_lo_u32 v8, s0, v3
	v_add_nc_u32_e32 v7, v7, v9
	s_delay_alu instid0(VALU_DEP_2) | instskip(NEXT) | instid1(VALU_DEP_2)
	v_mul_hi_u32 v9, v3, v8
	v_mul_lo_u32 v12, v3, v7
	v_mul_hi_u32 v13, v3, v7
	v_mul_hi_u32 v14, v5, v8
	v_mul_lo_u32 v8, v5, v8
	v_mul_hi_u32 v15, v5, v7
	v_mul_lo_u32 v7, v5, v7
	v_add_co_u32 v9, vcc_lo, v9, v12
	v_add_co_ci_u32_e32 v12, vcc_lo, 0, v13, vcc_lo
	s_delay_alu instid0(VALU_DEP_2) | instskip(NEXT) | instid1(VALU_DEP_2)
	v_add_co_u32 v8, vcc_lo, v9, v8
	v_add_co_ci_u32_e32 v8, vcc_lo, v12, v14, vcc_lo
	v_add_co_ci_u32_e32 v9, vcc_lo, 0, v15, vcc_lo
	v_ashrrev_i32_e32 v15, 31, v11
	s_delay_alu instid0(VALU_DEP_3) | instskip(NEXT) | instid1(VALU_DEP_3)
	v_add_co_u32 v7, vcc_lo, v8, v7
	v_add_co_ci_u32_e32 v8, vcc_lo, 0, v9, vcc_lo
	s_delay_alu instid0(VALU_DEP_2) | instskip(NEXT) | instid1(VALU_DEP_2)
	v_add_co_u32 v3, vcc_lo, v3, v7
	v_add_co_ci_u32_e32 v5, vcc_lo, v5, v8, vcc_lo
	s_delay_alu instid0(VALU_DEP_2) | instskip(SKIP_1) | instid1(VALU_DEP_3)
	v_mul_hi_u32 v7, s0, v3
	v_mul_lo_u32 v9, s45, v3
	v_mul_lo_u32 v8, s0, v5
	s_delay_alu instid0(VALU_DEP_1) | instskip(SKIP_1) | instid1(VALU_DEP_2)
	v_add_nc_u32_e32 v7, v7, v8
	v_mul_lo_u32 v8, s0, v3
	v_add_nc_u32_e32 v7, v7, v9
	s_delay_alu instid0(VALU_DEP_2) | instskip(NEXT) | instid1(VALU_DEP_2)
	v_mul_hi_u32 v9, v3, v8
	v_mul_lo_u32 v12, v3, v7
	v_mul_hi_u32 v13, v3, v7
	v_mul_hi_u32 v14, v5, v8
	v_mul_lo_u32 v8, v5, v8
	v_mul_hi_u32 v16, v5, v7
	v_mul_lo_u32 v7, v5, v7
	v_add_co_u32 v9, vcc_lo, v9, v12
	v_add_co_ci_u32_e32 v12, vcc_lo, 0, v13, vcc_lo
	s_delay_alu instid0(VALU_DEP_2) | instskip(NEXT) | instid1(VALU_DEP_2)
	v_add_co_u32 v8, vcc_lo, v9, v8
	v_add_co_ci_u32_e32 v8, vcc_lo, v12, v14, vcc_lo
	v_add_co_ci_u32_e32 v9, vcc_lo, 0, v16, vcc_lo
	v_add_co_u32 v12, vcc_lo, v10, v15
	v_add_co_ci_u32_e32 v11, vcc_lo, v11, v15, vcc_lo
	s_delay_alu instid0(VALU_DEP_4) | instskip(NEXT) | instid1(VALU_DEP_4)
	v_add_co_u32 v7, vcc_lo, v8, v7
	v_add_co_ci_u32_e32 v8, vcc_lo, 0, v9, vcc_lo
	s_delay_alu instid0(VALU_DEP_4) | instskip(NEXT) | instid1(VALU_DEP_3)
	v_xor_b32_e32 v9, v12, v15
	v_add_co_u32 v3, vcc_lo, v3, v7
	s_delay_alu instid0(VALU_DEP_3) | instskip(SKIP_1) | instid1(VALU_DEP_3)
	v_add_co_ci_u32_e32 v5, vcc_lo, v5, v8, vcc_lo
	v_xor_b32_e32 v16, v11, v15
	v_mul_hi_u32 v17, v9, v3
	s_delay_alu instid0(VALU_DEP_3) | instskip(NEXT) | instid1(VALU_DEP_3)
	v_mad_u64_u32 v[7:8], null, v9, v5, 0
	v_mad_u64_u32 v[11:12], null, v16, v3, 0
	;; [unrolled: 1-line block ×3, first 2 shown]
	s_delay_alu instid0(VALU_DEP_3) | instskip(NEXT) | instid1(VALU_DEP_4)
	v_add_co_u32 v3, vcc_lo, v17, v7
	v_add_co_ci_u32_e32 v5, vcc_lo, 0, v8, vcc_lo
	s_delay_alu instid0(VALU_DEP_2) | instskip(NEXT) | instid1(VALU_DEP_2)
	v_add_co_u32 v3, vcc_lo, v3, v11
	v_add_co_ci_u32_e32 v3, vcc_lo, v5, v12, vcc_lo
	v_add_co_ci_u32_e32 v5, vcc_lo, 0, v14, vcc_lo
	s_delay_alu instid0(VALU_DEP_2) | instskip(NEXT) | instid1(VALU_DEP_2)
	v_add_co_u32 v3, vcc_lo, v3, v13
	v_add_co_ci_u32_e32 v5, vcc_lo, 0, v5, vcc_lo
	s_delay_alu instid0(VALU_DEP_2) | instskip(SKIP_1) | instid1(VALU_DEP_3)
	v_mul_lo_u32 v11, s25, v3
	v_mad_u64_u32 v[7:8], null, s24, v3, 0
	v_mul_lo_u32 v12, s24, v5
	s_delay_alu instid0(VALU_DEP_2) | instskip(NEXT) | instid1(VALU_DEP_2)
	v_sub_co_u32 v7, vcc_lo, v9, v7
	v_add3_u32 v8, v8, v12, v11
	s_delay_alu instid0(VALU_DEP_1) | instskip(NEXT) | instid1(VALU_DEP_1)
	v_sub_nc_u32_e32 v11, v16, v8
	v_subrev_co_ci_u32_e64 v9, s0, s25, v11, vcc_lo
	v_add_co_u32 v11, s0, v3, 2
	s_delay_alu instid0(VALU_DEP_1) | instskip(SKIP_3) | instid1(VALU_DEP_3)
	v_add_co_ci_u32_e64 v12, s0, 0, v5, s0
	v_sub_co_u32 v13, s0, v7, s24
	v_sub_co_ci_u32_e32 v8, vcc_lo, v16, v8, vcc_lo
	v_subrev_co_ci_u32_e64 v9, s0, 0, v9, s0
	v_cmp_le_u32_e32 vcc_lo, s24, v13
	s_delay_alu instid0(VALU_DEP_3) | instskip(SKIP_1) | instid1(VALU_DEP_4)
	v_cmp_eq_u32_e64 s0, s25, v8
	v_cndmask_b32_e64 v13, 0, -1, vcc_lo
	v_cmp_le_u32_e32 vcc_lo, s25, v9
	v_cndmask_b32_e64 v14, 0, -1, vcc_lo
	v_cmp_le_u32_e32 vcc_lo, s24, v7
	;; [unrolled: 2-line block ×3, first 2 shown]
	v_cndmask_b32_e64 v16, 0, -1, vcc_lo
	v_cmp_eq_u32_e32 vcc_lo, s25, v9
	s_delay_alu instid0(VALU_DEP_2) | instskip(SKIP_3) | instid1(VALU_DEP_3)
	v_cndmask_b32_e64 v7, v16, v7, s0
	v_cndmask_b32_e32 v9, v14, v13, vcc_lo
	v_add_co_u32 v13, vcc_lo, v3, 1
	v_add_co_ci_u32_e32 v14, vcc_lo, 0, v5, vcc_lo
	v_cmp_ne_u32_e32 vcc_lo, 0, v9
	s_delay_alu instid0(VALU_DEP_2) | instskip(SKIP_2) | instid1(VALU_DEP_3)
	v_dual_cndmask_b32 v8, v14, v12 :: v_dual_cndmask_b32 v9, v13, v11
	v_cmp_ne_u32_e32 vcc_lo, 0, v7
	v_xor_b32_e32 v7, s22, v15
	v_cndmask_b32_e32 v3, v3, v9, vcc_lo
	s_delay_alu instid0(VALU_DEP_4) | instskip(SKIP_1) | instid1(VALU_DEP_3)
	v_cndmask_b32_e32 v5, v5, v8, vcc_lo
	v_xor_b32_e32 v9, s23, v15
	v_xor_b32_e32 v3, v3, v7
	s_delay_alu instid0(VALU_DEP_2) | instskip(NEXT) | instid1(VALU_DEP_2)
	v_xor_b32_e32 v5, v5, v9
	v_sub_co_u32 v8, vcc_lo, v3, v7
	s_delay_alu instid0(VALU_DEP_2)
	v_sub_co_ci_u32_e32 v9, vcc_lo, v5, v9, vcc_lo
.LBB49_16:                              ;   in Loop: Header=BB49_14 Depth=2
	s_and_not1_saveexec_b32 s0, s44
	s_cbranch_execz .LBB49_18
; %bb.17:                               ;   in Loop: Header=BB49_14 Depth=2
	v_cvt_f32_u32_e32 v3, s6
	s_sub_i32 s22, 0, s6
	v_mov_b32_e32 v9, v2
	s_delay_alu instid0(VALU_DEP_2) | instskip(SKIP_2) | instid1(VALU_DEP_1)
	v_rcp_iflag_f32_e32 v3, v3
	s_waitcnt_depctr 0xfff
	v_mul_f32_e32 v3, 0x4f7ffffe, v3
	v_cvt_u32_f32_e32 v3, v3
	s_delay_alu instid0(VALU_DEP_1) | instskip(NEXT) | instid1(VALU_DEP_1)
	v_mul_lo_u32 v5, s22, v3
	v_mul_hi_u32 v5, v3, v5
	s_delay_alu instid0(VALU_DEP_1) | instskip(NEXT) | instid1(VALU_DEP_1)
	v_add_nc_u32_e32 v3, v3, v5
	v_mul_hi_u32 v3, v10, v3
	s_delay_alu instid0(VALU_DEP_1) | instskip(SKIP_1) | instid1(VALU_DEP_2)
	v_mul_lo_u32 v5, v3, s6
	v_add_nc_u32_e32 v7, 1, v3
	v_sub_nc_u32_e32 v5, v10, v5
	s_delay_alu instid0(VALU_DEP_1) | instskip(SKIP_1) | instid1(VALU_DEP_4)
	v_cmp_le_u32_e32 vcc_lo, s6, v5
	v_subrev_nc_u32_e32 v8, s6, v5
	v_cndmask_b32_e32 v3, v3, v7, vcc_lo
	s_delay_alu instid0(VALU_DEP_1) | instskip(NEXT) | instid1(VALU_DEP_3)
	v_add_nc_u32_e32 v7, 1, v3
	v_cndmask_b32_e32 v5, v5, v8, vcc_lo
	s_delay_alu instid0(VALU_DEP_1) | instskip(NEXT) | instid1(VALU_DEP_3)
	v_cmp_le_u32_e32 vcc_lo, s6, v5
	v_cndmask_b32_e32 v8, v3, v7, vcc_lo
.LBB49_18:                              ;   in Loop: Header=BB49_14 Depth=2
	s_or_b32 exec_lo, exec_lo, s0
	s_add_u32 s4, s31, s4
	s_addc_u32 s5, s33, s5
	s_clause 0x1
	s_load_b32 s0, s[2:3], 0x6c
	s_load_b32 s2, s[4:5], 0x0
	v_mul_lo_u32 v3, v8, s6
	s_add_i32 s20, s20, -1
	s_delay_alu instid0(VALU_DEP_1) | instskip(SKIP_1) | instid1(VALU_DEP_1)
	v_sub_nc_u32_e32 v3, v10, v3
	s_waitcnt lgkmcnt(0)
	v_mad_u64_u32 v[10:11], null, s0, v3, v[6:7]
	v_mad_u64_u32 v[5:6], null, s2, v3, v[4:5]
	s_xor_b32 s0, s35, s1
	s_add_i32 s1, s1, 1
	s_cmp_lg_u32 s0, 2
	s_delay_alu instid0(VALU_DEP_2) | instskip(NEXT) | instid1(VALU_DEP_2)
	v_mov_b32_e32 v6, v10
	v_mov_b32_e32 v4, v5
	s_cbranch_scc0 .LBB49_21
; %bb.19:                               ;   in Loop: Header=BB49_14 Depth=2
	v_dual_mov_b32 v11, v9 :: v_dual_mov_b32 v10, v8
	s_branch .LBB49_14
.LBB49_20:                              ;   in Loop: Header=BB49_3 Depth=1
	s_mov_b32 s20, s34
.LBB49_21:                              ;   in Loop: Header=BB49_3 Depth=1
	s_and_b32 vcc_lo, exec_lo, s38
	s_cbranch_vccz .LBB49_40
.LBB49_22:                              ;   Parent Loop BB49_3 Depth=1
                                        ; =>  This Inner Loop Header: Depth=2
	s_lshl_b64 s[2:3], s[20:21], 2
	s_mov_b32 s6, exec_lo
	s_add_u32 s4, s27, s2
	s_addc_u32 s5, s28, s3
                                        ; implicit-def: $vgpr10_vgpr11
	s_load_b32 s1, s[4:5], 0x8
	s_waitcnt lgkmcnt(0)
	s_ashr_i32 s0, s1, 31
	s_delay_alu instid0(SALU_CYCLE_1) | instskip(NEXT) | instid1(VALU_DEP_1)
	v_or_b32_e32 v3, s0, v9
	v_cmpx_ne_u64_e32 0, v[2:3]
	s_xor_b32 s6, exec_lo, s6
	s_cbranch_execz .LBB49_24
; %bb.23:                               ;   in Loop: Header=BB49_22 Depth=2
	s_add_u32 s24, s1, s0
	s_mov_b32 s22, s0
	s_mov_b32 s23, s0
	s_addc_u32 s25, s0, s0
	s_delay_alu instid0(SALU_CYCLE_1) | instskip(NEXT) | instid1(SALU_CYCLE_1)
	s_xor_b64 s[24:25], s[24:25], s[22:23]
	v_cvt_f32_u32_e32 v3, s24
	v_cvt_f32_u32_e32 v5, s25
	s_sub_u32 s0, 0, s24
	s_subb_u32 s44, 0, s25
	s_delay_alu instid0(VALU_DEP_1) | instskip(NEXT) | instid1(VALU_DEP_1)
	v_fmac_f32_e32 v3, 0x4f800000, v5
	v_rcp_f32_e32 v3, v3
	s_waitcnt_depctr 0xfff
	v_mul_f32_e32 v3, 0x5f7ffffc, v3
	s_delay_alu instid0(VALU_DEP_1) | instskip(NEXT) | instid1(VALU_DEP_1)
	v_mul_f32_e32 v5, 0x2f800000, v3
	v_trunc_f32_e32 v5, v5
	s_delay_alu instid0(VALU_DEP_1) | instskip(SKIP_1) | instid1(VALU_DEP_2)
	v_fmac_f32_e32 v3, 0xcf800000, v5
	v_cvt_u32_f32_e32 v5, v5
	v_cvt_u32_f32_e32 v3, v3
	s_delay_alu instid0(VALU_DEP_2) | instskip(NEXT) | instid1(VALU_DEP_2)
	v_mul_lo_u32 v7, s0, v5
	v_mul_hi_u32 v10, s0, v3
	v_mul_lo_u32 v11, s44, v3
	s_delay_alu instid0(VALU_DEP_2) | instskip(SKIP_1) | instid1(VALU_DEP_2)
	v_add_nc_u32_e32 v7, v10, v7
	v_mul_lo_u32 v10, s0, v3
	v_add_nc_u32_e32 v7, v7, v11
	s_delay_alu instid0(VALU_DEP_2) | instskip(NEXT) | instid1(VALU_DEP_2)
	v_mul_hi_u32 v11, v3, v10
	v_mul_lo_u32 v12, v3, v7
	v_mul_hi_u32 v13, v3, v7
	v_mul_hi_u32 v14, v5, v10
	v_mul_lo_u32 v10, v5, v10
	v_mul_hi_u32 v15, v5, v7
	v_mul_lo_u32 v7, v5, v7
	v_add_co_u32 v11, vcc_lo, v11, v12
	v_add_co_ci_u32_e32 v12, vcc_lo, 0, v13, vcc_lo
	s_delay_alu instid0(VALU_DEP_2) | instskip(NEXT) | instid1(VALU_DEP_2)
	v_add_co_u32 v10, vcc_lo, v11, v10
	v_add_co_ci_u32_e32 v10, vcc_lo, v12, v14, vcc_lo
	v_add_co_ci_u32_e32 v11, vcc_lo, 0, v15, vcc_lo
	v_ashrrev_i32_e32 v15, 31, v9
	s_delay_alu instid0(VALU_DEP_3) | instskip(NEXT) | instid1(VALU_DEP_3)
	v_add_co_u32 v7, vcc_lo, v10, v7
	v_add_co_ci_u32_e32 v10, vcc_lo, 0, v11, vcc_lo
	s_delay_alu instid0(VALU_DEP_2) | instskip(NEXT) | instid1(VALU_DEP_2)
	v_add_co_u32 v3, vcc_lo, v3, v7
	v_add_co_ci_u32_e32 v5, vcc_lo, v5, v10, vcc_lo
	s_delay_alu instid0(VALU_DEP_2) | instskip(SKIP_1) | instid1(VALU_DEP_3)
	v_mul_hi_u32 v7, s0, v3
	v_mul_lo_u32 v11, s44, v3
	v_mul_lo_u32 v10, s0, v5
	s_delay_alu instid0(VALU_DEP_1) | instskip(SKIP_1) | instid1(VALU_DEP_2)
	v_add_nc_u32_e32 v7, v7, v10
	v_mul_lo_u32 v10, s0, v3
	v_add_nc_u32_e32 v7, v7, v11
	s_delay_alu instid0(VALU_DEP_2) | instskip(NEXT) | instid1(VALU_DEP_2)
	v_mul_hi_u32 v11, v3, v10
	v_mul_lo_u32 v12, v3, v7
	v_mul_hi_u32 v13, v3, v7
	v_mul_hi_u32 v14, v5, v10
	v_mul_lo_u32 v10, v5, v10
	v_mul_hi_u32 v16, v5, v7
	v_mul_lo_u32 v7, v5, v7
	v_add_co_u32 v11, vcc_lo, v11, v12
	v_add_co_ci_u32_e32 v12, vcc_lo, 0, v13, vcc_lo
	s_delay_alu instid0(VALU_DEP_2) | instskip(NEXT) | instid1(VALU_DEP_2)
	v_add_co_u32 v10, vcc_lo, v11, v10
	v_add_co_ci_u32_e32 v10, vcc_lo, v12, v14, vcc_lo
	v_add_co_ci_u32_e32 v11, vcc_lo, 0, v16, vcc_lo
	v_add_co_u32 v12, vcc_lo, v8, v15
	v_add_co_ci_u32_e32 v9, vcc_lo, v9, v15, vcc_lo
	s_delay_alu instid0(VALU_DEP_4) | instskip(NEXT) | instid1(VALU_DEP_4)
	v_add_co_u32 v7, vcc_lo, v10, v7
	v_add_co_ci_u32_e32 v10, vcc_lo, 0, v11, vcc_lo
	s_delay_alu instid0(VALU_DEP_4) | instskip(NEXT) | instid1(VALU_DEP_3)
	v_xor_b32_e32 v16, v12, v15
	v_add_co_u32 v3, vcc_lo, v3, v7
	s_delay_alu instid0(VALU_DEP_3) | instskip(SKIP_1) | instid1(VALU_DEP_3)
	v_add_co_ci_u32_e32 v5, vcc_lo, v5, v10, vcc_lo
	v_xor_b32_e32 v7, v9, v15
	v_mul_hi_u32 v17, v16, v3
	s_delay_alu instid0(VALU_DEP_3) | instskip(NEXT) | instid1(VALU_DEP_3)
	v_mad_u64_u32 v[9:10], null, v16, v5, 0
	v_mad_u64_u32 v[11:12], null, v7, v3, 0
	;; [unrolled: 1-line block ×3, first 2 shown]
	s_delay_alu instid0(VALU_DEP_3) | instskip(NEXT) | instid1(VALU_DEP_4)
	v_add_co_u32 v3, vcc_lo, v17, v9
	v_add_co_ci_u32_e32 v5, vcc_lo, 0, v10, vcc_lo
	s_delay_alu instid0(VALU_DEP_2) | instskip(NEXT) | instid1(VALU_DEP_2)
	v_add_co_u32 v3, vcc_lo, v3, v11
	v_add_co_ci_u32_e32 v3, vcc_lo, v5, v12, vcc_lo
	v_add_co_ci_u32_e32 v5, vcc_lo, 0, v14, vcc_lo
	s_delay_alu instid0(VALU_DEP_2) | instskip(NEXT) | instid1(VALU_DEP_2)
	v_add_co_u32 v3, vcc_lo, v3, v13
	v_add_co_ci_u32_e32 v5, vcc_lo, 0, v5, vcc_lo
	s_delay_alu instid0(VALU_DEP_2) | instskip(SKIP_1) | instid1(VALU_DEP_3)
	v_mul_lo_u32 v11, s25, v3
	v_mad_u64_u32 v[9:10], null, s24, v3, 0
	v_mul_lo_u32 v12, s24, v5
	s_delay_alu instid0(VALU_DEP_2) | instskip(NEXT) | instid1(VALU_DEP_2)
	v_sub_co_u32 v9, vcc_lo, v16, v9
	v_add3_u32 v10, v10, v12, v11
	s_delay_alu instid0(VALU_DEP_1) | instskip(NEXT) | instid1(VALU_DEP_1)
	v_sub_nc_u32_e32 v11, v7, v10
	v_subrev_co_ci_u32_e64 v11, s0, s25, v11, vcc_lo
	v_add_co_u32 v12, s0, v3, 2
	s_delay_alu instid0(VALU_DEP_1) | instskip(SKIP_3) | instid1(VALU_DEP_3)
	v_add_co_ci_u32_e64 v13, s0, 0, v5, s0
	v_sub_co_u32 v14, s0, v9, s24
	v_sub_co_ci_u32_e32 v7, vcc_lo, v7, v10, vcc_lo
	v_subrev_co_ci_u32_e64 v11, s0, 0, v11, s0
	v_cmp_le_u32_e32 vcc_lo, s24, v14
	s_delay_alu instid0(VALU_DEP_3) | instskip(SKIP_1) | instid1(VALU_DEP_4)
	v_cmp_eq_u32_e64 s0, s25, v7
	v_cndmask_b32_e64 v10, 0, -1, vcc_lo
	v_cmp_le_u32_e32 vcc_lo, s25, v11
	v_cndmask_b32_e64 v14, 0, -1, vcc_lo
	v_cmp_le_u32_e32 vcc_lo, s24, v9
	;; [unrolled: 2-line block ×3, first 2 shown]
	v_cndmask_b32_e64 v16, 0, -1, vcc_lo
	v_cmp_eq_u32_e32 vcc_lo, s25, v11
	s_delay_alu instid0(VALU_DEP_2) | instskip(SKIP_3) | instid1(VALU_DEP_3)
	v_cndmask_b32_e64 v7, v16, v9, s0
	v_cndmask_b32_e32 v10, v14, v10, vcc_lo
	v_add_co_u32 v11, vcc_lo, v3, 1
	v_add_co_ci_u32_e32 v14, vcc_lo, 0, v5, vcc_lo
	v_cmp_ne_u32_e32 vcc_lo, 0, v10
	s_delay_alu instid0(VALU_DEP_2) | instskip(SKIP_2) | instid1(VALU_DEP_3)
	v_dual_cndmask_b32 v10, v11, v12 :: v_dual_cndmask_b32 v9, v14, v13
	v_cmp_ne_u32_e32 vcc_lo, 0, v7
	v_xor_b32_e32 v7, s22, v15
	v_cndmask_b32_e32 v3, v3, v10, vcc_lo
	s_delay_alu instid0(VALU_DEP_4) | instskip(SKIP_1) | instid1(VALU_DEP_3)
	v_cndmask_b32_e32 v5, v5, v9, vcc_lo
	v_xor_b32_e32 v9, s23, v15
	v_xor_b32_e32 v3, v3, v7
	s_delay_alu instid0(VALU_DEP_2) | instskip(NEXT) | instid1(VALU_DEP_2)
	v_xor_b32_e32 v5, v5, v9
	v_sub_co_u32 v10, vcc_lo, v3, v7
	s_delay_alu instid0(VALU_DEP_2)
	v_sub_co_ci_u32_e32 v11, vcc_lo, v5, v9, vcc_lo
.LBB49_24:                              ;   in Loop: Header=BB49_22 Depth=2
	s_and_not1_saveexec_b32 s0, s6
	s_cbranch_execz .LBB49_26
; %bb.25:                               ;   in Loop: Header=BB49_22 Depth=2
	v_cvt_f32_u32_e32 v3, s1
	s_sub_i32 s6, 0, s1
	v_mov_b32_e32 v11, v2
	s_delay_alu instid0(VALU_DEP_2) | instskip(SKIP_2) | instid1(VALU_DEP_1)
	v_rcp_iflag_f32_e32 v3, v3
	s_waitcnt_depctr 0xfff
	v_mul_f32_e32 v3, 0x4f7ffffe, v3
	v_cvt_u32_f32_e32 v3, v3
	s_delay_alu instid0(VALU_DEP_1) | instskip(NEXT) | instid1(VALU_DEP_1)
	v_mul_lo_u32 v5, s6, v3
	v_mul_hi_u32 v5, v3, v5
	s_delay_alu instid0(VALU_DEP_1) | instskip(NEXT) | instid1(VALU_DEP_1)
	v_add_nc_u32_e32 v3, v3, v5
	v_mul_hi_u32 v3, v8, v3
	s_delay_alu instid0(VALU_DEP_1) | instskip(SKIP_1) | instid1(VALU_DEP_2)
	v_mul_lo_u32 v5, v3, s1
	v_add_nc_u32_e32 v7, 1, v3
	v_sub_nc_u32_e32 v5, v8, v5
	s_delay_alu instid0(VALU_DEP_1) | instskip(SKIP_1) | instid1(VALU_DEP_4)
	v_cmp_le_u32_e32 vcc_lo, s1, v5
	v_subrev_nc_u32_e32 v9, s1, v5
	v_cndmask_b32_e32 v3, v3, v7, vcc_lo
	s_delay_alu instid0(VALU_DEP_1) | instskip(NEXT) | instid1(VALU_DEP_3)
	v_add_nc_u32_e32 v7, 1, v3
	v_cndmask_b32_e32 v5, v5, v9, vcc_lo
	s_delay_alu instid0(VALU_DEP_1) | instskip(NEXT) | instid1(VALU_DEP_3)
	v_cmp_le_u32_e32 vcc_lo, s1, v5
	v_cndmask_b32_e32 v10, v3, v7, vcc_lo
.LBB49_26:                              ;   in Loop: Header=BB49_22 Depth=2
	s_or_b32 exec_lo, exec_lo, s0
	s_add_u32 s24, s31, s2
	s_addc_u32 s25, s33, s3
	s_add_i32 s2, s20, -1
	s_mov_b32 s3, s21
                                        ; implicit-def: $vgpr12_vgpr13
	s_delay_alu instid0(SALU_CYCLE_1) | instskip(NEXT) | instid1(SALU_CYCLE_1)
	s_lshl_b64 s[22:23], s[2:3], 2
	s_add_u32 s2, s27, s22
	s_addc_u32 s3, s28, s23
	s_clause 0x2
	s_load_b32 s45, s[2:3], 0x8
	s_load_b32 s6, s[4:5], 0x6c
	;; [unrolled: 1-line block ×3, first 2 shown]
	s_mov_b32 s4, exec_lo
	s_waitcnt lgkmcnt(0)
	s_ashr_i32 s0, s45, 31
	s_delay_alu instid0(SALU_CYCLE_1) | instskip(NEXT) | instid1(VALU_DEP_1)
	v_or_b32_e32 v3, s0, v11
	v_cmpx_ne_u64_e32 0, v[2:3]
	s_xor_b32 s46, exec_lo, s4
	s_cbranch_execz .LBB49_28
; %bb.27:                               ;   in Loop: Header=BB49_22 Depth=2
	s_add_u32 s24, s45, s0
	s_mov_b32 s4, s0
	s_mov_b32 s5, s0
	s_addc_u32 s25, s0, s0
	v_ashrrev_i32_e32 v17, 31, v11
	s_xor_b64 s[24:25], s[24:25], s[4:5]
	s_delay_alu instid0(SALU_CYCLE_1) | instskip(SKIP_3) | instid1(VALU_DEP_1)
	v_cvt_f32_u32_e32 v3, s24
	v_cvt_f32_u32_e32 v5, s25
	s_sub_u32 s0, 0, s24
	s_subb_u32 s47, 0, s25
	v_fmac_f32_e32 v3, 0x4f800000, v5
	s_delay_alu instid0(VALU_DEP_1) | instskip(SKIP_2) | instid1(VALU_DEP_1)
	v_rcp_f32_e32 v3, v3
	s_waitcnt_depctr 0xfff
	v_mul_f32_e32 v3, 0x5f7ffffc, v3
	v_mul_f32_e32 v5, 0x2f800000, v3
	s_delay_alu instid0(VALU_DEP_1) | instskip(NEXT) | instid1(VALU_DEP_1)
	v_trunc_f32_e32 v5, v5
	v_fmac_f32_e32 v3, 0xcf800000, v5
	v_cvt_u32_f32_e32 v5, v5
	s_delay_alu instid0(VALU_DEP_2) | instskip(NEXT) | instid1(VALU_DEP_2)
	v_cvt_u32_f32_e32 v3, v3
	v_mul_lo_u32 v7, s0, v5
	s_delay_alu instid0(VALU_DEP_2) | instskip(SKIP_1) | instid1(VALU_DEP_2)
	v_mul_hi_u32 v9, s0, v3
	v_mul_lo_u32 v12, s47, v3
	v_add_nc_u32_e32 v7, v9, v7
	v_mul_lo_u32 v9, s0, v3
	s_delay_alu instid0(VALU_DEP_2) | instskip(NEXT) | instid1(VALU_DEP_2)
	v_add_nc_u32_e32 v7, v7, v12
	v_mul_hi_u32 v12, v3, v9
	s_delay_alu instid0(VALU_DEP_2)
	v_mul_lo_u32 v13, v3, v7
	v_mul_hi_u32 v14, v3, v7
	v_mul_hi_u32 v15, v5, v9
	v_mul_lo_u32 v9, v5, v9
	v_mul_hi_u32 v16, v5, v7
	v_mul_lo_u32 v7, v5, v7
	v_add_co_u32 v12, vcc_lo, v12, v13
	v_add_co_ci_u32_e32 v13, vcc_lo, 0, v14, vcc_lo
	s_delay_alu instid0(VALU_DEP_2) | instskip(NEXT) | instid1(VALU_DEP_2)
	v_add_co_u32 v9, vcc_lo, v12, v9
	v_add_co_ci_u32_e32 v9, vcc_lo, v13, v15, vcc_lo
	v_add_co_ci_u32_e32 v12, vcc_lo, 0, v16, vcc_lo
	s_delay_alu instid0(VALU_DEP_2) | instskip(NEXT) | instid1(VALU_DEP_2)
	v_add_co_u32 v7, vcc_lo, v9, v7
	v_add_co_ci_u32_e32 v9, vcc_lo, 0, v12, vcc_lo
	s_delay_alu instid0(VALU_DEP_2) | instskip(NEXT) | instid1(VALU_DEP_2)
	v_add_co_u32 v3, vcc_lo, v3, v7
	v_add_co_ci_u32_e32 v5, vcc_lo, v5, v9, vcc_lo
	s_delay_alu instid0(VALU_DEP_2) | instskip(SKIP_1) | instid1(VALU_DEP_3)
	v_mul_hi_u32 v7, s0, v3
	v_mul_lo_u32 v12, s47, v3
	v_mul_lo_u32 v9, s0, v5
	s_delay_alu instid0(VALU_DEP_1) | instskip(SKIP_1) | instid1(VALU_DEP_2)
	v_add_nc_u32_e32 v7, v7, v9
	v_mul_lo_u32 v9, s0, v3
	v_add_nc_u32_e32 v7, v7, v12
	s_delay_alu instid0(VALU_DEP_2) | instskip(NEXT) | instid1(VALU_DEP_2)
	v_mul_hi_u32 v12, v3, v9
	v_mul_lo_u32 v13, v3, v7
	v_mul_hi_u32 v14, v3, v7
	v_mul_hi_u32 v15, v5, v9
	v_mul_lo_u32 v9, v5, v9
	v_mul_hi_u32 v16, v5, v7
	v_mul_lo_u32 v7, v5, v7
	v_add_co_u32 v12, vcc_lo, v12, v13
	v_add_co_ci_u32_e32 v13, vcc_lo, 0, v14, vcc_lo
	s_delay_alu instid0(VALU_DEP_2) | instskip(NEXT) | instid1(VALU_DEP_2)
	v_add_co_u32 v9, vcc_lo, v12, v9
	v_add_co_ci_u32_e32 v9, vcc_lo, v13, v15, vcc_lo
	v_add_co_ci_u32_e32 v12, vcc_lo, 0, v16, vcc_lo
	v_add_co_u32 v13, vcc_lo, v10, v17
	v_add_co_ci_u32_e32 v11, vcc_lo, v11, v17, vcc_lo
	s_delay_alu instid0(VALU_DEP_4) | instskip(NEXT) | instid1(VALU_DEP_4)
	v_add_co_u32 v7, vcc_lo, v9, v7
	v_add_co_ci_u32_e32 v9, vcc_lo, 0, v12, vcc_lo
	s_delay_alu instid0(VALU_DEP_4) | instskip(NEXT) | instid1(VALU_DEP_3)
	v_xor_b32_e32 v21, v13, v17
	v_add_co_u32 v3, vcc_lo, v3, v7
	s_delay_alu instid0(VALU_DEP_3) | instskip(SKIP_1) | instid1(VALU_DEP_3)
	v_add_co_ci_u32_e32 v5, vcc_lo, v5, v9, vcc_lo
	v_xor_b32_e32 v7, v11, v17
	v_mul_hi_u32 v9, v21, v3
	s_delay_alu instid0(VALU_DEP_3) | instskip(NEXT) | instid1(VALU_DEP_3)
	v_mad_u64_u32 v[11:12], null, v21, v5, 0
	v_mad_u64_u32 v[13:14], null, v7, v3, 0
	;; [unrolled: 1-line block ×3, first 2 shown]
	s_delay_alu instid0(VALU_DEP_3) | instskip(NEXT) | instid1(VALU_DEP_4)
	v_add_co_u32 v3, vcc_lo, v9, v11
	v_add_co_ci_u32_e32 v5, vcc_lo, 0, v12, vcc_lo
	s_delay_alu instid0(VALU_DEP_2) | instskip(NEXT) | instid1(VALU_DEP_2)
	v_add_co_u32 v3, vcc_lo, v3, v13
	v_add_co_ci_u32_e32 v3, vcc_lo, v5, v14, vcc_lo
	v_add_co_ci_u32_e32 v5, vcc_lo, 0, v16, vcc_lo
	s_delay_alu instid0(VALU_DEP_2) | instskip(NEXT) | instid1(VALU_DEP_2)
	v_add_co_u32 v3, vcc_lo, v3, v15
	v_add_co_ci_u32_e32 v5, vcc_lo, 0, v5, vcc_lo
	s_delay_alu instid0(VALU_DEP_2) | instskip(SKIP_1) | instid1(VALU_DEP_3)
	v_mul_lo_u32 v9, s25, v3
	v_mad_u64_u32 v[11:12], null, s24, v3, 0
	v_mul_lo_u32 v13, s24, v5
	s_delay_alu instid0(VALU_DEP_2) | instskip(NEXT) | instid1(VALU_DEP_2)
	v_sub_co_u32 v11, vcc_lo, v21, v11
	v_add3_u32 v9, v12, v13, v9
	s_delay_alu instid0(VALU_DEP_1) | instskip(NEXT) | instid1(VALU_DEP_1)
	v_sub_nc_u32_e32 v12, v7, v9
	v_subrev_co_ci_u32_e64 v12, s0, s25, v12, vcc_lo
	v_add_co_u32 v13, s0, v3, 2
	s_delay_alu instid0(VALU_DEP_1) | instskip(SKIP_3) | instid1(VALU_DEP_3)
	v_add_co_ci_u32_e64 v14, s0, 0, v5, s0
	v_sub_co_u32 v15, s0, v11, s24
	v_sub_co_ci_u32_e32 v7, vcc_lo, v7, v9, vcc_lo
	v_subrev_co_ci_u32_e64 v12, s0, 0, v12, s0
	v_cmp_le_u32_e32 vcc_lo, s24, v15
	s_delay_alu instid0(VALU_DEP_3) | instskip(SKIP_1) | instid1(VALU_DEP_4)
	v_cmp_eq_u32_e64 s0, s25, v7
	v_cndmask_b32_e64 v9, 0, -1, vcc_lo
	v_cmp_le_u32_e32 vcc_lo, s25, v12
	v_cndmask_b32_e64 v15, 0, -1, vcc_lo
	v_cmp_le_u32_e32 vcc_lo, s24, v11
	;; [unrolled: 2-line block ×3, first 2 shown]
	v_cndmask_b32_e64 v16, 0, -1, vcc_lo
	v_cmp_eq_u32_e32 vcc_lo, s25, v12
	s_delay_alu instid0(VALU_DEP_2) | instskip(SKIP_3) | instid1(VALU_DEP_3)
	v_cndmask_b32_e64 v7, v16, v11, s0
	v_cndmask_b32_e32 v9, v15, v9, vcc_lo
	v_add_co_u32 v12, vcc_lo, v3, 1
	v_add_co_ci_u32_e32 v15, vcc_lo, 0, v5, vcc_lo
	v_cmp_ne_u32_e32 vcc_lo, 0, v9
	s_delay_alu instid0(VALU_DEP_2) | instskip(NEXT) | instid1(VALU_DEP_4)
	v_cndmask_b32_e32 v9, v15, v14, vcc_lo
	v_cndmask_b32_e32 v11, v12, v13, vcc_lo
	v_cmp_ne_u32_e32 vcc_lo, 0, v7
	v_xor_b32_e32 v7, s4, v17
	s_delay_alu instid0(VALU_DEP_3) | instskip(SKIP_2) | instid1(VALU_DEP_3)
	v_cndmask_b32_e32 v3, v3, v11, vcc_lo
	v_cndmask_b32_e32 v5, v5, v9, vcc_lo
	v_xor_b32_e32 v9, s5, v17
	v_xor_b32_e32 v3, v3, v7
	s_delay_alu instid0(VALU_DEP_2) | instskip(NEXT) | instid1(VALU_DEP_2)
	v_xor_b32_e32 v5, v5, v9
	v_sub_co_u32 v12, vcc_lo, v3, v7
	s_delay_alu instid0(VALU_DEP_2)
	v_sub_co_ci_u32_e32 v13, vcc_lo, v5, v9, vcc_lo
.LBB49_28:                              ;   in Loop: Header=BB49_22 Depth=2
	s_and_not1_saveexec_b32 s0, s46
	s_cbranch_execz .LBB49_30
; %bb.29:                               ;   in Loop: Header=BB49_22 Depth=2
	v_cvt_f32_u32_e32 v3, s45
	s_sub_i32 s4, 0, s45
	v_mov_b32_e32 v13, v2
	s_delay_alu instid0(VALU_DEP_2) | instskip(SKIP_2) | instid1(VALU_DEP_1)
	v_rcp_iflag_f32_e32 v3, v3
	s_waitcnt_depctr 0xfff
	v_mul_f32_e32 v3, 0x4f7ffffe, v3
	v_cvt_u32_f32_e32 v3, v3
	s_delay_alu instid0(VALU_DEP_1) | instskip(NEXT) | instid1(VALU_DEP_1)
	v_mul_lo_u32 v5, s4, v3
	v_mul_hi_u32 v5, v3, v5
	s_delay_alu instid0(VALU_DEP_1) | instskip(NEXT) | instid1(VALU_DEP_1)
	v_add_nc_u32_e32 v3, v3, v5
	v_mul_hi_u32 v3, v10, v3
	s_delay_alu instid0(VALU_DEP_1) | instskip(SKIP_1) | instid1(VALU_DEP_2)
	v_mul_lo_u32 v5, v3, s45
	v_add_nc_u32_e32 v7, 1, v3
	v_sub_nc_u32_e32 v5, v10, v5
	s_delay_alu instid0(VALU_DEP_1) | instskip(SKIP_1) | instid1(VALU_DEP_4)
	v_cmp_le_u32_e32 vcc_lo, s45, v5
	v_subrev_nc_u32_e32 v9, s45, v5
	v_cndmask_b32_e32 v3, v3, v7, vcc_lo
	s_delay_alu instid0(VALU_DEP_1) | instskip(NEXT) | instid1(VALU_DEP_3)
	v_add_nc_u32_e32 v7, 1, v3
	v_cndmask_b32_e32 v5, v5, v9, vcc_lo
	s_delay_alu instid0(VALU_DEP_1) | instskip(NEXT) | instid1(VALU_DEP_3)
	v_cmp_le_u32_e32 vcc_lo, s45, v5
	v_cndmask_b32_e32 v12, v3, v7, vcc_lo
.LBB49_30:                              ;   in Loop: Header=BB49_22 Depth=2
	s_or_b32 exec_lo, exec_lo, s0
	s_add_u32 s24, s31, s22
	s_addc_u32 s25, s33, s23
	s_add_i32 s4, s20, -2
	s_mov_b32 s5, s21
                                        ; implicit-def: $vgpr14_vgpr15
	s_delay_alu instid0(SALU_CYCLE_1) | instskip(NEXT) | instid1(SALU_CYCLE_1)
	s_lshl_b64 s[4:5], s[4:5], 2
	s_add_u32 s22, s27, s4
	s_addc_u32 s23, s28, s5
	s_clause 0x2
	s_load_b32 s48, s[22:23], 0x8
	s_load_b32 s46, s[2:3], 0x6c
	;; [unrolled: 1-line block ×3, first 2 shown]
	s_mov_b32 s2, exec_lo
	s_waitcnt lgkmcnt(0)
	s_ashr_i32 s0, s48, 31
	s_delay_alu instid0(SALU_CYCLE_1) | instskip(NEXT) | instid1(VALU_DEP_1)
	v_or_b32_e32 v3, s0, v13
	v_cmpx_ne_u64_e32 0, v[2:3]
	s_xor_b32 s49, exec_lo, s2
	s_cbranch_execz .LBB49_32
; %bb.31:                               ;   in Loop: Header=BB49_22 Depth=2
	s_add_u32 s24, s48, s0
	s_mov_b32 s2, s0
	s_mov_b32 s3, s0
	s_addc_u32 s25, s0, s0
	s_delay_alu instid0(SALU_CYCLE_1) | instskip(NEXT) | instid1(SALU_CYCLE_1)
	s_xor_b64 s[24:25], s[24:25], s[2:3]
	v_cvt_f32_u32_e32 v3, s24
	v_cvt_f32_u32_e32 v5, s25
	s_sub_u32 s0, 0, s24
	s_subb_u32 s50, 0, s25
	s_delay_alu instid0(VALU_DEP_1) | instskip(NEXT) | instid1(VALU_DEP_1)
	v_fmac_f32_e32 v3, 0x4f800000, v5
	v_rcp_f32_e32 v3, v3
	s_waitcnt_depctr 0xfff
	v_mul_f32_e32 v3, 0x5f7ffffc, v3
	s_delay_alu instid0(VALU_DEP_1) | instskip(NEXT) | instid1(VALU_DEP_1)
	v_mul_f32_e32 v5, 0x2f800000, v3
	v_trunc_f32_e32 v5, v5
	s_delay_alu instid0(VALU_DEP_1) | instskip(SKIP_1) | instid1(VALU_DEP_2)
	v_fmac_f32_e32 v3, 0xcf800000, v5
	v_cvt_u32_f32_e32 v5, v5
	v_cvt_u32_f32_e32 v3, v3
	s_delay_alu instid0(VALU_DEP_2) | instskip(NEXT) | instid1(VALU_DEP_2)
	v_mul_lo_u32 v7, s0, v5
	v_mul_hi_u32 v9, s0, v3
	v_mul_lo_u32 v11, s50, v3
	s_delay_alu instid0(VALU_DEP_2) | instskip(SKIP_1) | instid1(VALU_DEP_2)
	v_add_nc_u32_e32 v7, v9, v7
	v_mul_lo_u32 v9, s0, v3
	v_add_nc_u32_e32 v7, v7, v11
	s_delay_alu instid0(VALU_DEP_2) | instskip(NEXT) | instid1(VALU_DEP_2)
	v_mul_hi_u32 v11, v3, v9
	v_mul_lo_u32 v14, v3, v7
	v_mul_hi_u32 v15, v3, v7
	v_mul_hi_u32 v16, v5, v9
	v_mul_lo_u32 v9, v5, v9
	v_mul_hi_u32 v17, v5, v7
	v_mul_lo_u32 v7, v5, v7
	v_add_co_u32 v11, vcc_lo, v11, v14
	v_add_co_ci_u32_e32 v14, vcc_lo, 0, v15, vcc_lo
	s_delay_alu instid0(VALU_DEP_2) | instskip(NEXT) | instid1(VALU_DEP_2)
	v_add_co_u32 v9, vcc_lo, v11, v9
	v_add_co_ci_u32_e32 v9, vcc_lo, v14, v16, vcc_lo
	v_add_co_ci_u32_e32 v11, vcc_lo, 0, v17, vcc_lo
	v_ashrrev_i32_e32 v17, 31, v13
	s_delay_alu instid0(VALU_DEP_3) | instskip(NEXT) | instid1(VALU_DEP_3)
	v_add_co_u32 v7, vcc_lo, v9, v7
	v_add_co_ci_u32_e32 v9, vcc_lo, 0, v11, vcc_lo
	s_delay_alu instid0(VALU_DEP_2) | instskip(NEXT) | instid1(VALU_DEP_2)
	v_add_co_u32 v3, vcc_lo, v3, v7
	v_add_co_ci_u32_e32 v5, vcc_lo, v5, v9, vcc_lo
	s_delay_alu instid0(VALU_DEP_2) | instskip(SKIP_1) | instid1(VALU_DEP_3)
	v_mul_hi_u32 v7, s0, v3
	v_mul_lo_u32 v11, s50, v3
	v_mul_lo_u32 v9, s0, v5
	s_delay_alu instid0(VALU_DEP_1) | instskip(SKIP_1) | instid1(VALU_DEP_2)
	v_add_nc_u32_e32 v7, v7, v9
	v_mul_lo_u32 v9, s0, v3
	v_add_nc_u32_e32 v7, v7, v11
	s_delay_alu instid0(VALU_DEP_2) | instskip(NEXT) | instid1(VALU_DEP_2)
	v_mul_hi_u32 v11, v3, v9
	v_mul_lo_u32 v14, v3, v7
	v_mul_hi_u32 v15, v3, v7
	v_mul_hi_u32 v16, v5, v9
	v_mul_lo_u32 v9, v5, v9
	v_mul_hi_u32 v21, v5, v7
	v_mul_lo_u32 v7, v5, v7
	v_add_co_u32 v11, vcc_lo, v11, v14
	v_add_co_ci_u32_e32 v14, vcc_lo, 0, v15, vcc_lo
	s_delay_alu instid0(VALU_DEP_2) | instskip(NEXT) | instid1(VALU_DEP_2)
	v_add_co_u32 v9, vcc_lo, v11, v9
	v_add_co_ci_u32_e32 v9, vcc_lo, v14, v16, vcc_lo
	v_add_co_ci_u32_e32 v11, vcc_lo, 0, v21, vcc_lo
	v_add_co_u32 v14, vcc_lo, v12, v17
	v_add_co_ci_u32_e32 v13, vcc_lo, v13, v17, vcc_lo
	s_delay_alu instid0(VALU_DEP_4) | instskip(NEXT) | instid1(VALU_DEP_4)
	v_add_co_u32 v7, vcc_lo, v9, v7
	v_add_co_ci_u32_e32 v9, vcc_lo, 0, v11, vcc_lo
	s_delay_alu instid0(VALU_DEP_4) | instskip(NEXT) | instid1(VALU_DEP_3)
	v_xor_b32_e32 v11, v14, v17
	v_add_co_u32 v3, vcc_lo, v3, v7
	s_delay_alu instid0(VALU_DEP_3) | instskip(SKIP_1) | instid1(VALU_DEP_3)
	v_add_co_ci_u32_e32 v5, vcc_lo, v5, v9, vcc_lo
	v_xor_b32_e32 v7, v13, v17
	v_mul_hi_u32 v9, v11, v3
	s_delay_alu instid0(VALU_DEP_3) | instskip(NEXT) | instid1(VALU_DEP_3)
	v_mad_u64_u32 v[13:14], null, v11, v5, 0
	v_mad_u64_u32 v[15:16], null, v7, v3, 0
	;; [unrolled: 1-line block ×3, first 2 shown]
	s_delay_alu instid0(VALU_DEP_3) | instskip(NEXT) | instid1(VALU_DEP_4)
	v_add_co_u32 v3, vcc_lo, v9, v13
	v_add_co_ci_u32_e32 v5, vcc_lo, 0, v14, vcc_lo
	s_delay_alu instid0(VALU_DEP_2) | instskip(NEXT) | instid1(VALU_DEP_2)
	v_add_co_u32 v3, vcc_lo, v3, v15
	v_add_co_ci_u32_e32 v3, vcc_lo, v5, v16, vcc_lo
	v_add_co_ci_u32_e32 v5, vcc_lo, 0, v22, vcc_lo
	s_delay_alu instid0(VALU_DEP_2) | instskip(NEXT) | instid1(VALU_DEP_2)
	v_add_co_u32 v3, vcc_lo, v3, v21
	v_add_co_ci_u32_e32 v5, vcc_lo, 0, v5, vcc_lo
	s_delay_alu instid0(VALU_DEP_2) | instskip(SKIP_1) | instid1(VALU_DEP_3)
	v_mul_lo_u32 v9, s25, v3
	v_mad_u64_u32 v[13:14], null, s24, v3, 0
	v_mul_lo_u32 v15, s24, v5
	s_delay_alu instid0(VALU_DEP_2) | instskip(NEXT) | instid1(VALU_DEP_2)
	v_sub_co_u32 v11, vcc_lo, v11, v13
	v_add3_u32 v9, v14, v15, v9
	s_delay_alu instid0(VALU_DEP_1) | instskip(NEXT) | instid1(VALU_DEP_1)
	v_sub_nc_u32_e32 v14, v7, v9
	v_subrev_co_ci_u32_e64 v13, s0, s25, v14, vcc_lo
	v_add_co_u32 v14, s0, v3, 2
	s_delay_alu instid0(VALU_DEP_1) | instskip(SKIP_3) | instid1(VALU_DEP_3)
	v_add_co_ci_u32_e64 v15, s0, 0, v5, s0
	v_sub_co_u32 v16, s0, v11, s24
	v_sub_co_ci_u32_e32 v7, vcc_lo, v7, v9, vcc_lo
	v_subrev_co_ci_u32_e64 v13, s0, 0, v13, s0
	v_cmp_le_u32_e32 vcc_lo, s24, v16
	s_delay_alu instid0(VALU_DEP_3) | instskip(SKIP_1) | instid1(VALU_DEP_4)
	v_cmp_eq_u32_e64 s0, s25, v7
	v_cndmask_b32_e64 v9, 0, -1, vcc_lo
	v_cmp_le_u32_e32 vcc_lo, s25, v13
	v_cndmask_b32_e64 v16, 0, -1, vcc_lo
	v_cmp_le_u32_e32 vcc_lo, s24, v11
	;; [unrolled: 2-line block ×3, first 2 shown]
	v_cndmask_b32_e64 v21, 0, -1, vcc_lo
	v_cmp_eq_u32_e32 vcc_lo, s25, v13
	s_delay_alu instid0(VALU_DEP_2) | instskip(SKIP_3) | instid1(VALU_DEP_3)
	v_cndmask_b32_e64 v7, v21, v11, s0
	v_cndmask_b32_e32 v9, v16, v9, vcc_lo
	v_add_co_u32 v13, vcc_lo, v3, 1
	v_add_co_ci_u32_e32 v16, vcc_lo, 0, v5, vcc_lo
	v_cmp_ne_u32_e32 vcc_lo, 0, v9
	s_delay_alu instid0(VALU_DEP_2) | instskip(NEXT) | instid1(VALU_DEP_4)
	v_cndmask_b32_e32 v9, v16, v15, vcc_lo
	v_cndmask_b32_e32 v11, v13, v14, vcc_lo
	v_cmp_ne_u32_e32 vcc_lo, 0, v7
	v_xor_b32_e32 v7, s2, v17
	s_delay_alu instid0(VALU_DEP_3) | instskip(SKIP_2) | instid1(VALU_DEP_3)
	v_cndmask_b32_e32 v3, v3, v11, vcc_lo
	v_cndmask_b32_e32 v5, v5, v9, vcc_lo
	v_xor_b32_e32 v9, s3, v17
	v_xor_b32_e32 v3, v3, v7
	s_delay_alu instid0(VALU_DEP_2) | instskip(NEXT) | instid1(VALU_DEP_2)
	v_xor_b32_e32 v5, v5, v9
	v_sub_co_u32 v14, vcc_lo, v3, v7
	s_delay_alu instid0(VALU_DEP_2)
	v_sub_co_ci_u32_e32 v15, vcc_lo, v5, v9, vcc_lo
.LBB49_32:                              ;   in Loop: Header=BB49_22 Depth=2
	s_and_not1_saveexec_b32 s0, s49
	s_cbranch_execz .LBB49_34
; %bb.33:                               ;   in Loop: Header=BB49_22 Depth=2
	v_cvt_f32_u32_e32 v3, s48
	s_sub_i32 s2, 0, s48
	v_mov_b32_e32 v15, v2
	s_delay_alu instid0(VALU_DEP_2) | instskip(SKIP_2) | instid1(VALU_DEP_1)
	v_rcp_iflag_f32_e32 v3, v3
	s_waitcnt_depctr 0xfff
	v_mul_f32_e32 v3, 0x4f7ffffe, v3
	v_cvt_u32_f32_e32 v3, v3
	s_delay_alu instid0(VALU_DEP_1) | instskip(NEXT) | instid1(VALU_DEP_1)
	v_mul_lo_u32 v5, s2, v3
	v_mul_hi_u32 v5, v3, v5
	s_delay_alu instid0(VALU_DEP_1) | instskip(NEXT) | instid1(VALU_DEP_1)
	v_add_nc_u32_e32 v3, v3, v5
	v_mul_hi_u32 v3, v12, v3
	s_delay_alu instid0(VALU_DEP_1) | instskip(SKIP_1) | instid1(VALU_DEP_2)
	v_mul_lo_u32 v5, v3, s48
	v_add_nc_u32_e32 v7, 1, v3
	v_sub_nc_u32_e32 v5, v12, v5
	s_delay_alu instid0(VALU_DEP_1) | instskip(SKIP_1) | instid1(VALU_DEP_4)
	v_cmp_le_u32_e32 vcc_lo, s48, v5
	v_subrev_nc_u32_e32 v9, s48, v5
	v_cndmask_b32_e32 v3, v3, v7, vcc_lo
	s_delay_alu instid0(VALU_DEP_1) | instskip(NEXT) | instid1(VALU_DEP_3)
	v_add_nc_u32_e32 v7, 1, v3
	v_cndmask_b32_e32 v5, v5, v9, vcc_lo
	s_delay_alu instid0(VALU_DEP_1) | instskip(NEXT) | instid1(VALU_DEP_3)
	v_cmp_le_u32_e32 vcc_lo, s48, v5
	v_cndmask_b32_e32 v14, v3, v7, vcc_lo
.LBB49_34:                              ;   in Loop: Header=BB49_22 Depth=2
	s_or_b32 exec_lo, exec_lo, s0
	s_add_u32 s24, s31, s4
	s_addc_u32 s25, s33, s5
	s_add_i32 s2, s20, -3
	s_mov_b32 s3, s21
                                        ; implicit-def: $vgpr16_vgpr17
	s_delay_alu instid0(SALU_CYCLE_1) | instskip(NEXT) | instid1(SALU_CYCLE_1)
	s_lshl_b64 s[4:5], s[2:3], 2
	s_add_u32 s2, s27, s4
	s_addc_u32 s3, s28, s5
	s_clause 0x2
	s_load_b32 s51, s[2:3], 0x8
	s_load_b32 s49, s[22:23], 0x6c
	;; [unrolled: 1-line block ×3, first 2 shown]
	s_mov_b32 s22, exec_lo
	s_waitcnt lgkmcnt(0)
	s_ashr_i32 s0, s51, 31
	s_delay_alu instid0(SALU_CYCLE_1) | instskip(NEXT) | instid1(VALU_DEP_1)
	v_or_b32_e32 v3, s0, v15
	v_cmpx_ne_u64_e32 0, v[2:3]
	s_xor_b32 s52, exec_lo, s22
	s_cbranch_execz .LBB49_36
; %bb.35:                               ;   in Loop: Header=BB49_22 Depth=2
	s_add_u32 s24, s51, s0
	s_mov_b32 s22, s0
	s_mov_b32 s23, s0
	s_addc_u32 s25, s0, s0
	s_delay_alu instid0(SALU_CYCLE_1) | instskip(NEXT) | instid1(SALU_CYCLE_1)
	s_xor_b64 s[24:25], s[24:25], s[22:23]
	v_cvt_f32_u32_e32 v3, s24
	v_cvt_f32_u32_e32 v5, s25
	s_sub_u32 s0, 0, s24
	s_subb_u32 s53, 0, s25
	s_delay_alu instid0(VALU_DEP_1) | instskip(NEXT) | instid1(VALU_DEP_1)
	v_fmac_f32_e32 v3, 0x4f800000, v5
	v_rcp_f32_e32 v3, v3
	s_waitcnt_depctr 0xfff
	v_mul_f32_e32 v3, 0x5f7ffffc, v3
	s_delay_alu instid0(VALU_DEP_1) | instskip(NEXT) | instid1(VALU_DEP_1)
	v_mul_f32_e32 v5, 0x2f800000, v3
	v_trunc_f32_e32 v5, v5
	s_delay_alu instid0(VALU_DEP_1) | instskip(SKIP_1) | instid1(VALU_DEP_2)
	v_fmac_f32_e32 v3, 0xcf800000, v5
	v_cvt_u32_f32_e32 v5, v5
	v_cvt_u32_f32_e32 v3, v3
	s_delay_alu instid0(VALU_DEP_2) | instskip(NEXT) | instid1(VALU_DEP_2)
	v_mul_lo_u32 v7, s0, v5
	v_mul_hi_u32 v9, s0, v3
	v_mul_lo_u32 v11, s53, v3
	s_delay_alu instid0(VALU_DEP_2) | instskip(SKIP_1) | instid1(VALU_DEP_2)
	v_add_nc_u32_e32 v7, v9, v7
	v_mul_lo_u32 v9, s0, v3
	v_add_nc_u32_e32 v7, v7, v11
	s_delay_alu instid0(VALU_DEP_2) | instskip(NEXT) | instid1(VALU_DEP_2)
	v_mul_hi_u32 v11, v3, v9
	v_mul_lo_u32 v13, v3, v7
	v_mul_hi_u32 v16, v3, v7
	v_mul_hi_u32 v17, v5, v9
	v_mul_lo_u32 v9, v5, v9
	v_mul_hi_u32 v21, v5, v7
	v_mul_lo_u32 v7, v5, v7
	v_add_co_u32 v11, vcc_lo, v11, v13
	v_add_co_ci_u32_e32 v13, vcc_lo, 0, v16, vcc_lo
	s_delay_alu instid0(VALU_DEP_2) | instskip(NEXT) | instid1(VALU_DEP_2)
	v_add_co_u32 v9, vcc_lo, v11, v9
	v_add_co_ci_u32_e32 v9, vcc_lo, v13, v17, vcc_lo
	v_add_co_ci_u32_e32 v11, vcc_lo, 0, v21, vcc_lo
	v_ashrrev_i32_e32 v17, 31, v15
	s_delay_alu instid0(VALU_DEP_3) | instskip(NEXT) | instid1(VALU_DEP_3)
	v_add_co_u32 v7, vcc_lo, v9, v7
	v_add_co_ci_u32_e32 v9, vcc_lo, 0, v11, vcc_lo
	s_delay_alu instid0(VALU_DEP_2) | instskip(NEXT) | instid1(VALU_DEP_2)
	v_add_co_u32 v3, vcc_lo, v3, v7
	v_add_co_ci_u32_e32 v5, vcc_lo, v5, v9, vcc_lo
	s_delay_alu instid0(VALU_DEP_2) | instskip(SKIP_1) | instid1(VALU_DEP_3)
	v_mul_hi_u32 v7, s0, v3
	v_mul_lo_u32 v11, s53, v3
	v_mul_lo_u32 v9, s0, v5
	s_delay_alu instid0(VALU_DEP_1) | instskip(SKIP_1) | instid1(VALU_DEP_2)
	v_add_nc_u32_e32 v7, v7, v9
	v_mul_lo_u32 v9, s0, v3
	v_add_nc_u32_e32 v7, v7, v11
	s_delay_alu instid0(VALU_DEP_2) | instskip(NEXT) | instid1(VALU_DEP_2)
	v_mul_hi_u32 v11, v3, v9
	v_mul_lo_u32 v13, v3, v7
	v_mul_hi_u32 v16, v3, v7
	v_mul_hi_u32 v21, v5, v9
	v_mul_lo_u32 v9, v5, v9
	v_mul_hi_u32 v22, v5, v7
	v_mul_lo_u32 v7, v5, v7
	v_add_co_u32 v11, vcc_lo, v11, v13
	v_add_co_ci_u32_e32 v13, vcc_lo, 0, v16, vcc_lo
	s_delay_alu instid0(VALU_DEP_2) | instskip(NEXT) | instid1(VALU_DEP_2)
	v_add_co_u32 v9, vcc_lo, v11, v9
	v_add_co_ci_u32_e32 v9, vcc_lo, v13, v21, vcc_lo
	v_add_co_ci_u32_e32 v11, vcc_lo, 0, v22, vcc_lo
	v_add_co_u32 v13, vcc_lo, v14, v17
	v_add_co_ci_u32_e32 v15, vcc_lo, v15, v17, vcc_lo
	s_delay_alu instid0(VALU_DEP_4) | instskip(NEXT) | instid1(VALU_DEP_4)
	v_add_co_u32 v7, vcc_lo, v9, v7
	v_add_co_ci_u32_e32 v9, vcc_lo, 0, v11, vcc_lo
	s_delay_alu instid0(VALU_DEP_4) | instskip(NEXT) | instid1(VALU_DEP_3)
	v_xor_b32_e32 v11, v13, v17
	v_add_co_u32 v3, vcc_lo, v3, v7
	s_delay_alu instid0(VALU_DEP_3) | instskip(SKIP_1) | instid1(VALU_DEP_3)
	v_add_co_ci_u32_e32 v5, vcc_lo, v5, v9, vcc_lo
	v_xor_b32_e32 v7, v15, v17
	v_mul_hi_u32 v9, v11, v3
	s_delay_alu instid0(VALU_DEP_3) | instskip(NEXT) | instid1(VALU_DEP_3)
	v_mad_u64_u32 v[15:16], null, v11, v5, 0
	v_mad_u64_u32 v[21:22], null, v7, v3, 0
	;; [unrolled: 1-line block ×3, first 2 shown]
	s_delay_alu instid0(VALU_DEP_3) | instskip(NEXT) | instid1(VALU_DEP_4)
	v_add_co_u32 v3, vcc_lo, v9, v15
	v_add_co_ci_u32_e32 v5, vcc_lo, 0, v16, vcc_lo
	s_delay_alu instid0(VALU_DEP_2) | instskip(NEXT) | instid1(VALU_DEP_2)
	v_add_co_u32 v3, vcc_lo, v3, v21
	v_add_co_ci_u32_e32 v3, vcc_lo, v5, v22, vcc_lo
	v_add_co_ci_u32_e32 v5, vcc_lo, 0, v24, vcc_lo
	s_delay_alu instid0(VALU_DEP_2) | instskip(NEXT) | instid1(VALU_DEP_2)
	v_add_co_u32 v3, vcc_lo, v3, v23
	v_add_co_ci_u32_e32 v5, vcc_lo, 0, v5, vcc_lo
	s_delay_alu instid0(VALU_DEP_2) | instskip(SKIP_1) | instid1(VALU_DEP_3)
	v_mul_lo_u32 v9, s25, v3
	v_mad_u64_u32 v[15:16], null, s24, v3, 0
	v_mul_lo_u32 v13, s24, v5
	s_delay_alu instid0(VALU_DEP_2) | instskip(NEXT) | instid1(VALU_DEP_2)
	v_sub_co_u32 v11, vcc_lo, v11, v15
	v_add3_u32 v9, v16, v13, v9
	s_delay_alu instid0(VALU_DEP_1) | instskip(NEXT) | instid1(VALU_DEP_1)
	v_sub_nc_u32_e32 v13, v7, v9
	v_subrev_co_ci_u32_e64 v13, s0, s25, v13, vcc_lo
	v_add_co_u32 v15, s0, v3, 2
	s_delay_alu instid0(VALU_DEP_1) | instskip(SKIP_3) | instid1(VALU_DEP_3)
	v_add_co_ci_u32_e64 v16, s0, 0, v5, s0
	v_sub_co_u32 v21, s0, v11, s24
	v_sub_co_ci_u32_e32 v7, vcc_lo, v7, v9, vcc_lo
	v_subrev_co_ci_u32_e64 v13, s0, 0, v13, s0
	v_cmp_le_u32_e32 vcc_lo, s24, v21
	s_delay_alu instid0(VALU_DEP_3) | instskip(SKIP_1) | instid1(VALU_DEP_4)
	v_cmp_eq_u32_e64 s0, s25, v7
	v_cndmask_b32_e64 v9, 0, -1, vcc_lo
	v_cmp_le_u32_e32 vcc_lo, s25, v13
	v_cndmask_b32_e64 v21, 0, -1, vcc_lo
	v_cmp_le_u32_e32 vcc_lo, s24, v11
	v_cndmask_b32_e64 v11, 0, -1, vcc_lo
	v_cmp_le_u32_e32 vcc_lo, s25, v7
	v_cndmask_b32_e64 v22, 0, -1, vcc_lo
	v_cmp_eq_u32_e32 vcc_lo, s25, v13
	s_delay_alu instid0(VALU_DEP_2) | instskip(SKIP_3) | instid1(VALU_DEP_3)
	v_cndmask_b32_e64 v7, v22, v11, s0
	v_cndmask_b32_e32 v9, v21, v9, vcc_lo
	v_add_co_u32 v13, vcc_lo, v3, 1
	v_add_co_ci_u32_e32 v21, vcc_lo, 0, v5, vcc_lo
	v_cmp_ne_u32_e32 vcc_lo, 0, v9
	s_delay_alu instid0(VALU_DEP_2) | instskip(NEXT) | instid1(VALU_DEP_4)
	v_cndmask_b32_e32 v9, v21, v16, vcc_lo
	v_cndmask_b32_e32 v11, v13, v15, vcc_lo
	v_cmp_ne_u32_e32 vcc_lo, 0, v7
	v_xor_b32_e32 v7, s22, v17
	s_delay_alu instid0(VALU_DEP_3) | instskip(SKIP_2) | instid1(VALU_DEP_3)
	v_cndmask_b32_e32 v3, v3, v11, vcc_lo
	v_cndmask_b32_e32 v5, v5, v9, vcc_lo
	v_xor_b32_e32 v9, s23, v17
	v_xor_b32_e32 v3, v3, v7
	s_delay_alu instid0(VALU_DEP_2) | instskip(NEXT) | instid1(VALU_DEP_2)
	v_xor_b32_e32 v5, v5, v9
	v_sub_co_u32 v16, vcc_lo, v3, v7
	s_delay_alu instid0(VALU_DEP_2)
	v_sub_co_ci_u32_e32 v17, vcc_lo, v5, v9, vcc_lo
.LBB49_36:                              ;   in Loop: Header=BB49_22 Depth=2
	s_and_not1_saveexec_b32 s0, s52
	s_cbranch_execz .LBB49_38
; %bb.37:                               ;   in Loop: Header=BB49_22 Depth=2
	v_cvt_f32_u32_e32 v3, s51
	s_sub_i32 s22, 0, s51
	v_mov_b32_e32 v17, v2
	s_delay_alu instid0(VALU_DEP_2) | instskip(SKIP_2) | instid1(VALU_DEP_1)
	v_rcp_iflag_f32_e32 v3, v3
	s_waitcnt_depctr 0xfff
	v_mul_f32_e32 v3, 0x4f7ffffe, v3
	v_cvt_u32_f32_e32 v3, v3
	s_delay_alu instid0(VALU_DEP_1) | instskip(NEXT) | instid1(VALU_DEP_1)
	v_mul_lo_u32 v5, s22, v3
	v_mul_hi_u32 v5, v3, v5
	s_delay_alu instid0(VALU_DEP_1) | instskip(NEXT) | instid1(VALU_DEP_1)
	v_add_nc_u32_e32 v3, v3, v5
	v_mul_hi_u32 v3, v14, v3
	s_delay_alu instid0(VALU_DEP_1) | instskip(SKIP_1) | instid1(VALU_DEP_2)
	v_mul_lo_u32 v5, v3, s51
	v_add_nc_u32_e32 v7, 1, v3
	v_sub_nc_u32_e32 v5, v14, v5
	s_delay_alu instid0(VALU_DEP_1) | instskip(SKIP_1) | instid1(VALU_DEP_4)
	v_cmp_le_u32_e32 vcc_lo, s51, v5
	v_subrev_nc_u32_e32 v9, s51, v5
	v_cndmask_b32_e32 v3, v3, v7, vcc_lo
	s_delay_alu instid0(VALU_DEP_1) | instskip(NEXT) | instid1(VALU_DEP_3)
	v_add_nc_u32_e32 v7, 1, v3
	v_cndmask_b32_e32 v5, v5, v9, vcc_lo
	s_delay_alu instid0(VALU_DEP_1) | instskip(NEXT) | instid1(VALU_DEP_3)
	v_cmp_le_u32_e32 vcc_lo, s51, v5
	v_cndmask_b32_e32 v16, v3, v7, vcc_lo
.LBB49_38:                              ;   in Loop: Header=BB49_22 Depth=2
	s_or_b32 exec_lo, exec_lo, s0
	s_add_u32 s0, s31, s4
	v_mul_lo_u32 v3, v10, s1
	s_addc_u32 s1, s33, s5
	s_clause 0x1
	s_load_b32 s2, s[2:3], 0x6c
	s_load_b32 s0, s[0:1], 0x0
	v_mul_lo_u32 v5, v12, s45
	v_mul_lo_u32 v7, v14, s48
	;; [unrolled: 1-line block ×3, first 2 shown]
	s_add_i32 s20, s20, -4
	v_sub_nc_u32_e32 v3, v8, v3
	s_cmp_eq_u32 s20, -1
	s_delay_alu instid0(VALU_DEP_4) | instskip(NEXT) | instid1(VALU_DEP_4)
	v_sub_nc_u32_e32 v5, v10, v5
	v_sub_nc_u32_e32 v7, v12, v7
	s_delay_alu instid0(VALU_DEP_4)
	v_sub_nc_u32_e32 v8, v14, v9
	v_mul_lo_u32 v9, s6, v3
	v_mul_lo_u32 v3, s44, v3
	;; [unrolled: 1-line block ×6, first 2 shown]
	s_waitcnt lgkmcnt(0)
	v_mul_lo_u32 v12, s2, v8
	v_mul_lo_u32 v8, s0, v8
	v_add3_u32 v6, v9, v6, v10
	v_add3_u32 v3, v3, v4, v5
	s_delay_alu instid0(VALU_DEP_2) | instskip(NEXT) | instid1(VALU_DEP_2)
	v_add3_u32 v6, v11, v6, v12
	v_add3_u32 v4, v7, v3, v8
	s_cbranch_scc1 .LBB49_40
; %bb.39:                               ;   in Loop: Header=BB49_22 Depth=2
	v_dual_mov_b32 v8, v16 :: v_dual_mov_b32 v9, v17
	s_branch .LBB49_22
.LBB49_40:                              ;   in Loop: Header=BB49_3 Depth=1
	v_sub_nc_u32_e32 v7, v19, v20
	v_mov_b32_e32 v3, 0
	s_mov_b32 s20, exec_lo
	s_delay_alu instid0(VALU_DEP_2) | instskip(NEXT) | instid1(VALU_DEP_1)
	v_ashrrev_i32_e32 v8, 31, v7
	v_cmpx_ge_i64_e64 s[8:9], v[7:8]
	s_cbranch_execz .LBB49_50
; %bb.41:                               ;   in Loop: Header=BB49_3 Depth=1
	v_mov_b32_e32 v3, 0
	s_mov_b32 s0, exec_lo
	v_cmpx_gt_i32_e64 s7, v19
	s_cbranch_execz .LBB49_49
; %bb.42:                               ;   in Loop: Header=BB49_3 Depth=1
	v_ashrrev_i32_e32 v3, 31, v6
	v_add_co_u32 v9, vcc_lo, s12, v6
	v_add_nc_u32_e32 v5, 1, v19
	s_mov_b32 s1, exec_lo
	s_delay_alu instid0(VALU_DEP_3)
	v_add_co_ci_u32_e32 v10, vcc_lo, s13, v3, vcc_lo
	global_load_u8 v3, v[9:10], off
	v_cmpx_gt_i32_e64 s7, v5
	s_xor_b32 s1, exec_lo, s1
	s_cbranch_execz .LBB49_48
; %bb.43:                               ;   in Loop: Header=BB49_3 Depth=1
	v_add_co_u32 v9, vcc_lo, v9, s15
	v_add_co_ci_u32_e32 v10, vcc_lo, s41, v10, vcc_lo
	s_mov_b32 s2, exec_lo
	global_load_u8 v5, v[9:10], off
	s_waitcnt vmcnt(0)
	v_lshlrev_b16 v5, 8, v5
	s_delay_alu instid0(VALU_DEP_1) | instskip(SKIP_1) | instid1(VALU_DEP_2)
	v_or_b32_e32 v3, v3, v5
	v_add_nc_u32_e32 v5, 2, v19
	v_and_b32_e32 v3, 0xffff, v3
	s_delay_alu instid0(VALU_DEP_2)
	v_cmpx_gt_i32_e64 s7, v5
	s_xor_b32 s2, exec_lo, s2
	s_cbranch_execz .LBB49_47
; %bb.44:                               ;   in Loop: Header=BB49_3 Depth=1
	v_add3_u32 v5, s15, s15, v6
	s_mov_b32 s3, exec_lo
	s_delay_alu instid0(VALU_DEP_1) | instskip(SKIP_1) | instid1(VALU_DEP_2)
	v_ashrrev_i32_e32 v6, 31, v5
	v_add_co_u32 v9, vcc_lo, s12, v5
	v_add_co_ci_u32_e32 v10, vcc_lo, s13, v6, vcc_lo
	global_load_u8 v6, v[9:10], off
	v_add_nc_u32_e32 v9, 3, v19
	s_waitcnt vmcnt(0)
	v_lshl_or_b32 v3, v6, 16, v3
	s_delay_alu instid0(VALU_DEP_2)
	v_cmpx_gt_i32_e64 s7, v9
	s_xor_b32 s3, exec_lo, s3
	s_cbranch_execz .LBB49_46
; %bb.45:                               ;   in Loop: Header=BB49_3 Depth=1
	v_add_nc_u32_e32 v5, s15, v5
	s_delay_alu instid0(VALU_DEP_1) | instskip(SKIP_1) | instid1(VALU_DEP_2)
	v_ashrrev_i32_e32 v6, 31, v5
	v_add_co_u32 v5, vcc_lo, s12, v5
	v_add_co_ci_u32_e32 v6, vcc_lo, s13, v6, vcc_lo
	global_load_u8 v5, v[5:6], off
	v_lshrrev_b32_e32 v6, 16, v3
	s_waitcnt vmcnt(0)
	v_lshlrev_b16 v5, 8, v5
	s_delay_alu instid0(VALU_DEP_1) | instskip(NEXT) | instid1(VALU_DEP_1)
	v_or_b32_e32 v5, v6, v5
	v_lshlrev_b32_e32 v5, 16, v5
	s_delay_alu instid0(VALU_DEP_1)
	v_and_or_b32 v3, 0xffff, v3, v5
.LBB49_46:                              ;   in Loop: Header=BB49_3 Depth=1
	s_or_b32 exec_lo, exec_lo, s3
.LBB49_47:                              ;   in Loop: Header=BB49_3 Depth=1
	s_delay_alu instid0(SALU_CYCLE_1)
	s_or_b32 exec_lo, exec_lo, s2
.LBB49_48:                              ;   in Loop: Header=BB49_3 Depth=1
	s_delay_alu instid0(SALU_CYCLE_1)
	s_or_b32 exec_lo, exec_lo, s1
.LBB49_49:                              ;   in Loop: Header=BB49_3 Depth=1
	s_delay_alu instid0(SALU_CYCLE_1)
	s_or_b32 exec_lo, exec_lo, s0
	s_waitcnt vmcnt(0)
	v_lshrrev_b16 v6, 8, v3
	v_add_nc_u32_e32 v5, 1, v7
	v_and_b32_e32 v10, 0x1000000, v3
	v_add_nc_u32_e32 v9, 3, v7
	v_add_nc_u32_e32 v11, 2, v7
	v_and_b32_e32 v12, 1, v6
	v_ashrrev_i32_e32 v6, 31, v5
	v_cmp_ne_u32_e32 vcc_lo, 0, v10
	v_ashrrev_i32_e32 v10, 31, v9
	v_and_b32_e32 v13, 0x10000, v3
	v_cmp_eq_u32_e64 s0, 1, v12
	v_cmp_ge_i64_e64 s1, s[8:9], v[5:6]
	v_and_b32_e32 v3, 1, v3
	v_ashrrev_i32_e32 v12, 31, v11
	v_cmp_ge_i64_e64 s3, s[8:9], v[9:10]
	v_cmp_ge_i64_e64 s5, s[8:9], v[7:8]
	v_cmp_ne_u32_e64 s2, 0, v13
	v_cmp_eq_u32_e64 s4, 1, v3
	s_and_b32 s0, s1, s0
	v_cmp_ge_i64_e64 s6, s[8:9], v[11:12]
	v_cndmask_b32_e64 v3, 0, 1, s0
	s_and_b32 s0, s3, vcc_lo
	s_delay_alu instid0(SALU_CYCLE_1) | instskip(SKIP_1) | instid1(VALU_DEP_2)
	v_cndmask_b32_e64 v5, 0, 1, s0
	s_and_b32 s0, s5, s4
	v_lshlrev_b16 v3, 8, v3
	v_cndmask_b32_e64 v6, 0, 1, s0
	s_and_b32 s0, s6, s2
	v_lshlrev_b16 v5, 8, v5
	v_cndmask_b32_e64 v7, 0, 1, s0
	s_delay_alu instid0(VALU_DEP_3) | instskip(NEXT) | instid1(VALU_DEP_2)
	v_or_b32_e32 v3, v6, v3
	v_or_b32_e32 v5, v7, v5
	s_delay_alu instid0(VALU_DEP_2) | instskip(NEXT) | instid1(VALU_DEP_2)
	v_and_b32_e32 v3, 0xffff, v3
	v_lshlrev_b32_e32 v5, 16, v5
	s_delay_alu instid0(VALU_DEP_1)
	v_or_b32_e32 v3, v3, v5
.LBB49_50:                              ;   in Loop: Header=BB49_3 Depth=1
	s_or_b32 exec_lo, exec_lo, s20
	s_delay_alu instid0(SALU_CYCLE_1)
	s_mov_b32 s0, exec_lo
	v_cmpx_gt_i32_e64 s7, v19
	s_cbranch_execz .LBB49_2
; %bb.51:                               ;   in Loop: Header=BB49_3 Depth=1
	v_ashrrev_i32_e32 v6, 31, v4
	v_add_co_u32 v5, vcc_lo, s18, v4
	v_add_nc_u32_e32 v7, 1, v19
	s_mov_b32 s1, exec_lo
	s_delay_alu instid0(VALU_DEP_3)
	v_add_co_ci_u32_e32 v6, vcc_lo, s19, v6, vcc_lo
	global_store_b8 v[5:6], v3, off
	v_cmpx_gt_i32_e64 s7, v7
	s_xor_b32 s1, exec_lo, s1
	s_cbranch_execz .LBB49_2
; %bb.52:                               ;   in Loop: Header=BB49_3 Depth=1
	v_add_co_u32 v5, vcc_lo, v5, s17
	v_lshrrev_b32_e32 v7, 8, v3
	v_add_nc_u32_e32 v8, 2, v19
	v_add_co_ci_u32_e32 v6, vcc_lo, s42, v6, vcc_lo
	s_mov_b32 s1, exec_lo
	global_store_b8 v[5:6], v7, off
	v_cmpx_gt_i32_e64 s7, v8
	s_xor_b32 s1, exec_lo, s1
	s_cbranch_execz .LBB49_2
; %bb.53:                               ;   in Loop: Header=BB49_3 Depth=1
	v_add3_u32 v4, s17, s17, v4
	v_add_nc_u32_e32 v7, 3, v19
	s_mov_b32 s1, exec_lo
	s_delay_alu instid0(VALU_DEP_2) | instskip(SKIP_1) | instid1(VALU_DEP_2)
	v_ashrrev_i32_e32 v6, 31, v4
	v_add_co_u32 v5, vcc_lo, s18, v4
	v_add_co_ci_u32_e32 v6, vcc_lo, s19, v6, vcc_lo
	global_store_d16_hi_b8 v[5:6], v3, off
	v_cmpx_gt_i32_e64 s7, v7
	s_xor_b32 s1, exec_lo, s1
	s_cbranch_execz .LBB49_2
; %bb.54:                               ;   in Loop: Header=BB49_3 Depth=1
	v_add_nc_u32_e32 v4, s17, v4
	v_lshrrev_b32_e32 v6, 24, v3
	s_delay_alu instid0(VALU_DEP_2) | instskip(SKIP_1) | instid1(VALU_DEP_2)
	v_ashrrev_i32_e32 v5, 31, v4
	v_add_co_u32 v3, vcc_lo, s18, v4
	v_add_co_ci_u32_e32 v4, vcc_lo, s19, v5, vcc_lo
	global_store_b8 v[3:4], v6, off
	s_branch .LBB49_2
.LBB49_55:
	s_nop 0
	s_sendmsg sendmsg(MSG_DEALLOC_VGPRS)
	s_endpgm
	.section	.rodata,"a",@progbits
	.p2align	6, 0x0
	.amdhsa_kernel _ZN2at6native16triu_tril_kernelIbiLb0ELi4ELb0EEEvNS_4cuda6detail10TensorInfoIT_T0_EENS4_IKS5_S6_EEllS6_
		.amdhsa_group_segment_fixed_size 0
		.amdhsa_private_segment_fixed_size 0
		.amdhsa_kernarg_size 712
		.amdhsa_user_sgpr_count 15
		.amdhsa_user_sgpr_dispatch_ptr 0
		.amdhsa_user_sgpr_queue_ptr 0
		.amdhsa_user_sgpr_kernarg_segment_ptr 1
		.amdhsa_user_sgpr_dispatch_id 0
		.amdhsa_user_sgpr_private_segment_size 0
		.amdhsa_wavefront_size32 1
		.amdhsa_uses_dynamic_stack 0
		.amdhsa_enable_private_segment 0
		.amdhsa_system_sgpr_workgroup_id_x 1
		.amdhsa_system_sgpr_workgroup_id_y 0
		.amdhsa_system_sgpr_workgroup_id_z 0
		.amdhsa_system_sgpr_workgroup_info 0
		.amdhsa_system_vgpr_workitem_id 0
		.amdhsa_next_free_vgpr 25
		.amdhsa_next_free_sgpr 54
		.amdhsa_reserve_vcc 1
		.amdhsa_float_round_mode_32 0
		.amdhsa_float_round_mode_16_64 0
		.amdhsa_float_denorm_mode_32 3
		.amdhsa_float_denorm_mode_16_64 3
		.amdhsa_dx10_clamp 1
		.amdhsa_ieee_mode 1
		.amdhsa_fp16_overflow 0
		.amdhsa_workgroup_processor_mode 1
		.amdhsa_memory_ordered 1
		.amdhsa_forward_progress 0
		.amdhsa_shared_vgpr_count 0
		.amdhsa_exception_fp_ieee_invalid_op 0
		.amdhsa_exception_fp_denorm_src 0
		.amdhsa_exception_fp_ieee_div_zero 0
		.amdhsa_exception_fp_ieee_overflow 0
		.amdhsa_exception_fp_ieee_underflow 0
		.amdhsa_exception_fp_ieee_inexact 0
		.amdhsa_exception_int_div_zero 0
	.end_amdhsa_kernel
	.section	.text._ZN2at6native16triu_tril_kernelIbiLb0ELi4ELb0EEEvNS_4cuda6detail10TensorInfoIT_T0_EENS4_IKS5_S6_EEllS6_,"axG",@progbits,_ZN2at6native16triu_tril_kernelIbiLb0ELi4ELb0EEEvNS_4cuda6detail10TensorInfoIT_T0_EENS4_IKS5_S6_EEllS6_,comdat
.Lfunc_end49:
	.size	_ZN2at6native16triu_tril_kernelIbiLb0ELi4ELb0EEEvNS_4cuda6detail10TensorInfoIT_T0_EENS4_IKS5_S6_EEllS6_, .Lfunc_end49-_ZN2at6native16triu_tril_kernelIbiLb0ELi4ELb0EEEvNS_4cuda6detail10TensorInfoIT_T0_EENS4_IKS5_S6_EEllS6_
                                        ; -- End function
	.section	.AMDGPU.csdata,"",@progbits
; Kernel info:
; codeLenInByte = 8832
; NumSgprs: 56
; NumVgprs: 25
; ScratchSize: 0
; MemoryBound: 0
; FloatMode: 240
; IeeeMode: 1
; LDSByteSize: 0 bytes/workgroup (compile time only)
; SGPRBlocks: 6
; VGPRBlocks: 3
; NumSGPRsForWavesPerEU: 56
; NumVGPRsForWavesPerEU: 25
; Occupancy: 16
; WaveLimiterHint : 0
; COMPUTE_PGM_RSRC2:SCRATCH_EN: 0
; COMPUTE_PGM_RSRC2:USER_SGPR: 15
; COMPUTE_PGM_RSRC2:TRAP_HANDLER: 0
; COMPUTE_PGM_RSRC2:TGID_X_EN: 1
; COMPUTE_PGM_RSRC2:TGID_Y_EN: 0
; COMPUTE_PGM_RSRC2:TGID_Z_EN: 0
; COMPUTE_PGM_RSRC2:TIDIG_COMP_CNT: 0
	.section	.text._ZN2at6native16triu_tril_kernelIblLb0ELi4ELb1EEEvNS_4cuda6detail10TensorInfoIT_T0_EENS4_IKS5_S6_EEllS6_,"axG",@progbits,_ZN2at6native16triu_tril_kernelIblLb0ELi4ELb1EEEvNS_4cuda6detail10TensorInfoIT_T0_EENS4_IKS5_S6_EEllS6_,comdat
	.protected	_ZN2at6native16triu_tril_kernelIblLb0ELi4ELb1EEEvNS_4cuda6detail10TensorInfoIT_T0_EENS4_IKS5_S6_EEllS6_ ; -- Begin function _ZN2at6native16triu_tril_kernelIblLb0ELi4ELb1EEEvNS_4cuda6detail10TensorInfoIT_T0_EENS4_IKS5_S6_EEllS6_
	.globl	_ZN2at6native16triu_tril_kernelIblLb0ELi4ELb1EEEvNS_4cuda6detail10TensorInfoIT_T0_EENS4_IKS5_S6_EEllS6_
	.p2align	8
	.type	_ZN2at6native16triu_tril_kernelIblLb0ELi4ELb1EEEvNS_4cuda6detail10TensorInfoIT_T0_EENS4_IKS5_S6_EEllS6_,@function
_ZN2at6native16triu_tril_kernelIblLb0ELi4ELb1EEEvNS_4cuda6detail10TensorInfoIT_T0_EENS4_IKS5_S6_EEllS6_: ; @_ZN2at6native16triu_tril_kernelIblLb0ELi4ELb1EEEvNS_4cuda6detail10TensorInfoIT_T0_EENS4_IKS5_S6_EEllS6_
; %bb.0:
	s_clause 0x1
	s_load_b32 s2, s[0:1], 0x364
	s_load_b128 s[4:7], s[0:1], 0x340
	v_mov_b32_e32 v2, 0
	s_add_u32 s8, s0, 0x358
	s_addc_u32 s9, s1, 0
	s_delay_alu instid0(VALU_DEP_1) | instskip(SKIP_3) | instid1(VALU_DEP_1)
	v_mov_b32_e32 v1, v2
	s_waitcnt lgkmcnt(0)
	s_and_b32 s10, s2, 0xffff
	s_mov_b32 s2, exec_lo
	v_mad_u64_u32 v[3:4], null, s10, s15, v[0:1]
	s_delay_alu instid0(VALU_DEP_1) | instskip(NEXT) | instid1(VALU_DEP_1)
	v_lshlrev_b64 v[0:1], 2, v[3:4]
	v_cmpx_gt_i64_e64 s[6:7], v[0:1]
	s_cbranch_execz .LBB50_29
; %bb.1:
	s_clause 0x1
	s_load_b32 s24, s[0:1], 0x338
	s_load_b64 s[2:3], s[0:1], 0x350
	s_load_b32 s11, s[8:9], 0x0
	s_load_b64 s[8:9], s[0:1], 0x0
	s_mov_b32 s44, 0
	s_waitcnt lgkmcnt(0)
	s_ashr_i32 s25, s24, 31
	s_add_u32 s26, s0, 0x1a8
	s_addc_u32 s27, s1, 0
	s_lshl_b64 s[12:13], s[24:25], 3
	v_cvt_f32_u32_e32 v3, s2
	s_add_u32 s14, s12, -16
	s_addc_u32 s15, s13, -1
	s_add_u32 s22, s26, s14
	s_addc_u32 s23, s27, s15
	v_rcp_iflag_f32_e32 v3, v3
	s_add_u32 s17, s12, -8
	s_addc_u32 s18, s13, -1
	s_add_u32 s0, s0, 0xd0
	s_addc_u32 s28, s1, 0
	s_mul_i32 s16, s11, s10
	s_add_u32 s10, s0, s17
	s_addc_u32 s11, s28, s18
	s_add_u32 s12, s0, s14
	s_addc_u32 s13, s28, s15
	s_add_i32 s20, s24, -3
	s_waitcnt_depctr 0xfff
	v_mul_f32_e32 v3, 0x4f7ffffe, v3
	s_ashr_i32 s21, s20, 31
	s_add_u32 s14, s26, s17
	s_addc_u32 s15, s27, s18
	s_lshl_b64 s[18:19], s[20:21], 3
	s_lshl_b32 s1, s16, 2
	s_add_u32 s16, s0, s18
	s_addc_u32 s17, s28, s19
	v_cvt_u32_f32_e32 v3, v3
	s_add_u32 s18, s26, s18
	s_addc_u32 s19, s27, s19
	s_add_u32 s20, s20, 1
	s_addc_u32 s21, s21, 0
	s_sub_i32 s0, 0, s2
	s_load_b64 s[22:23], s[22:23], 0x0
	v_mul_lo_u32 v4, s0, v3
	v_cmp_gt_i64_e64 s33, s[24:25], 2
	s_ashr_i32 s24, s3, 31
	s_delay_alu instid0(VALU_DEP_2) | instskip(NEXT) | instid1(VALU_DEP_1)
	v_mul_hi_u32 v4, v3, v4
	v_add_nc_u32_e32 v16, v3, v4
	s_waitcnt lgkmcnt(0)
	s_ashr_i32 s26, s23, 31
	s_branch .LBB50_3
.LBB50_2:                               ;   in Loop: Header=BB50_3 Depth=1
	s_or_b32 exec_lo, exec_lo, s25
	v_add_co_u32 v0, vcc_lo, v0, s1
	v_add_co_ci_u32_e32 v1, vcc_lo, 0, v1, vcc_lo
	s_delay_alu instid0(VALU_DEP_1) | instskip(SKIP_1) | instid1(SALU_CYCLE_1)
	v_cmp_le_i64_e32 vcc_lo, s[6:7], v[0:1]
	s_or_b32 s44, vcc_lo, s44
	s_and_not1_b32 exec_lo, exec_lo, s44
	s_cbranch_execz .LBB50_29
.LBB50_3:                               ; =>This Loop Header: Depth=1
                                        ;     Child Loop BB50_25 Depth 2
	v_or_b32_e32 v3, s3, v1
                                        ; implicit-def: $vgpr6_vgpr7
	s_mov_b32 s0, exec_lo
	s_delay_alu instid0(VALU_DEP_1)
	v_cmpx_ne_u64_e32 0, v[2:3]
	s_xor_b32 s27, exec_lo, s0
	s_cbranch_execz .LBB50_5
; %bb.4:                                ;   in Loop: Header=BB50_3 Depth=1
	s_add_u32 s28, s2, s24
	s_mov_b32 s25, s24
	s_addc_u32 s29, s3, s24
	s_delay_alu instid0(SALU_CYCLE_1) | instskip(NEXT) | instid1(SALU_CYCLE_1)
	s_xor_b64 s[28:29], s[28:29], s[24:25]
	v_cvt_f32_u32_e32 v3, s28
	v_cvt_f32_u32_e32 v4, s29
	s_sub_u32 s0, 0, s28
	s_subb_u32 s25, 0, s29
	s_delay_alu instid0(VALU_DEP_1) | instskip(NEXT) | instid1(VALU_DEP_1)
	v_fmac_f32_e32 v3, 0x4f800000, v4
	v_rcp_f32_e32 v3, v3
	s_waitcnt_depctr 0xfff
	v_mul_f32_e32 v3, 0x5f7ffffc, v3
	s_delay_alu instid0(VALU_DEP_1) | instskip(NEXT) | instid1(VALU_DEP_1)
	v_mul_f32_e32 v4, 0x2f800000, v3
	v_trunc_f32_e32 v4, v4
	s_delay_alu instid0(VALU_DEP_1) | instskip(SKIP_1) | instid1(VALU_DEP_2)
	v_fmac_f32_e32 v3, 0xcf800000, v4
	v_cvt_u32_f32_e32 v4, v4
	v_cvt_u32_f32_e32 v3, v3
	s_delay_alu instid0(VALU_DEP_2) | instskip(NEXT) | instid1(VALU_DEP_2)
	v_mul_lo_u32 v5, s0, v4
	v_mul_hi_u32 v6, s0, v3
	v_mul_lo_u32 v7, s25, v3
	s_delay_alu instid0(VALU_DEP_2) | instskip(SKIP_1) | instid1(VALU_DEP_2)
	v_add_nc_u32_e32 v5, v6, v5
	v_mul_lo_u32 v6, s0, v3
	v_add_nc_u32_e32 v5, v5, v7
	s_delay_alu instid0(VALU_DEP_2) | instskip(NEXT) | instid1(VALU_DEP_2)
	v_mul_hi_u32 v7, v3, v6
	v_mul_lo_u32 v8, v3, v5
	v_mul_hi_u32 v9, v3, v5
	v_mul_hi_u32 v10, v4, v6
	v_mul_lo_u32 v6, v4, v6
	v_mul_hi_u32 v11, v4, v5
	v_mul_lo_u32 v5, v4, v5
	v_add_co_u32 v7, vcc_lo, v7, v8
	v_add_co_ci_u32_e32 v8, vcc_lo, 0, v9, vcc_lo
	s_delay_alu instid0(VALU_DEP_2) | instskip(NEXT) | instid1(VALU_DEP_2)
	v_add_co_u32 v6, vcc_lo, v7, v6
	v_add_co_ci_u32_e32 v6, vcc_lo, v8, v10, vcc_lo
	v_add_co_ci_u32_e32 v7, vcc_lo, 0, v11, vcc_lo
	v_ashrrev_i32_e32 v10, 31, v1
	s_delay_alu instid0(VALU_DEP_3) | instskip(NEXT) | instid1(VALU_DEP_3)
	v_add_co_u32 v5, vcc_lo, v6, v5
	v_add_co_ci_u32_e32 v6, vcc_lo, 0, v7, vcc_lo
	s_delay_alu instid0(VALU_DEP_2) | instskip(NEXT) | instid1(VALU_DEP_2)
	v_add_co_u32 v3, vcc_lo, v3, v5
	v_add_co_ci_u32_e32 v4, vcc_lo, v4, v6, vcc_lo
	s_delay_alu instid0(VALU_DEP_2) | instskip(SKIP_1) | instid1(VALU_DEP_3)
	v_mul_hi_u32 v5, s0, v3
	v_mul_lo_u32 v7, s25, v3
	v_mul_lo_u32 v6, s0, v4
	s_delay_alu instid0(VALU_DEP_1) | instskip(SKIP_1) | instid1(VALU_DEP_2)
	v_add_nc_u32_e32 v5, v5, v6
	v_mul_lo_u32 v6, s0, v3
	v_add_nc_u32_e32 v5, v5, v7
	s_delay_alu instid0(VALU_DEP_2) | instskip(NEXT) | instid1(VALU_DEP_2)
	v_mul_hi_u32 v7, v3, v6
	v_mul_lo_u32 v8, v3, v5
	v_mul_hi_u32 v9, v3, v5
	v_mul_hi_u32 v11, v4, v6
	v_mul_lo_u32 v6, v4, v6
	v_mul_hi_u32 v12, v4, v5
	v_mul_lo_u32 v5, v4, v5
	v_add_co_u32 v7, vcc_lo, v7, v8
	v_add_co_ci_u32_e32 v8, vcc_lo, 0, v9, vcc_lo
	s_delay_alu instid0(VALU_DEP_2) | instskip(NEXT) | instid1(VALU_DEP_2)
	v_add_co_u32 v6, vcc_lo, v7, v6
	v_add_co_ci_u32_e32 v6, vcc_lo, v8, v11, vcc_lo
	v_add_co_ci_u32_e32 v7, vcc_lo, 0, v12, vcc_lo
	v_add_co_u32 v8, vcc_lo, v0, v10
	v_add_co_ci_u32_e32 v9, vcc_lo, v1, v10, vcc_lo
	s_delay_alu instid0(VALU_DEP_4) | instskip(NEXT) | instid1(VALU_DEP_4)
	v_add_co_u32 v5, vcc_lo, v6, v5
	v_add_co_ci_u32_e32 v6, vcc_lo, 0, v7, vcc_lo
	s_delay_alu instid0(VALU_DEP_4) | instskip(NEXT) | instid1(VALU_DEP_3)
	v_xor_b32_e32 v11, v8, v10
	v_add_co_u32 v7, vcc_lo, v3, v5
	s_delay_alu instid0(VALU_DEP_3) | instskip(SKIP_1) | instid1(VALU_DEP_3)
	v_add_co_ci_u32_e32 v12, vcc_lo, v4, v6, vcc_lo
	v_xor_b32_e32 v9, v9, v10
	v_mul_hi_u32 v13, v11, v7
	s_delay_alu instid0(VALU_DEP_3) | instskip(NEXT) | instid1(VALU_DEP_3)
	v_mad_u64_u32 v[3:4], null, v11, v12, 0
	v_mad_u64_u32 v[5:6], null, v9, v7, 0
	;; [unrolled: 1-line block ×3, first 2 shown]
	s_delay_alu instid0(VALU_DEP_3) | instskip(NEXT) | instid1(VALU_DEP_4)
	v_add_co_u32 v3, vcc_lo, v13, v3
	v_add_co_ci_u32_e32 v4, vcc_lo, 0, v4, vcc_lo
	s_delay_alu instid0(VALU_DEP_2) | instskip(NEXT) | instid1(VALU_DEP_2)
	v_add_co_u32 v3, vcc_lo, v3, v5
	v_add_co_ci_u32_e32 v3, vcc_lo, v4, v6, vcc_lo
	v_add_co_ci_u32_e32 v4, vcc_lo, 0, v8, vcc_lo
	s_delay_alu instid0(VALU_DEP_2) | instskip(NEXT) | instid1(VALU_DEP_2)
	v_add_co_u32 v5, vcc_lo, v3, v7
	v_add_co_ci_u32_e32 v6, vcc_lo, 0, v4, vcc_lo
	s_delay_alu instid0(VALU_DEP_2) | instskip(SKIP_1) | instid1(VALU_DEP_3)
	v_mul_lo_u32 v7, s29, v5
	v_mad_u64_u32 v[3:4], null, s28, v5, 0
	v_mul_lo_u32 v8, s28, v6
	s_delay_alu instid0(VALU_DEP_2) | instskip(NEXT) | instid1(VALU_DEP_2)
	v_sub_co_u32 v3, vcc_lo, v11, v3
	v_add3_u32 v4, v4, v8, v7
	s_delay_alu instid0(VALU_DEP_1) | instskip(NEXT) | instid1(VALU_DEP_1)
	v_sub_nc_u32_e32 v7, v9, v4
	v_subrev_co_ci_u32_e64 v7, s0, s29, v7, vcc_lo
	v_add_co_u32 v8, s0, v5, 2
	s_delay_alu instid0(VALU_DEP_1) | instskip(SKIP_3) | instid1(VALU_DEP_3)
	v_add_co_ci_u32_e64 v11, s0, 0, v6, s0
	v_sub_co_u32 v12, s0, v3, s28
	v_sub_co_ci_u32_e32 v4, vcc_lo, v9, v4, vcc_lo
	v_subrev_co_ci_u32_e64 v7, s0, 0, v7, s0
	v_cmp_le_u32_e32 vcc_lo, s28, v12
	s_delay_alu instid0(VALU_DEP_3) | instskip(SKIP_1) | instid1(VALU_DEP_4)
	v_cmp_eq_u32_e64 s0, s29, v4
	v_cndmask_b32_e64 v9, 0, -1, vcc_lo
	v_cmp_le_u32_e32 vcc_lo, s29, v7
	v_cndmask_b32_e64 v12, 0, -1, vcc_lo
	v_cmp_le_u32_e32 vcc_lo, s28, v3
	;; [unrolled: 2-line block ×3, first 2 shown]
	v_cndmask_b32_e64 v13, 0, -1, vcc_lo
	v_cmp_eq_u32_e32 vcc_lo, s29, v7
	s_delay_alu instid0(VALU_DEP_2) | instskip(SKIP_3) | instid1(VALU_DEP_3)
	v_cndmask_b32_e64 v3, v13, v3, s0
	v_cndmask_b32_e32 v7, v12, v9, vcc_lo
	v_add_co_u32 v9, vcc_lo, v5, 1
	v_add_co_ci_u32_e32 v12, vcc_lo, 0, v6, vcc_lo
	v_cmp_ne_u32_e32 vcc_lo, 0, v7
	s_delay_alu instid0(VALU_DEP_2) | instskip(SKIP_2) | instid1(VALU_DEP_3)
	v_dual_cndmask_b32 v4, v12, v11 :: v_dual_cndmask_b32 v7, v9, v8
	v_cmp_ne_u32_e32 vcc_lo, 0, v3
	v_xor_b32_e32 v3, s24, v10
	v_dual_cndmask_b32 v5, v5, v7 :: v_dual_cndmask_b32 v4, v6, v4
	s_delay_alu instid0(VALU_DEP_1) | instskip(NEXT) | instid1(VALU_DEP_2)
	v_xor_b32_e32 v5, v5, v3
	v_xor_b32_e32 v4, v4, v3
	s_delay_alu instid0(VALU_DEP_2) | instskip(NEXT) | instid1(VALU_DEP_2)
	v_sub_co_u32 v6, vcc_lo, v5, v3
	v_sub_co_ci_u32_e32 v7, vcc_lo, v4, v3, vcc_lo
.LBB50_5:                               ;   in Loop: Header=BB50_3 Depth=1
	s_and_not1_saveexec_b32 s0, s27
; %bb.6:                                ;   in Loop: Header=BB50_3 Depth=1
	v_mul_hi_u32 v3, v0, v16
	v_mov_b32_e32 v7, v2
	s_delay_alu instid0(VALU_DEP_2) | instskip(NEXT) | instid1(VALU_DEP_1)
	v_mul_lo_u32 v4, v3, s2
	v_sub_nc_u32_e32 v4, v0, v4
	s_delay_alu instid0(VALU_DEP_1) | instskip(SKIP_1) | instid1(VALU_DEP_2)
	v_subrev_nc_u32_e32 v6, s2, v4
	v_cmp_le_u32_e32 vcc_lo, s2, v4
	v_dual_cndmask_b32 v4, v4, v6 :: v_dual_add_nc_u32 v5, 1, v3
	s_delay_alu instid0(VALU_DEP_1) | instskip(NEXT) | instid1(VALU_DEP_2)
	v_cndmask_b32_e32 v3, v3, v5, vcc_lo
	v_cmp_le_u32_e32 vcc_lo, s2, v4
	s_delay_alu instid0(VALU_DEP_2) | instskip(NEXT) | instid1(VALU_DEP_1)
	v_add_nc_u32_e32 v5, 1, v3
	v_cndmask_b32_e32 v6, v3, v5, vcc_lo
; %bb.7:                                ;   in Loop: Header=BB50_3 Depth=1
	s_or_b32 exec_lo, exec_lo, s0
	v_or_b32_e32 v3, s23, v7
                                        ; implicit-def: $vgpr8_vgpr9
	s_mov_b32 s0, exec_lo
	s_delay_alu instid0(VALU_DEP_1)
	v_cmpx_ne_u64_e32 0, v[2:3]
	s_xor_b32 s25, exec_lo, s0
	s_cbranch_execz .LBB50_9
; %bb.8:                                ;   in Loop: Header=BB50_3 Depth=1
	s_add_u32 s28, s22, s26
	s_mov_b32 s27, s26
	s_addc_u32 s29, s23, s26
	s_delay_alu instid0(SALU_CYCLE_1) | instskip(NEXT) | instid1(SALU_CYCLE_1)
	s_xor_b64 s[28:29], s[28:29], s[26:27]
	v_cvt_f32_u32_e32 v3, s28
	v_cvt_f32_u32_e32 v4, s29
	s_sub_u32 s0, 0, s28
	s_subb_u32 s27, 0, s29
	s_delay_alu instid0(VALU_DEP_1) | instskip(NEXT) | instid1(VALU_DEP_1)
	v_fmac_f32_e32 v3, 0x4f800000, v4
	v_rcp_f32_e32 v3, v3
	s_waitcnt_depctr 0xfff
	v_mul_f32_e32 v3, 0x5f7ffffc, v3
	s_delay_alu instid0(VALU_DEP_1) | instskip(NEXT) | instid1(VALU_DEP_1)
	v_mul_f32_e32 v4, 0x2f800000, v3
	v_trunc_f32_e32 v4, v4
	s_delay_alu instid0(VALU_DEP_1) | instskip(SKIP_1) | instid1(VALU_DEP_2)
	v_fmac_f32_e32 v3, 0xcf800000, v4
	v_cvt_u32_f32_e32 v4, v4
	v_cvt_u32_f32_e32 v3, v3
	s_delay_alu instid0(VALU_DEP_2) | instskip(NEXT) | instid1(VALU_DEP_2)
	v_mul_lo_u32 v5, s0, v4
	v_mul_hi_u32 v8, s0, v3
	v_mul_lo_u32 v9, s27, v3
	s_delay_alu instid0(VALU_DEP_2) | instskip(SKIP_1) | instid1(VALU_DEP_2)
	v_add_nc_u32_e32 v5, v8, v5
	v_mul_lo_u32 v8, s0, v3
	v_add_nc_u32_e32 v5, v5, v9
	s_delay_alu instid0(VALU_DEP_2) | instskip(NEXT) | instid1(VALU_DEP_2)
	v_mul_hi_u32 v9, v3, v8
	v_mul_lo_u32 v10, v3, v5
	v_mul_hi_u32 v11, v3, v5
	v_mul_hi_u32 v12, v4, v8
	v_mul_lo_u32 v8, v4, v8
	v_mul_hi_u32 v13, v4, v5
	v_mul_lo_u32 v5, v4, v5
	v_add_co_u32 v9, vcc_lo, v9, v10
	v_add_co_ci_u32_e32 v10, vcc_lo, 0, v11, vcc_lo
	s_delay_alu instid0(VALU_DEP_2) | instskip(NEXT) | instid1(VALU_DEP_2)
	v_add_co_u32 v8, vcc_lo, v9, v8
	v_add_co_ci_u32_e32 v8, vcc_lo, v10, v12, vcc_lo
	v_add_co_ci_u32_e32 v9, vcc_lo, 0, v13, vcc_lo
	v_ashrrev_i32_e32 v12, 31, v7
	s_delay_alu instid0(VALU_DEP_3) | instskip(NEXT) | instid1(VALU_DEP_3)
	v_add_co_u32 v5, vcc_lo, v8, v5
	v_add_co_ci_u32_e32 v8, vcc_lo, 0, v9, vcc_lo
	s_delay_alu instid0(VALU_DEP_2) | instskip(NEXT) | instid1(VALU_DEP_2)
	v_add_co_u32 v3, vcc_lo, v3, v5
	v_add_co_ci_u32_e32 v4, vcc_lo, v4, v8, vcc_lo
	s_delay_alu instid0(VALU_DEP_2) | instskip(SKIP_1) | instid1(VALU_DEP_3)
	v_mul_hi_u32 v5, s0, v3
	v_mul_lo_u32 v9, s27, v3
	v_mul_lo_u32 v8, s0, v4
	s_delay_alu instid0(VALU_DEP_1) | instskip(SKIP_1) | instid1(VALU_DEP_2)
	v_add_nc_u32_e32 v5, v5, v8
	v_mul_lo_u32 v8, s0, v3
	v_add_nc_u32_e32 v5, v5, v9
	s_delay_alu instid0(VALU_DEP_2) | instskip(NEXT) | instid1(VALU_DEP_2)
	v_mul_hi_u32 v9, v3, v8
	v_mul_lo_u32 v10, v3, v5
	v_mul_hi_u32 v11, v3, v5
	v_mul_hi_u32 v13, v4, v8
	v_mul_lo_u32 v8, v4, v8
	v_mul_hi_u32 v14, v4, v5
	v_mul_lo_u32 v5, v4, v5
	v_add_co_u32 v9, vcc_lo, v9, v10
	v_add_co_ci_u32_e32 v10, vcc_lo, 0, v11, vcc_lo
	s_delay_alu instid0(VALU_DEP_2) | instskip(NEXT) | instid1(VALU_DEP_2)
	v_add_co_u32 v8, vcc_lo, v9, v8
	v_add_co_ci_u32_e32 v8, vcc_lo, v10, v13, vcc_lo
	v_add_co_ci_u32_e32 v9, vcc_lo, 0, v14, vcc_lo
	v_add_co_u32 v10, vcc_lo, v6, v12
	v_add_co_ci_u32_e32 v11, vcc_lo, v7, v12, vcc_lo
	s_delay_alu instid0(VALU_DEP_4) | instskip(NEXT) | instid1(VALU_DEP_4)
	v_add_co_u32 v5, vcc_lo, v8, v5
	v_add_co_ci_u32_e32 v8, vcc_lo, 0, v9, vcc_lo
	s_delay_alu instid0(VALU_DEP_4) | instskip(NEXT) | instid1(VALU_DEP_3)
	v_xor_b32_e32 v13, v10, v12
	v_add_co_u32 v5, vcc_lo, v3, v5
	s_delay_alu instid0(VALU_DEP_3) | instskip(SKIP_1) | instid1(VALU_DEP_3)
	v_add_co_ci_u32_e32 v14, vcc_lo, v4, v8, vcc_lo
	v_xor_b32_e32 v15, v11, v12
	v_mul_hi_u32 v17, v13, v5
	s_delay_alu instid0(VALU_DEP_3) | instskip(NEXT) | instid1(VALU_DEP_3)
	v_mad_u64_u32 v[3:4], null, v13, v14, 0
	v_mad_u64_u32 v[8:9], null, v15, v5, 0
	;; [unrolled: 1-line block ×3, first 2 shown]
	s_delay_alu instid0(VALU_DEP_3) | instskip(NEXT) | instid1(VALU_DEP_4)
	v_add_co_u32 v3, vcc_lo, v17, v3
	v_add_co_ci_u32_e32 v4, vcc_lo, 0, v4, vcc_lo
	s_delay_alu instid0(VALU_DEP_2) | instskip(NEXT) | instid1(VALU_DEP_2)
	v_add_co_u32 v3, vcc_lo, v3, v8
	v_add_co_ci_u32_e32 v3, vcc_lo, v4, v9, vcc_lo
	v_add_co_ci_u32_e32 v4, vcc_lo, 0, v11, vcc_lo
	s_delay_alu instid0(VALU_DEP_2) | instskip(NEXT) | instid1(VALU_DEP_2)
	v_add_co_u32 v5, vcc_lo, v3, v10
	v_add_co_ci_u32_e32 v8, vcc_lo, 0, v4, vcc_lo
	s_delay_alu instid0(VALU_DEP_2) | instskip(SKIP_1) | instid1(VALU_DEP_3)
	v_mul_lo_u32 v9, s29, v5
	v_mad_u64_u32 v[3:4], null, s28, v5, 0
	v_mul_lo_u32 v10, s28, v8
	s_delay_alu instid0(VALU_DEP_2) | instskip(NEXT) | instid1(VALU_DEP_2)
	v_sub_co_u32 v3, vcc_lo, v13, v3
	v_add3_u32 v4, v4, v10, v9
	s_delay_alu instid0(VALU_DEP_1) | instskip(NEXT) | instid1(VALU_DEP_1)
	v_sub_nc_u32_e32 v9, v15, v4
	v_subrev_co_ci_u32_e64 v9, s0, s29, v9, vcc_lo
	v_add_co_u32 v10, s0, v5, 2
	s_delay_alu instid0(VALU_DEP_1) | instskip(SKIP_3) | instid1(VALU_DEP_3)
	v_add_co_ci_u32_e64 v11, s0, 0, v8, s0
	v_sub_co_u32 v13, s0, v3, s28
	v_sub_co_ci_u32_e32 v4, vcc_lo, v15, v4, vcc_lo
	v_subrev_co_ci_u32_e64 v9, s0, 0, v9, s0
	v_cmp_le_u32_e32 vcc_lo, s28, v13
	s_delay_alu instid0(VALU_DEP_3) | instskip(SKIP_1) | instid1(VALU_DEP_4)
	v_cmp_eq_u32_e64 s0, s29, v4
	v_cndmask_b32_e64 v13, 0, -1, vcc_lo
	v_cmp_le_u32_e32 vcc_lo, s29, v9
	v_cndmask_b32_e64 v14, 0, -1, vcc_lo
	v_cmp_le_u32_e32 vcc_lo, s28, v3
	;; [unrolled: 2-line block ×3, first 2 shown]
	v_cndmask_b32_e64 v15, 0, -1, vcc_lo
	v_cmp_eq_u32_e32 vcc_lo, s29, v9
	s_delay_alu instid0(VALU_DEP_2) | instskip(SKIP_3) | instid1(VALU_DEP_3)
	v_cndmask_b32_e64 v3, v15, v3, s0
	v_cndmask_b32_e32 v9, v14, v13, vcc_lo
	v_add_co_u32 v13, vcc_lo, v5, 1
	v_add_co_ci_u32_e32 v14, vcc_lo, 0, v8, vcc_lo
	v_cmp_ne_u32_e32 vcc_lo, 0, v9
	s_delay_alu instid0(VALU_DEP_2) | instskip(SKIP_2) | instid1(VALU_DEP_3)
	v_dual_cndmask_b32 v4, v14, v11 :: v_dual_cndmask_b32 v9, v13, v10
	v_cmp_ne_u32_e32 vcc_lo, 0, v3
	v_xor_b32_e32 v3, s26, v12
	v_dual_cndmask_b32 v5, v5, v9 :: v_dual_cndmask_b32 v4, v8, v4
	s_delay_alu instid0(VALU_DEP_1) | instskip(NEXT) | instid1(VALU_DEP_2)
	v_xor_b32_e32 v5, v5, v3
	v_xor_b32_e32 v4, v4, v3
	s_delay_alu instid0(VALU_DEP_2) | instskip(NEXT) | instid1(VALU_DEP_2)
	v_sub_co_u32 v8, vcc_lo, v5, v3
	v_sub_co_ci_u32_e32 v9, vcc_lo, v4, v3, vcc_lo
.LBB50_9:                               ;   in Loop: Header=BB50_3 Depth=1
	s_and_not1_saveexec_b32 s0, s25
	s_cbranch_execz .LBB50_11
; %bb.10:                               ;   in Loop: Header=BB50_3 Depth=1
	v_cvt_f32_u32_e32 v3, s22
	s_sub_i32 s25, 0, s22
	v_mov_b32_e32 v9, v2
	s_delay_alu instid0(VALU_DEP_2) | instskip(SKIP_2) | instid1(VALU_DEP_1)
	v_rcp_iflag_f32_e32 v3, v3
	s_waitcnt_depctr 0xfff
	v_mul_f32_e32 v3, 0x4f7ffffe, v3
	v_cvt_u32_f32_e32 v3, v3
	s_delay_alu instid0(VALU_DEP_1) | instskip(NEXT) | instid1(VALU_DEP_1)
	v_mul_lo_u32 v4, s25, v3
	v_mul_hi_u32 v4, v3, v4
	s_delay_alu instid0(VALU_DEP_1) | instskip(NEXT) | instid1(VALU_DEP_1)
	v_add_nc_u32_e32 v3, v3, v4
	v_mul_hi_u32 v3, v6, v3
	s_delay_alu instid0(VALU_DEP_1) | instskip(SKIP_1) | instid1(VALU_DEP_2)
	v_mul_lo_u32 v4, v3, s22
	v_add_nc_u32_e32 v5, 1, v3
	v_sub_nc_u32_e32 v4, v6, v4
	s_delay_alu instid0(VALU_DEP_1) | instskip(SKIP_1) | instid1(VALU_DEP_2)
	v_subrev_nc_u32_e32 v8, s22, v4
	v_cmp_le_u32_e32 vcc_lo, s22, v4
	v_dual_cndmask_b32 v4, v4, v8 :: v_dual_cndmask_b32 v3, v3, v5
	s_delay_alu instid0(VALU_DEP_1) | instskip(NEXT) | instid1(VALU_DEP_2)
	v_cmp_le_u32_e32 vcc_lo, s22, v4
	v_add_nc_u32_e32 v5, 1, v3
	s_delay_alu instid0(VALU_DEP_1)
	v_cndmask_b32_e32 v8, v3, v5, vcc_lo
.LBB50_11:                              ;   in Loop: Header=BB50_3 Depth=1
	s_or_b32 exec_lo, exec_lo, s0
	v_mul_lo_u32 v5, v7, s2
	v_mul_lo_u32 v12, v6, s3
	v_mad_u64_u32 v[3:4], null, v6, s2, 0
	v_mul_lo_u32 v13, v9, s22
	v_mul_lo_u32 v14, v8, s23
	v_mad_u64_u32 v[10:11], null, v8, s22, 0
	s_mov_b32 s25, exec_lo
	s_delay_alu instid0(VALU_DEP_4) | instskip(SKIP_1) | instid1(VALU_DEP_3)
	v_add3_u32 v5, v4, v12, v5
	v_sub_co_u32 v4, vcc_lo, v0, v3
	v_add3_u32 v11, v11, v14, v13
	s_delay_alu instid0(VALU_DEP_3) | instskip(SKIP_1) | instid1(VALU_DEP_3)
	v_sub_co_ci_u32_e32 v5, vcc_lo, v1, v5, vcc_lo
	v_sub_co_u32 v17, vcc_lo, v6, v10
	v_sub_co_ci_u32_e32 v18, vcc_lo, v7, v11, vcc_lo
	s_delay_alu instid0(VALU_DEP_2) | instskip(NEXT) | instid1(VALU_DEP_2)
	v_sub_co_u32 v6, vcc_lo, v4, v17
	v_sub_co_ci_u32_e32 v7, vcc_lo, v5, v18, vcc_lo
	s_delay_alu instid0(VALU_DEP_2) | instskip(NEXT) | instid1(VALU_DEP_2)
	v_add_co_u32 v10, vcc_lo, v6, 4
	v_add_co_ci_u32_e32 v11, vcc_lo, 0, v7, vcc_lo
	s_delay_alu instid0(VALU_DEP_1)
	v_cmpx_lt_i64_e64 s[4:5], v[10:11]
	s_cbranch_execz .LBB50_2
; %bb.12:                               ;   in Loop: Header=BB50_3 Depth=1
	s_clause 0x1
	s_load_b64 s[28:29], s[10:11], 0x0
	s_load_b64 s[30:31], s[12:13], 0x0
	s_and_b32 vcc_lo, exec_lo, s33
	s_mov_b64 s[34:35], s[18:19]
	s_mov_b64 s[36:37], s[16:17]
	s_waitcnt lgkmcnt(0)
	v_mul_lo_u32 v3, s29, v4
	v_mul_lo_u32 v12, s28, v5
	v_mad_u64_u32 v[10:11], null, s28, v4, 0
	s_delay_alu instid0(VALU_DEP_1) | instskip(SKIP_1) | instid1(VALU_DEP_2)
	v_add3_u32 v11, v11, v12, v3
	v_mul_lo_u32 v3, s30, v18
	v_mad_u64_u32 v[14:15], null, s30, v17, v[10:11]
	v_mul_lo_u32 v10, s31, v17
	s_mov_b64 s[30:31], s[20:21]
	s_delay_alu instid0(VALU_DEP_1) | instskip(NEXT) | instid1(VALU_DEP_1)
	v_add3_u32 v15, v10, v15, v3
	v_dual_mov_b32 v10, v14 :: v_dual_mov_b32 v11, v15
	s_cbranch_vccnz .LBB50_25
.LBB50_13:                              ;   in Loop: Header=BB50_3 Depth=1
	s_load_b64 s[30:31], s[14:15], 0x0
	s_waitcnt lgkmcnt(0)
	v_cmp_gt_i64_e32 vcc_lo, s[30:31], v[4:5]
	s_and_b32 exec_lo, exec_lo, vcc_lo
	s_cbranch_execz .LBB50_2
; %bb.14:                               ;   in Loop: Header=BB50_3 Depth=1
	v_cmp_lt_i64_e32 vcc_lo, s[4:5], v[6:7]
	v_add_co_u32 v6, s0, s8, v14
	s_delay_alu instid0(VALU_DEP_1)
	v_add_co_ci_u32_e64 v7, s0, s9, v15, s0
	s_and_saveexec_b32 s0, vcc_lo
	s_cbranch_execz .LBB50_16
; %bb.15:                               ;   in Loop: Header=BB50_3 Depth=1
	global_store_b8 v[6:7], v2, off
.LBB50_16:                              ;   in Loop: Header=BB50_3 Depth=1
	s_or_b32 exec_lo, exec_lo, s0
	v_add_co_u32 v8, vcc_lo, v4, 1
	v_add_co_ci_u32_e32 v9, vcc_lo, 0, v5, vcc_lo
	s_delay_alu instid0(VALU_DEP_1)
	v_cmp_gt_i64_e32 vcc_lo, s[30:31], v[8:9]
	s_and_b32 exec_lo, exec_lo, vcc_lo
	s_cbranch_execz .LBB50_2
; %bb.17:                               ;   in Loop: Header=BB50_3 Depth=1
	v_sub_co_u32 v8, vcc_lo, v8, v17
	v_sub_co_ci_u32_e32 v9, vcc_lo, v9, v18, vcc_lo
	s_mov_b32 s0, exec_lo
	s_delay_alu instid0(VALU_DEP_1)
	v_cmpx_lt_i64_e64 s[4:5], v[8:9]
	s_cbranch_execz .LBB50_19
; %bb.18:                               ;   in Loop: Header=BB50_3 Depth=1
	v_add_co_u32 v8, vcc_lo, v6, s28
	v_add_co_ci_u32_e32 v9, vcc_lo, s29, v7, vcc_lo
	global_store_b8 v[8:9], v2, off
.LBB50_19:                              ;   in Loop: Header=BB50_3 Depth=1
	s_or_b32 exec_lo, exec_lo, s0
	v_add_co_u32 v8, vcc_lo, v4, 2
	v_add_co_ci_u32_e32 v9, vcc_lo, 0, v5, vcc_lo
	s_delay_alu instid0(VALU_DEP_1)
	v_cmp_gt_i64_e32 vcc_lo, s[30:31], v[8:9]
	s_and_b32 exec_lo, exec_lo, vcc_lo
	s_cbranch_execz .LBB50_2
; %bb.20:                               ;   in Loop: Header=BB50_3 Depth=1
	v_sub_co_u32 v8, vcc_lo, v8, v17
	v_sub_co_ci_u32_e32 v9, vcc_lo, v9, v18, vcc_lo
	s_mov_b32 s0, exec_lo
	s_delay_alu instid0(VALU_DEP_1)
	v_cmpx_lt_i64_e64 s[4:5], v[8:9]
	s_cbranch_execz .LBB50_22
; %bb.21:                               ;   in Loop: Header=BB50_3 Depth=1
	s_lshl_b64 s[34:35], s[28:29], 1
	s_delay_alu instid0(SALU_CYCLE_1)
	v_add_co_u32 v8, vcc_lo, v6, s34
	v_add_co_ci_u32_e32 v9, vcc_lo, s35, v7, vcc_lo
	global_store_b8 v[8:9], v2, off
.LBB50_22:                              ;   in Loop: Header=BB50_3 Depth=1
	s_or_b32 exec_lo, exec_lo, s0
	v_add_co_u32 v3, vcc_lo, v4, 3
	v_add_co_ci_u32_e32 v4, vcc_lo, 0, v5, vcc_lo
	s_delay_alu instid0(VALU_DEP_2) | instskip(NEXT) | instid1(VALU_DEP_2)
	v_sub_co_u32 v8, vcc_lo, v3, v17
	v_sub_co_ci_u32_e32 v9, vcc_lo, v4, v18, vcc_lo
	v_cmp_gt_i64_e32 vcc_lo, s[30:31], v[3:4]
	s_delay_alu instid0(VALU_DEP_2) | instskip(NEXT) | instid1(VALU_DEP_1)
	v_cmp_lt_i64_e64 s0, s[4:5], v[8:9]
	s_and_b32 s0, vcc_lo, s0
	s_delay_alu instid0(SALU_CYCLE_1)
	s_and_b32 exec_lo, exec_lo, s0
	s_cbranch_execz .LBB50_2
; %bb.23:                               ;   in Loop: Header=BB50_3 Depth=1
	v_mad_u64_u32 v[3:4], null, s28, 3, v[6:7]
	s_delay_alu instid0(VALU_DEP_1) | instskip(NEXT) | instid1(VALU_DEP_1)
	v_mad_u64_u32 v[5:6], null, s29, 3, v[4:5]
	v_mov_b32_e32 v4, v5
	global_store_b8 v[3:4], v2, off
	s_branch .LBB50_2
.LBB50_24:                              ;   in Loop: Header=BB50_25 Depth=2
	s_or_b32 exec_lo, exec_lo, s0
	s_load_b64 s[40:41], s[36:37], 0x0
	s_delay_alu instid0(VALU_DEP_1)
	v_mul_lo_u32 v3, v13, s38
	v_mul_lo_u32 v19, v12, s39
	v_mad_u64_u32 v[14:15], null, v12, s38, 0
	s_add_u32 s36, s36, -8
	s_addc_u32 s37, s37, -1
	s_add_u32 s34, s34, -8
	s_addc_u32 s35, s35, -1
	;; [unrolled: 2-line block ×3, first 2 shown]
	s_delay_alu instid0(VALU_DEP_1) | instskip(SKIP_2) | instid1(VALU_DEP_3)
	v_add3_u32 v3, v15, v19, v3
	v_sub_co_u32 v8, vcc_lo, v8, v14
	v_cmp_lt_i64_e64 s0, s[30:31], 1
	v_sub_co_ci_u32_e32 v3, vcc_lo, v9, v3, vcc_lo
	s_delay_alu instid0(VALU_DEP_2) | instskip(SKIP_1) | instid1(VALU_DEP_1)
	s_and_b32 vcc_lo, exec_lo, s0
	s_waitcnt lgkmcnt(0)
	v_mul_lo_u32 v3, s40, v3
	v_mul_lo_u32 v9, s41, v8
	v_mad_u64_u32 v[14:15], null, s40, v8, v[10:11]
	s_delay_alu instid0(VALU_DEP_1) | instskip(NEXT) | instid1(VALU_DEP_2)
	v_add3_u32 v15, v9, v15, v3
	v_mov_b32_e32 v10, v14
	v_dual_mov_b32 v8, v12 :: v_dual_mov_b32 v9, v13
	s_delay_alu instid0(VALU_DEP_3)
	v_mov_b32_e32 v11, v15
	s_cbranch_vccnz .LBB50_13
.LBB50_25:                              ;   Parent Loop BB50_3 Depth=1
                                        ; =>  This Inner Loop Header: Depth=2
	s_load_b64 s[38:39], s[34:35], 0x0
                                        ; implicit-def: $vgpr12_vgpr13
	s_mov_b32 s0, exec_lo
	s_waitcnt lgkmcnt(0)
	v_or_b32_e32 v3, s39, v9
	s_delay_alu instid0(VALU_DEP_1)
	v_cmpx_ne_u64_e32 0, v[2:3]
	s_xor_b32 s27, exec_lo, s0
	s_cbranch_execz .LBB50_27
; %bb.26:                               ;   in Loop: Header=BB50_25 Depth=2
	s_ashr_i32 s40, s39, 31
	s_delay_alu instid0(SALU_CYCLE_1) | instskip(SKIP_2) | instid1(SALU_CYCLE_1)
	s_add_u32 s42, s38, s40
	s_mov_b32 s41, s40
	s_addc_u32 s43, s39, s40
	s_xor_b64 s[42:43], s[42:43], s[40:41]
	s_delay_alu instid0(SALU_CYCLE_1) | instskip(SKIP_3) | instid1(VALU_DEP_1)
	v_cvt_f32_u32_e32 v3, s42
	v_cvt_f32_u32_e32 v12, s43
	s_sub_u32 s0, 0, s42
	s_subb_u32 s41, 0, s43
	v_fmac_f32_e32 v3, 0x4f800000, v12
	s_delay_alu instid0(VALU_DEP_1) | instskip(SKIP_2) | instid1(VALU_DEP_1)
	v_rcp_f32_e32 v3, v3
	s_waitcnt_depctr 0xfff
	v_mul_f32_e32 v3, 0x5f7ffffc, v3
	v_mul_f32_e32 v12, 0x2f800000, v3
	s_delay_alu instid0(VALU_DEP_1) | instskip(NEXT) | instid1(VALU_DEP_1)
	v_trunc_f32_e32 v12, v12
	v_fmac_f32_e32 v3, 0xcf800000, v12
	v_cvt_u32_f32_e32 v12, v12
	s_delay_alu instid0(VALU_DEP_2) | instskip(NEXT) | instid1(VALU_DEP_2)
	v_cvt_u32_f32_e32 v3, v3
	v_mul_lo_u32 v13, s0, v12
	s_delay_alu instid0(VALU_DEP_2) | instskip(SKIP_1) | instid1(VALU_DEP_2)
	v_mul_hi_u32 v14, s0, v3
	v_mul_lo_u32 v15, s41, v3
	v_add_nc_u32_e32 v13, v14, v13
	v_mul_lo_u32 v14, s0, v3
	s_delay_alu instid0(VALU_DEP_2) | instskip(NEXT) | instid1(VALU_DEP_2)
	v_add_nc_u32_e32 v13, v13, v15
	v_mul_hi_u32 v15, v3, v14
	s_delay_alu instid0(VALU_DEP_2)
	v_mul_lo_u32 v19, v3, v13
	v_mul_hi_u32 v20, v3, v13
	v_mul_hi_u32 v21, v12, v14
	v_mul_lo_u32 v14, v12, v14
	v_mul_hi_u32 v22, v12, v13
	v_mul_lo_u32 v13, v12, v13
	v_add_co_u32 v15, vcc_lo, v15, v19
	v_add_co_ci_u32_e32 v19, vcc_lo, 0, v20, vcc_lo
	s_delay_alu instid0(VALU_DEP_2) | instskip(NEXT) | instid1(VALU_DEP_2)
	v_add_co_u32 v14, vcc_lo, v15, v14
	v_add_co_ci_u32_e32 v14, vcc_lo, v19, v21, vcc_lo
	v_add_co_ci_u32_e32 v15, vcc_lo, 0, v22, vcc_lo
	v_ashrrev_i32_e32 v21, 31, v9
	s_delay_alu instid0(VALU_DEP_3) | instskip(NEXT) | instid1(VALU_DEP_3)
	v_add_co_u32 v13, vcc_lo, v14, v13
	v_add_co_ci_u32_e32 v14, vcc_lo, 0, v15, vcc_lo
	s_delay_alu instid0(VALU_DEP_2) | instskip(NEXT) | instid1(VALU_DEP_2)
	v_add_co_u32 v3, vcc_lo, v3, v13
	v_add_co_ci_u32_e32 v12, vcc_lo, v12, v14, vcc_lo
	s_delay_alu instid0(VALU_DEP_2) | instskip(SKIP_1) | instid1(VALU_DEP_3)
	v_mul_hi_u32 v13, s0, v3
	v_mul_lo_u32 v15, s41, v3
	v_mul_lo_u32 v14, s0, v12
	s_delay_alu instid0(VALU_DEP_1) | instskip(SKIP_1) | instid1(VALU_DEP_2)
	v_add_nc_u32_e32 v13, v13, v14
	v_mul_lo_u32 v14, s0, v3
	v_add_nc_u32_e32 v13, v13, v15
	s_delay_alu instid0(VALU_DEP_2) | instskip(NEXT) | instid1(VALU_DEP_2)
	v_mul_hi_u32 v15, v3, v14
	v_mul_lo_u32 v19, v3, v13
	v_mul_hi_u32 v20, v3, v13
	v_mul_hi_u32 v22, v12, v14
	v_mul_lo_u32 v14, v12, v14
	v_mul_hi_u32 v23, v12, v13
	v_mul_lo_u32 v13, v12, v13
	v_add_co_u32 v15, vcc_lo, v15, v19
	v_add_co_ci_u32_e32 v19, vcc_lo, 0, v20, vcc_lo
	s_delay_alu instid0(VALU_DEP_2) | instskip(NEXT) | instid1(VALU_DEP_2)
	v_add_co_u32 v14, vcc_lo, v15, v14
	v_add_co_ci_u32_e32 v14, vcc_lo, v19, v22, vcc_lo
	v_add_co_ci_u32_e32 v15, vcc_lo, 0, v23, vcc_lo
	v_add_co_u32 v19, vcc_lo, v8, v21
	v_add_co_ci_u32_e32 v20, vcc_lo, v9, v21, vcc_lo
	s_delay_alu instid0(VALU_DEP_4) | instskip(NEXT) | instid1(VALU_DEP_4)
	v_add_co_u32 v13, vcc_lo, v14, v13
	v_add_co_ci_u32_e32 v14, vcc_lo, 0, v15, vcc_lo
	s_delay_alu instid0(VALU_DEP_4) | instskip(NEXT) | instid1(VALU_DEP_3)
	v_xor_b32_e32 v22, v19, v21
	v_add_co_u32 v3, vcc_lo, v3, v13
	s_delay_alu instid0(VALU_DEP_3) | instskip(SKIP_1) | instid1(VALU_DEP_3)
	v_add_co_ci_u32_e32 v23, vcc_lo, v12, v14, vcc_lo
	v_xor_b32_e32 v24, v20, v21
	v_mul_hi_u32 v25, v22, v3
	s_delay_alu instid0(VALU_DEP_3) | instskip(NEXT) | instid1(VALU_DEP_3)
	v_mad_u64_u32 v[12:13], null, v22, v23, 0
	v_mad_u64_u32 v[14:15], null, v24, v3, 0
	;; [unrolled: 1-line block ×3, first 2 shown]
	s_delay_alu instid0(VALU_DEP_3) | instskip(NEXT) | instid1(VALU_DEP_4)
	v_add_co_u32 v3, vcc_lo, v25, v12
	v_add_co_ci_u32_e32 v12, vcc_lo, 0, v13, vcc_lo
	s_delay_alu instid0(VALU_DEP_2) | instskip(NEXT) | instid1(VALU_DEP_2)
	v_add_co_u32 v3, vcc_lo, v3, v14
	v_add_co_ci_u32_e32 v3, vcc_lo, v12, v15, vcc_lo
	v_add_co_ci_u32_e32 v12, vcc_lo, 0, v20, vcc_lo
	s_delay_alu instid0(VALU_DEP_2) | instskip(NEXT) | instid1(VALU_DEP_2)
	v_add_co_u32 v3, vcc_lo, v3, v19
	v_add_co_ci_u32_e32 v14, vcc_lo, 0, v12, vcc_lo
	s_delay_alu instid0(VALU_DEP_2) | instskip(SKIP_1) | instid1(VALU_DEP_3)
	v_mul_lo_u32 v15, s43, v3
	v_mad_u64_u32 v[12:13], null, s42, v3, 0
	v_mul_lo_u32 v19, s42, v14
	s_delay_alu instid0(VALU_DEP_2) | instskip(NEXT) | instid1(VALU_DEP_2)
	v_sub_co_u32 v12, vcc_lo, v22, v12
	v_add3_u32 v13, v13, v19, v15
	s_delay_alu instid0(VALU_DEP_1) | instskip(NEXT) | instid1(VALU_DEP_1)
	v_sub_nc_u32_e32 v15, v24, v13
	v_subrev_co_ci_u32_e64 v15, s0, s43, v15, vcc_lo
	v_add_co_u32 v19, s0, v3, 2
	s_delay_alu instid0(VALU_DEP_1) | instskip(SKIP_3) | instid1(VALU_DEP_3)
	v_add_co_ci_u32_e64 v20, s0, 0, v14, s0
	v_sub_co_u32 v22, s0, v12, s42
	v_sub_co_ci_u32_e32 v13, vcc_lo, v24, v13, vcc_lo
	v_subrev_co_ci_u32_e64 v15, s0, 0, v15, s0
	v_cmp_le_u32_e32 vcc_lo, s42, v22
	s_delay_alu instid0(VALU_DEP_3) | instskip(SKIP_1) | instid1(VALU_DEP_4)
	v_cmp_eq_u32_e64 s0, s43, v13
	v_cndmask_b32_e64 v22, 0, -1, vcc_lo
	v_cmp_le_u32_e32 vcc_lo, s43, v15
	v_cndmask_b32_e64 v23, 0, -1, vcc_lo
	v_cmp_le_u32_e32 vcc_lo, s42, v12
	;; [unrolled: 2-line block ×3, first 2 shown]
	v_cndmask_b32_e64 v24, 0, -1, vcc_lo
	v_cmp_eq_u32_e32 vcc_lo, s43, v15
	s_delay_alu instid0(VALU_DEP_2) | instskip(SKIP_3) | instid1(VALU_DEP_3)
	v_cndmask_b32_e64 v12, v24, v12, s0
	v_cndmask_b32_e32 v15, v23, v22, vcc_lo
	v_add_co_u32 v22, vcc_lo, v3, 1
	v_add_co_ci_u32_e32 v23, vcc_lo, 0, v14, vcc_lo
	v_cmp_ne_u32_e32 vcc_lo, 0, v15
	s_delay_alu instid0(VALU_DEP_2) | instskip(NEXT) | instid1(VALU_DEP_4)
	v_cndmask_b32_e32 v13, v23, v20, vcc_lo
	v_cndmask_b32_e32 v15, v22, v19, vcc_lo
	v_cmp_ne_u32_e32 vcc_lo, 0, v12
	v_xor_b32_e32 v19, s40, v21
	s_delay_alu instid0(VALU_DEP_3) | instskip(NEXT) | instid1(VALU_DEP_1)
	v_dual_cndmask_b32 v3, v3, v15 :: v_dual_cndmask_b32 v12, v14, v13
	v_xor_b32_e32 v3, v3, v19
	s_delay_alu instid0(VALU_DEP_2) | instskip(NEXT) | instid1(VALU_DEP_2)
	v_xor_b32_e32 v13, v12, v19
	v_sub_co_u32 v12, vcc_lo, v3, v19
	s_delay_alu instid0(VALU_DEP_2)
	v_sub_co_ci_u32_e32 v13, vcc_lo, v13, v19, vcc_lo
.LBB50_27:                              ;   in Loop: Header=BB50_25 Depth=2
	s_and_not1_saveexec_b32 s0, s27
	s_cbranch_execz .LBB50_24
; %bb.28:                               ;   in Loop: Header=BB50_25 Depth=2
	v_cvt_f32_u32_e32 v3, s38
	s_sub_i32 s27, 0, s38
	s_delay_alu instid0(VALU_DEP_1) | instskip(SKIP_2) | instid1(VALU_DEP_1)
	v_rcp_iflag_f32_e32 v3, v3
	s_waitcnt_depctr 0xfff
	v_mul_f32_e32 v3, 0x4f7ffffe, v3
	v_cvt_u32_f32_e32 v3, v3
	s_delay_alu instid0(VALU_DEP_1) | instskip(NEXT) | instid1(VALU_DEP_1)
	v_mul_lo_u32 v12, s27, v3
	v_mul_hi_u32 v12, v3, v12
	s_delay_alu instid0(VALU_DEP_1) | instskip(NEXT) | instid1(VALU_DEP_1)
	v_add_nc_u32_e32 v3, v3, v12
	v_mul_hi_u32 v3, v8, v3
	s_delay_alu instid0(VALU_DEP_1) | instskip(SKIP_1) | instid1(VALU_DEP_2)
	v_mul_lo_u32 v12, v3, s38
	v_add_nc_u32_e32 v13, 1, v3
	v_sub_nc_u32_e32 v12, v8, v12
	s_delay_alu instid0(VALU_DEP_1) | instskip(SKIP_1) | instid1(VALU_DEP_2)
	v_subrev_nc_u32_e32 v14, s38, v12
	v_cmp_le_u32_e32 vcc_lo, s38, v12
	v_dual_cndmask_b32 v12, v12, v14 :: v_dual_cndmask_b32 v3, v3, v13
	s_delay_alu instid0(VALU_DEP_1) | instskip(NEXT) | instid1(VALU_DEP_2)
	v_cmp_le_u32_e32 vcc_lo, s38, v12
	v_add_nc_u32_e32 v13, 1, v3
	s_delay_alu instid0(VALU_DEP_1)
	v_dual_cndmask_b32 v12, v3, v13 :: v_dual_mov_b32 v13, v2
	s_branch .LBB50_24
.LBB50_29:
	s_nop 0
	s_sendmsg sendmsg(MSG_DEALLOC_VGPRS)
	s_endpgm
	.section	.rodata,"a",@progbits
	.p2align	6, 0x0
	.amdhsa_kernel _ZN2at6native16triu_tril_kernelIblLb0ELi4ELb1EEEvNS_4cuda6detail10TensorInfoIT_T0_EENS4_IKS5_S6_EEllS6_
		.amdhsa_group_segment_fixed_size 0
		.amdhsa_private_segment_fixed_size 0
		.amdhsa_kernarg_size 1112
		.amdhsa_user_sgpr_count 15
		.amdhsa_user_sgpr_dispatch_ptr 0
		.amdhsa_user_sgpr_queue_ptr 0
		.amdhsa_user_sgpr_kernarg_segment_ptr 1
		.amdhsa_user_sgpr_dispatch_id 0
		.amdhsa_user_sgpr_private_segment_size 0
		.amdhsa_wavefront_size32 1
		.amdhsa_uses_dynamic_stack 0
		.amdhsa_enable_private_segment 0
		.amdhsa_system_sgpr_workgroup_id_x 1
		.amdhsa_system_sgpr_workgroup_id_y 0
		.amdhsa_system_sgpr_workgroup_id_z 0
		.amdhsa_system_sgpr_workgroup_info 0
		.amdhsa_system_vgpr_workitem_id 0
		.amdhsa_next_free_vgpr 26
		.amdhsa_next_free_sgpr 45
		.amdhsa_reserve_vcc 1
		.amdhsa_float_round_mode_32 0
		.amdhsa_float_round_mode_16_64 0
		.amdhsa_float_denorm_mode_32 3
		.amdhsa_float_denorm_mode_16_64 3
		.amdhsa_dx10_clamp 1
		.amdhsa_ieee_mode 1
		.amdhsa_fp16_overflow 0
		.amdhsa_workgroup_processor_mode 1
		.amdhsa_memory_ordered 1
		.amdhsa_forward_progress 0
		.amdhsa_shared_vgpr_count 0
		.amdhsa_exception_fp_ieee_invalid_op 0
		.amdhsa_exception_fp_denorm_src 0
		.amdhsa_exception_fp_ieee_div_zero 0
		.amdhsa_exception_fp_ieee_overflow 0
		.amdhsa_exception_fp_ieee_underflow 0
		.amdhsa_exception_fp_ieee_inexact 0
		.amdhsa_exception_int_div_zero 0
	.end_amdhsa_kernel
	.section	.text._ZN2at6native16triu_tril_kernelIblLb0ELi4ELb1EEEvNS_4cuda6detail10TensorInfoIT_T0_EENS4_IKS5_S6_EEllS6_,"axG",@progbits,_ZN2at6native16triu_tril_kernelIblLb0ELi4ELb1EEEvNS_4cuda6detail10TensorInfoIT_T0_EENS4_IKS5_S6_EEllS6_,comdat
.Lfunc_end50:
	.size	_ZN2at6native16triu_tril_kernelIblLb0ELi4ELb1EEEvNS_4cuda6detail10TensorInfoIT_T0_EENS4_IKS5_S6_EEllS6_, .Lfunc_end50-_ZN2at6native16triu_tril_kernelIblLb0ELi4ELb1EEEvNS_4cuda6detail10TensorInfoIT_T0_EENS4_IKS5_S6_EEllS6_
                                        ; -- End function
	.section	.AMDGPU.csdata,"",@progbits
; Kernel info:
; codeLenInByte = 4084
; NumSgprs: 47
; NumVgprs: 26
; ScratchSize: 0
; MemoryBound: 0
; FloatMode: 240
; IeeeMode: 1
; LDSByteSize: 0 bytes/workgroup (compile time only)
; SGPRBlocks: 5
; VGPRBlocks: 3
; NumSGPRsForWavesPerEU: 47
; NumVGPRsForWavesPerEU: 26
; Occupancy: 16
; WaveLimiterHint : 0
; COMPUTE_PGM_RSRC2:SCRATCH_EN: 0
; COMPUTE_PGM_RSRC2:USER_SGPR: 15
; COMPUTE_PGM_RSRC2:TRAP_HANDLER: 0
; COMPUTE_PGM_RSRC2:TGID_X_EN: 1
; COMPUTE_PGM_RSRC2:TGID_Y_EN: 0
; COMPUTE_PGM_RSRC2:TGID_Z_EN: 0
; COMPUTE_PGM_RSRC2:TIDIG_COMP_CNT: 0
	.section	.text._ZN2at6native16triu_tril_kernelIblLb0ELi4ELb0EEEvNS_4cuda6detail10TensorInfoIT_T0_EENS4_IKS5_S6_EEllS6_,"axG",@progbits,_ZN2at6native16triu_tril_kernelIblLb0ELi4ELb0EEEvNS_4cuda6detail10TensorInfoIT_T0_EENS4_IKS5_S6_EEllS6_,comdat
	.protected	_ZN2at6native16triu_tril_kernelIblLb0ELi4ELb0EEEvNS_4cuda6detail10TensorInfoIT_T0_EENS4_IKS5_S6_EEllS6_ ; -- Begin function _ZN2at6native16triu_tril_kernelIblLb0ELi4ELb0EEEvNS_4cuda6detail10TensorInfoIT_T0_EENS4_IKS5_S6_EEllS6_
	.globl	_ZN2at6native16triu_tril_kernelIblLb0ELi4ELb0EEEvNS_4cuda6detail10TensorInfoIT_T0_EENS4_IKS5_S6_EEllS6_
	.p2align	8
	.type	_ZN2at6native16triu_tril_kernelIblLb0ELi4ELb0EEEvNS_4cuda6detail10TensorInfoIT_T0_EENS4_IKS5_S6_EEllS6_,@function
_ZN2at6native16triu_tril_kernelIblLb0ELi4ELb0EEEvNS_4cuda6detail10TensorInfoIT_T0_EENS4_IKS5_S6_EEllS6_: ; @_ZN2at6native16triu_tril_kernelIblLb0ELi4ELb0EEEvNS_4cuda6detail10TensorInfoIT_T0_EENS4_IKS5_S6_EEllS6_
; %bb.0:
	s_clause 0x1
	s_load_b32 s4, s[0:1], 0x364
	s_load_b128 s[8:11], s[0:1], 0x340
	v_mov_b32_e32 v2, 0
	s_add_u32 s2, s0, 0x358
	s_addc_u32 s3, s1, 0
	s_mov_b32 s5, exec_lo
	s_delay_alu instid0(VALU_DEP_1)
	v_mov_b32_e32 v1, v2
	s_waitcnt lgkmcnt(0)
	s_and_b32 s4, s4, 0xffff
	s_delay_alu instid0(VALU_DEP_1) | instid1(SALU_CYCLE_1)
	v_mad_u64_u32 v[3:4], null, s4, s15, v[0:1]
	s_delay_alu instid0(VALU_DEP_1) | instskip(NEXT) | instid1(VALU_DEP_1)
	v_lshlrev_b64 v[0:1], 2, v[3:4]
	v_cmpx_gt_i64_e64 s[10:11], v[0:1]
	s_cbranch_execz .LBB51_32
; %bb.1:
	s_clause 0x1
	s_load_b32 s28, s[0:1], 0x338
	s_load_b64 s[6:7], s[0:1], 0x350
	s_add_u32 s5, s0, 0x1a0
	s_addc_u32 s12, s1, 0
	s_load_b32 s30, s[2:3], 0x0
	s_clause 0x1
	s_load_b64 s[24:25], s[0:1], 0x1a0
	s_load_b64 s[26:27], s[0:1], 0x0
	s_mov_b32 s47, 0
	s_waitcnt lgkmcnt(0)
	s_ashr_i32 s29, s28, 31
	s_add_u32 s31, s0, 0x1a8
	s_addc_u32 s34, s1, 0
	s_lshl_b64 s[2:3], s[28:29], 3
	v_cvt_f32_u32_e32 v3, s6
	s_add_u32 s13, s2, -16
	s_addc_u32 s14, s3, -1
	s_add_u32 s2, s31, s13
	s_addc_u32 s3, s34, s14
	s_add_u32 s16, s5, s13
	s_addc_u32 s17, s12, s14
	;; [unrolled: 2-line block ×4, first 2 shown]
	s_clause 0x2
	s_load_b128 s[12:15], s[2:3], 0x0
	s_load_b128 s[16:19], s[16:17], 0xd0
	;; [unrolled: 1-line block ×3, first 2 shown]
	v_rcp_iflag_f32_e32 v3, v3
	s_add_i32 s0, s28, -3
	s_mul_i32 s30, s30, s4
	s_ashr_i32 s1, s0, 31
	s_lshl_b32 s46, s30, 2
	s_lshl_b64 s[2:3], s[0:1], 3
	v_cmp_gt_i64_e64 s33, s[28:29], 2
	s_add_u32 s28, s5, s2
	s_addc_u32 s29, s35, s3
	s_add_u32 s30, s31, s2
	s_waitcnt_depctr 0xfff
	v_mul_f32_e32 v3, 0x4f7ffffe, v3
	s_addc_u32 s31, s34, s3
	s_add_u32 s34, s0, 1
	s_addc_u32 s35, s1, 0
	s_ashr_i32 s36, s7, 31
	v_cvt_u32_f32_e32 v18, v3
	s_branch .LBB51_3
.LBB51_2:                               ;   in Loop: Header=BB51_3 Depth=1
	s_or_b32 exec_lo, exec_lo, s0
	v_add_co_u32 v0, vcc_lo, v0, s46
	v_add_co_ci_u32_e32 v1, vcc_lo, 0, v1, vcc_lo
	s_delay_alu instid0(VALU_DEP_1) | instskip(SKIP_1) | instid1(SALU_CYCLE_1)
	v_cmp_le_i64_e32 vcc_lo, s[10:11], v[0:1]
	s_or_b32 s47, vcc_lo, s47
	s_and_not1_b32 exec_lo, exec_lo, s47
	s_cbranch_execz .LBB51_32
.LBB51_3:                               ; =>This Loop Header: Depth=1
                                        ;     Child Loop BB51_28 Depth 2
	v_or_b32_e32 v3, s7, v1
                                        ; implicit-def: $vgpr8_vgpr9
	s_mov_b32 s0, exec_lo
	s_delay_alu instid0(VALU_DEP_1)
	v_cmpx_ne_u64_e32 0, v[2:3]
	s_xor_b32 s1, exec_lo, s0
	s_cbranch_execz .LBB51_5
; %bb.4:                                ;   in Loop: Header=BB51_3 Depth=1
	s_add_u32 s2, s6, s36
	s_mov_b32 s37, s36
	s_addc_u32 s3, s7, s36
	s_delay_alu instid0(SALU_CYCLE_1) | instskip(NEXT) | instid1(SALU_CYCLE_1)
	s_xor_b64 s[2:3], s[2:3], s[36:37]
	v_cvt_f32_u32_e32 v3, s2
	v_cvt_f32_u32_e32 v4, s3
	s_sub_u32 s0, 0, s2
	s_subb_u32 s4, 0, s3
	s_delay_alu instid0(VALU_DEP_1) | instskip(NEXT) | instid1(VALU_DEP_1)
	v_fmac_f32_e32 v3, 0x4f800000, v4
	v_rcp_f32_e32 v3, v3
	s_waitcnt_depctr 0xfff
	v_mul_f32_e32 v3, 0x5f7ffffc, v3
	s_delay_alu instid0(VALU_DEP_1) | instskip(NEXT) | instid1(VALU_DEP_1)
	v_mul_f32_e32 v4, 0x2f800000, v3
	v_trunc_f32_e32 v4, v4
	s_delay_alu instid0(VALU_DEP_1) | instskip(SKIP_1) | instid1(VALU_DEP_2)
	v_fmac_f32_e32 v3, 0xcf800000, v4
	v_cvt_u32_f32_e32 v4, v4
	v_cvt_u32_f32_e32 v3, v3
	s_delay_alu instid0(VALU_DEP_2) | instskip(NEXT) | instid1(VALU_DEP_2)
	v_mul_lo_u32 v5, s0, v4
	v_mul_hi_u32 v6, s0, v3
	v_mul_lo_u32 v7, s4, v3
	s_delay_alu instid0(VALU_DEP_2) | instskip(SKIP_1) | instid1(VALU_DEP_2)
	v_add_nc_u32_e32 v5, v6, v5
	v_mul_lo_u32 v6, s0, v3
	v_add_nc_u32_e32 v5, v5, v7
	s_delay_alu instid0(VALU_DEP_2) | instskip(NEXT) | instid1(VALU_DEP_2)
	v_mul_hi_u32 v7, v3, v6
	v_mul_lo_u32 v8, v3, v5
	v_mul_hi_u32 v9, v3, v5
	v_mul_hi_u32 v10, v4, v6
	v_mul_lo_u32 v6, v4, v6
	v_mul_hi_u32 v11, v4, v5
	v_mul_lo_u32 v5, v4, v5
	v_add_co_u32 v7, vcc_lo, v7, v8
	v_add_co_ci_u32_e32 v8, vcc_lo, 0, v9, vcc_lo
	s_delay_alu instid0(VALU_DEP_2) | instskip(NEXT) | instid1(VALU_DEP_2)
	v_add_co_u32 v6, vcc_lo, v7, v6
	v_add_co_ci_u32_e32 v6, vcc_lo, v8, v10, vcc_lo
	v_add_co_ci_u32_e32 v7, vcc_lo, 0, v11, vcc_lo
	v_ashrrev_i32_e32 v10, 31, v1
	s_delay_alu instid0(VALU_DEP_3) | instskip(NEXT) | instid1(VALU_DEP_3)
	v_add_co_u32 v5, vcc_lo, v6, v5
	v_add_co_ci_u32_e32 v6, vcc_lo, 0, v7, vcc_lo
	s_delay_alu instid0(VALU_DEP_2) | instskip(NEXT) | instid1(VALU_DEP_2)
	v_add_co_u32 v3, vcc_lo, v3, v5
	v_add_co_ci_u32_e32 v4, vcc_lo, v4, v6, vcc_lo
	s_delay_alu instid0(VALU_DEP_2) | instskip(SKIP_1) | instid1(VALU_DEP_3)
	v_mul_hi_u32 v5, s0, v3
	v_mul_lo_u32 v7, s4, v3
	v_mul_lo_u32 v6, s0, v4
	s_delay_alu instid0(VALU_DEP_1) | instskip(SKIP_1) | instid1(VALU_DEP_2)
	v_add_nc_u32_e32 v5, v5, v6
	v_mul_lo_u32 v6, s0, v3
	v_add_nc_u32_e32 v5, v5, v7
	s_delay_alu instid0(VALU_DEP_2) | instskip(NEXT) | instid1(VALU_DEP_2)
	v_mul_hi_u32 v7, v3, v6
	v_mul_lo_u32 v8, v3, v5
	v_mul_hi_u32 v9, v3, v5
	v_mul_hi_u32 v11, v4, v6
	v_mul_lo_u32 v6, v4, v6
	v_mul_hi_u32 v12, v4, v5
	v_mul_lo_u32 v5, v4, v5
	v_add_co_u32 v7, vcc_lo, v7, v8
	v_add_co_ci_u32_e32 v8, vcc_lo, 0, v9, vcc_lo
	s_delay_alu instid0(VALU_DEP_2) | instskip(NEXT) | instid1(VALU_DEP_2)
	v_add_co_u32 v6, vcc_lo, v7, v6
	v_add_co_ci_u32_e32 v6, vcc_lo, v8, v11, vcc_lo
	v_add_co_ci_u32_e32 v7, vcc_lo, 0, v12, vcc_lo
	v_add_co_u32 v8, vcc_lo, v0, v10
	v_add_co_ci_u32_e32 v9, vcc_lo, v1, v10, vcc_lo
	s_delay_alu instid0(VALU_DEP_4) | instskip(NEXT) | instid1(VALU_DEP_4)
	v_add_co_u32 v5, vcc_lo, v6, v5
	v_add_co_ci_u32_e32 v6, vcc_lo, 0, v7, vcc_lo
	s_delay_alu instid0(VALU_DEP_4) | instskip(NEXT) | instid1(VALU_DEP_3)
	v_xor_b32_e32 v11, v8, v10
	v_add_co_u32 v7, vcc_lo, v3, v5
	s_delay_alu instid0(VALU_DEP_3) | instskip(SKIP_1) | instid1(VALU_DEP_3)
	v_add_co_ci_u32_e32 v12, vcc_lo, v4, v6, vcc_lo
	v_xor_b32_e32 v9, v9, v10
	v_mul_hi_u32 v13, v11, v7
	s_delay_alu instid0(VALU_DEP_3) | instskip(NEXT) | instid1(VALU_DEP_3)
	v_mad_u64_u32 v[3:4], null, v11, v12, 0
	v_mad_u64_u32 v[5:6], null, v9, v7, 0
	;; [unrolled: 1-line block ×3, first 2 shown]
	s_delay_alu instid0(VALU_DEP_3) | instskip(NEXT) | instid1(VALU_DEP_4)
	v_add_co_u32 v3, vcc_lo, v13, v3
	v_add_co_ci_u32_e32 v4, vcc_lo, 0, v4, vcc_lo
	s_delay_alu instid0(VALU_DEP_2) | instskip(NEXT) | instid1(VALU_DEP_2)
	v_add_co_u32 v3, vcc_lo, v3, v5
	v_add_co_ci_u32_e32 v3, vcc_lo, v4, v6, vcc_lo
	v_add_co_ci_u32_e32 v4, vcc_lo, 0, v8, vcc_lo
	s_delay_alu instid0(VALU_DEP_2) | instskip(NEXT) | instid1(VALU_DEP_2)
	v_add_co_u32 v5, vcc_lo, v3, v7
	v_add_co_ci_u32_e32 v6, vcc_lo, 0, v4, vcc_lo
	s_delay_alu instid0(VALU_DEP_2) | instskip(SKIP_1) | instid1(VALU_DEP_3)
	v_mul_lo_u32 v7, s3, v5
	v_mad_u64_u32 v[3:4], null, s2, v5, 0
	v_mul_lo_u32 v8, s2, v6
	s_delay_alu instid0(VALU_DEP_2) | instskip(NEXT) | instid1(VALU_DEP_2)
	v_sub_co_u32 v3, vcc_lo, v11, v3
	v_add3_u32 v4, v4, v8, v7
	s_delay_alu instid0(VALU_DEP_1) | instskip(NEXT) | instid1(VALU_DEP_1)
	v_sub_nc_u32_e32 v7, v9, v4
	v_subrev_co_ci_u32_e64 v7, s0, s3, v7, vcc_lo
	v_add_co_u32 v8, s0, v5, 2
	s_delay_alu instid0(VALU_DEP_1) | instskip(SKIP_3) | instid1(VALU_DEP_3)
	v_add_co_ci_u32_e64 v11, s0, 0, v6, s0
	v_sub_co_u32 v12, s0, v3, s2
	v_sub_co_ci_u32_e32 v4, vcc_lo, v9, v4, vcc_lo
	v_subrev_co_ci_u32_e64 v7, s0, 0, v7, s0
	v_cmp_le_u32_e32 vcc_lo, s2, v12
	s_delay_alu instid0(VALU_DEP_3) | instskip(SKIP_1) | instid1(VALU_DEP_4)
	v_cmp_eq_u32_e64 s0, s3, v4
	v_cndmask_b32_e64 v9, 0, -1, vcc_lo
	v_cmp_le_u32_e32 vcc_lo, s3, v7
	v_cndmask_b32_e64 v12, 0, -1, vcc_lo
	v_cmp_le_u32_e32 vcc_lo, s2, v3
	;; [unrolled: 2-line block ×3, first 2 shown]
	v_cndmask_b32_e64 v13, 0, -1, vcc_lo
	v_cmp_eq_u32_e32 vcc_lo, s3, v7
	s_delay_alu instid0(VALU_DEP_2) | instskip(SKIP_3) | instid1(VALU_DEP_3)
	v_cndmask_b32_e64 v3, v13, v3, s0
	v_cndmask_b32_e32 v7, v12, v9, vcc_lo
	v_add_co_u32 v9, vcc_lo, v5, 1
	v_add_co_ci_u32_e32 v12, vcc_lo, 0, v6, vcc_lo
	v_cmp_ne_u32_e32 vcc_lo, 0, v7
	s_delay_alu instid0(VALU_DEP_2) | instskip(SKIP_2) | instid1(VALU_DEP_3)
	v_dual_cndmask_b32 v4, v12, v11 :: v_dual_cndmask_b32 v7, v9, v8
	v_cmp_ne_u32_e32 vcc_lo, 0, v3
	v_xor_b32_e32 v3, s36, v10
	v_dual_cndmask_b32 v5, v5, v7 :: v_dual_cndmask_b32 v4, v6, v4
	s_delay_alu instid0(VALU_DEP_1) | instskip(NEXT) | instid1(VALU_DEP_2)
	v_xor_b32_e32 v5, v5, v3
	v_xor_b32_e32 v4, v4, v3
	s_delay_alu instid0(VALU_DEP_2) | instskip(NEXT) | instid1(VALU_DEP_2)
	v_sub_co_u32 v8, vcc_lo, v5, v3
	v_sub_co_ci_u32_e32 v9, vcc_lo, v4, v3, vcc_lo
.LBB51_5:                               ;   in Loop: Header=BB51_3 Depth=1
	s_and_not1_saveexec_b32 s0, s1
	s_cbranch_execz .LBB51_7
; %bb.6:                                ;   in Loop: Header=BB51_3 Depth=1
	s_sub_i32 s1, 0, s6
	v_mov_b32_e32 v9, v2
	v_mul_lo_u32 v3, s1, v18
	s_delay_alu instid0(VALU_DEP_1) | instskip(NEXT) | instid1(VALU_DEP_1)
	v_mul_hi_u32 v3, v18, v3
	v_add_nc_u32_e32 v3, v18, v3
	s_delay_alu instid0(VALU_DEP_1) | instskip(NEXT) | instid1(VALU_DEP_1)
	v_mul_hi_u32 v3, v0, v3
	v_mul_lo_u32 v4, v3, s6
	v_add_nc_u32_e32 v5, 1, v3
	s_delay_alu instid0(VALU_DEP_2) | instskip(NEXT) | instid1(VALU_DEP_1)
	v_sub_nc_u32_e32 v4, v0, v4
	v_subrev_nc_u32_e32 v6, s6, v4
	v_cmp_le_u32_e32 vcc_lo, s6, v4
	s_delay_alu instid0(VALU_DEP_2) | instskip(NEXT) | instid1(VALU_DEP_1)
	v_dual_cndmask_b32 v4, v4, v6 :: v_dual_cndmask_b32 v3, v3, v5
	v_cmp_le_u32_e32 vcc_lo, s6, v4
	s_delay_alu instid0(VALU_DEP_2) | instskip(NEXT) | instid1(VALU_DEP_1)
	v_add_nc_u32_e32 v5, 1, v3
	v_cndmask_b32_e32 v8, v3, v5, vcc_lo
.LBB51_7:                               ;   in Loop: Header=BB51_3 Depth=1
	s_or_b32 exec_lo, exec_lo, s0
	s_waitcnt lgkmcnt(0)
	v_or_b32_e32 v3, s13, v9
                                        ; implicit-def: $vgpr6_vgpr7
	s_mov_b32 s0, exec_lo
	s_delay_alu instid0(VALU_DEP_1)
	v_cmpx_ne_u64_e32 0, v[2:3]
	s_xor_b32 s1, exec_lo, s0
	s_cbranch_execz .LBB51_9
; %bb.8:                                ;   in Loop: Header=BB51_3 Depth=1
	s_ashr_i32 s2, s13, 31
	s_delay_alu instid0(SALU_CYCLE_1) | instskip(SKIP_2) | instid1(SALU_CYCLE_1)
	s_add_u32 s4, s12, s2
	s_mov_b32 s3, s2
	s_addc_u32 s5, s13, s2
	s_xor_b64 s[4:5], s[4:5], s[2:3]
	s_delay_alu instid0(SALU_CYCLE_1) | instskip(SKIP_3) | instid1(VALU_DEP_1)
	v_cvt_f32_u32_e32 v3, s4
	v_cvt_f32_u32_e32 v4, s5
	s_sub_u32 s0, 0, s4
	s_subb_u32 s3, 0, s5
	v_fmac_f32_e32 v3, 0x4f800000, v4
	s_delay_alu instid0(VALU_DEP_1) | instskip(SKIP_2) | instid1(VALU_DEP_1)
	v_rcp_f32_e32 v3, v3
	s_waitcnt_depctr 0xfff
	v_mul_f32_e32 v3, 0x5f7ffffc, v3
	v_mul_f32_e32 v4, 0x2f800000, v3
	s_delay_alu instid0(VALU_DEP_1) | instskip(NEXT) | instid1(VALU_DEP_1)
	v_trunc_f32_e32 v4, v4
	v_fmac_f32_e32 v3, 0xcf800000, v4
	v_cvt_u32_f32_e32 v4, v4
	s_delay_alu instid0(VALU_DEP_2) | instskip(NEXT) | instid1(VALU_DEP_2)
	v_cvt_u32_f32_e32 v3, v3
	v_mul_lo_u32 v5, s0, v4
	s_delay_alu instid0(VALU_DEP_2) | instskip(SKIP_1) | instid1(VALU_DEP_2)
	v_mul_hi_u32 v6, s0, v3
	v_mul_lo_u32 v7, s3, v3
	v_add_nc_u32_e32 v5, v6, v5
	v_mul_lo_u32 v6, s0, v3
	s_delay_alu instid0(VALU_DEP_2) | instskip(NEXT) | instid1(VALU_DEP_2)
	v_add_nc_u32_e32 v5, v5, v7
	v_mul_hi_u32 v7, v3, v6
	s_delay_alu instid0(VALU_DEP_2)
	v_mul_lo_u32 v10, v3, v5
	v_mul_hi_u32 v11, v3, v5
	v_mul_hi_u32 v12, v4, v6
	v_mul_lo_u32 v6, v4, v6
	v_mul_hi_u32 v13, v4, v5
	v_mul_lo_u32 v5, v4, v5
	v_add_co_u32 v7, vcc_lo, v7, v10
	v_add_co_ci_u32_e32 v10, vcc_lo, 0, v11, vcc_lo
	s_delay_alu instid0(VALU_DEP_2) | instskip(NEXT) | instid1(VALU_DEP_2)
	v_add_co_u32 v6, vcc_lo, v7, v6
	v_add_co_ci_u32_e32 v6, vcc_lo, v10, v12, vcc_lo
	v_add_co_ci_u32_e32 v7, vcc_lo, 0, v13, vcc_lo
	v_ashrrev_i32_e32 v12, 31, v9
	s_delay_alu instid0(VALU_DEP_3) | instskip(NEXT) | instid1(VALU_DEP_3)
	v_add_co_u32 v5, vcc_lo, v6, v5
	v_add_co_ci_u32_e32 v6, vcc_lo, 0, v7, vcc_lo
	s_delay_alu instid0(VALU_DEP_2) | instskip(NEXT) | instid1(VALU_DEP_2)
	v_add_co_u32 v3, vcc_lo, v3, v5
	v_add_co_ci_u32_e32 v4, vcc_lo, v4, v6, vcc_lo
	s_delay_alu instid0(VALU_DEP_2) | instskip(SKIP_1) | instid1(VALU_DEP_3)
	v_mul_hi_u32 v5, s0, v3
	v_mul_lo_u32 v7, s3, v3
	v_mul_lo_u32 v6, s0, v4
	s_delay_alu instid0(VALU_DEP_1) | instskip(SKIP_1) | instid1(VALU_DEP_2)
	v_add_nc_u32_e32 v5, v5, v6
	v_mul_lo_u32 v6, s0, v3
	v_add_nc_u32_e32 v5, v5, v7
	s_delay_alu instid0(VALU_DEP_2) | instskip(NEXT) | instid1(VALU_DEP_2)
	v_mul_hi_u32 v7, v3, v6
	v_mul_lo_u32 v10, v3, v5
	v_mul_hi_u32 v11, v3, v5
	v_mul_hi_u32 v13, v4, v6
	v_mul_lo_u32 v6, v4, v6
	v_mul_hi_u32 v14, v4, v5
	v_mul_lo_u32 v5, v4, v5
	v_add_co_u32 v7, vcc_lo, v7, v10
	v_add_co_ci_u32_e32 v10, vcc_lo, 0, v11, vcc_lo
	s_delay_alu instid0(VALU_DEP_2) | instskip(NEXT) | instid1(VALU_DEP_2)
	v_add_co_u32 v6, vcc_lo, v7, v6
	v_add_co_ci_u32_e32 v6, vcc_lo, v10, v13, vcc_lo
	v_add_co_ci_u32_e32 v7, vcc_lo, 0, v14, vcc_lo
	v_add_co_u32 v10, vcc_lo, v8, v12
	v_add_co_ci_u32_e32 v11, vcc_lo, v9, v12, vcc_lo
	s_delay_alu instid0(VALU_DEP_4) | instskip(NEXT) | instid1(VALU_DEP_4)
	v_add_co_u32 v5, vcc_lo, v6, v5
	v_add_co_ci_u32_e32 v6, vcc_lo, 0, v7, vcc_lo
	s_delay_alu instid0(VALU_DEP_4) | instskip(NEXT) | instid1(VALU_DEP_3)
	v_xor_b32_e32 v7, v10, v12
	v_add_co_u32 v10, vcc_lo, v3, v5
	s_delay_alu instid0(VALU_DEP_3) | instskip(SKIP_1) | instid1(VALU_DEP_3)
	v_add_co_ci_u32_e32 v13, vcc_lo, v4, v6, vcc_lo
	v_xor_b32_e32 v14, v11, v12
	v_mul_hi_u32 v15, v7, v10
	s_delay_alu instid0(VALU_DEP_3) | instskip(NEXT) | instid1(VALU_DEP_3)
	v_mad_u64_u32 v[3:4], null, v7, v13, 0
	v_mad_u64_u32 v[5:6], null, v14, v10, 0
	;; [unrolled: 1-line block ×3, first 2 shown]
	s_delay_alu instid0(VALU_DEP_3) | instskip(NEXT) | instid1(VALU_DEP_4)
	v_add_co_u32 v3, vcc_lo, v15, v3
	v_add_co_ci_u32_e32 v4, vcc_lo, 0, v4, vcc_lo
	s_delay_alu instid0(VALU_DEP_2) | instskip(NEXT) | instid1(VALU_DEP_2)
	v_add_co_u32 v3, vcc_lo, v3, v5
	v_add_co_ci_u32_e32 v3, vcc_lo, v4, v6, vcc_lo
	v_add_co_ci_u32_e32 v4, vcc_lo, 0, v11, vcc_lo
	s_delay_alu instid0(VALU_DEP_2) | instskip(NEXT) | instid1(VALU_DEP_2)
	v_add_co_u32 v5, vcc_lo, v3, v10
	v_add_co_ci_u32_e32 v6, vcc_lo, 0, v4, vcc_lo
	s_delay_alu instid0(VALU_DEP_2) | instskip(SKIP_1) | instid1(VALU_DEP_3)
	v_mul_lo_u32 v10, s5, v5
	v_mad_u64_u32 v[3:4], null, s4, v5, 0
	v_mul_lo_u32 v11, s4, v6
	s_delay_alu instid0(VALU_DEP_2) | instskip(NEXT) | instid1(VALU_DEP_2)
	v_sub_co_u32 v3, vcc_lo, v7, v3
	v_add3_u32 v4, v4, v11, v10
	s_delay_alu instid0(VALU_DEP_1) | instskip(NEXT) | instid1(VALU_DEP_1)
	v_sub_nc_u32_e32 v10, v14, v4
	v_subrev_co_ci_u32_e64 v7, s0, s5, v10, vcc_lo
	v_add_co_u32 v10, s0, v5, 2
	s_delay_alu instid0(VALU_DEP_1) | instskip(SKIP_3) | instid1(VALU_DEP_3)
	v_add_co_ci_u32_e64 v11, s0, 0, v6, s0
	v_sub_co_u32 v13, s0, v3, s4
	v_sub_co_ci_u32_e32 v4, vcc_lo, v14, v4, vcc_lo
	v_subrev_co_ci_u32_e64 v7, s0, 0, v7, s0
	v_cmp_le_u32_e32 vcc_lo, s4, v13
	s_delay_alu instid0(VALU_DEP_3) | instskip(SKIP_1) | instid1(VALU_DEP_4)
	v_cmp_eq_u32_e64 s0, s5, v4
	v_cndmask_b32_e64 v13, 0, -1, vcc_lo
	v_cmp_le_u32_e32 vcc_lo, s5, v7
	v_cndmask_b32_e64 v14, 0, -1, vcc_lo
	v_cmp_le_u32_e32 vcc_lo, s4, v3
	;; [unrolled: 2-line block ×3, first 2 shown]
	v_cndmask_b32_e64 v15, 0, -1, vcc_lo
	v_cmp_eq_u32_e32 vcc_lo, s5, v7
	s_delay_alu instid0(VALU_DEP_2) | instskip(SKIP_3) | instid1(VALU_DEP_3)
	v_cndmask_b32_e64 v3, v15, v3, s0
	v_cndmask_b32_e32 v7, v14, v13, vcc_lo
	v_add_co_u32 v13, vcc_lo, v5, 1
	v_add_co_ci_u32_e32 v14, vcc_lo, 0, v6, vcc_lo
	v_cmp_ne_u32_e32 vcc_lo, 0, v7
	s_delay_alu instid0(VALU_DEP_2) | instskip(SKIP_2) | instid1(VALU_DEP_3)
	v_dual_cndmask_b32 v4, v14, v11 :: v_dual_cndmask_b32 v7, v13, v10
	v_cmp_ne_u32_e32 vcc_lo, 0, v3
	v_xor_b32_e32 v3, s2, v12
	v_dual_cndmask_b32 v5, v5, v7 :: v_dual_cndmask_b32 v4, v6, v4
	s_delay_alu instid0(VALU_DEP_1) | instskip(NEXT) | instid1(VALU_DEP_2)
	v_xor_b32_e32 v5, v5, v3
	v_xor_b32_e32 v4, v4, v3
	s_delay_alu instid0(VALU_DEP_2) | instskip(NEXT) | instid1(VALU_DEP_2)
	v_sub_co_u32 v6, vcc_lo, v5, v3
	v_sub_co_ci_u32_e32 v7, vcc_lo, v4, v3, vcc_lo
.LBB51_9:                               ;   in Loop: Header=BB51_3 Depth=1
	s_and_not1_saveexec_b32 s0, s1
	s_cbranch_execz .LBB51_11
; %bb.10:                               ;   in Loop: Header=BB51_3 Depth=1
	v_cvt_f32_u32_e32 v3, s12
	s_sub_i32 s1, 0, s12
	v_mov_b32_e32 v7, v2
	s_delay_alu instid0(VALU_DEP_2) | instskip(SKIP_2) | instid1(VALU_DEP_1)
	v_rcp_iflag_f32_e32 v3, v3
	s_waitcnt_depctr 0xfff
	v_mul_f32_e32 v3, 0x4f7ffffe, v3
	v_cvt_u32_f32_e32 v3, v3
	s_delay_alu instid0(VALU_DEP_1) | instskip(NEXT) | instid1(VALU_DEP_1)
	v_mul_lo_u32 v4, s1, v3
	v_mul_hi_u32 v4, v3, v4
	s_delay_alu instid0(VALU_DEP_1) | instskip(NEXT) | instid1(VALU_DEP_1)
	v_add_nc_u32_e32 v3, v3, v4
	v_mul_hi_u32 v3, v8, v3
	s_delay_alu instid0(VALU_DEP_1) | instskip(SKIP_1) | instid1(VALU_DEP_2)
	v_mul_lo_u32 v4, v3, s12
	v_add_nc_u32_e32 v5, 1, v3
	v_sub_nc_u32_e32 v4, v8, v4
	s_delay_alu instid0(VALU_DEP_1) | instskip(SKIP_1) | instid1(VALU_DEP_2)
	v_subrev_nc_u32_e32 v6, s12, v4
	v_cmp_le_u32_e32 vcc_lo, s12, v4
	v_dual_cndmask_b32 v4, v4, v6 :: v_dual_cndmask_b32 v3, v3, v5
	s_delay_alu instid0(VALU_DEP_1) | instskip(NEXT) | instid1(VALU_DEP_2)
	v_cmp_le_u32_e32 vcc_lo, s12, v4
	v_add_nc_u32_e32 v5, 1, v3
	s_delay_alu instid0(VALU_DEP_1)
	v_cndmask_b32_e32 v6, v3, v5, vcc_lo
.LBB51_11:                              ;   in Loop: Header=BB51_3 Depth=1
	s_or_b32 exec_lo, exec_lo, s0
	v_mul_lo_u32 v5, v9, s6
	v_mul_lo_u32 v12, v8, s7
	v_mad_u64_u32 v[3:4], null, v8, s6, 0
	v_mul_lo_u32 v13, v7, s12
	v_mul_lo_u32 v14, v6, s13
	v_mad_u64_u32 v[10:11], null, v6, s12, 0
	s_mov_b64 s[2:3], s[34:35]
	s_mov_b64 s[4:5], s[30:31]
	s_delay_alu instid0(VALU_DEP_4) | instskip(SKIP_2) | instid1(VALU_DEP_3)
	v_add3_u32 v5, v4, v12, v5
	v_sub_co_u32 v4, vcc_lo, v0, v3
	s_mov_b64 s[38:39], s[28:29]
	v_add3_u32 v3, v11, v14, v13
	s_delay_alu instid0(VALU_DEP_3) | instskip(NEXT) | instid1(VALU_DEP_3)
	v_sub_co_ci_u32_e32 v5, vcc_lo, v1, v5, vcc_lo
	v_mul_lo_u32 v11, s19, v4
	v_mul_lo_u32 v12, s23, v4
	v_mad_u64_u32 v[14:15], null, s22, v4, 0
	s_delay_alu instid0(VALU_DEP_4)
	v_mul_lo_u32 v13, s18, v5
	v_mul_lo_u32 v16, s22, v5
	v_mad_u64_u32 v[21:22], null, s18, v4, 0
	v_sub_co_u32 v19, vcc_lo, v8, v10
	v_sub_co_ci_u32_e32 v20, vcc_lo, v9, v3, vcc_lo
	s_and_b32 vcc_lo, exec_lo, s33
	s_delay_alu instid0(VALU_DEP_4) | instskip(NEXT) | instid1(VALU_DEP_4)
	v_add3_u32 v15, v15, v16, v12
	v_add3_u32 v22, v22, v13, v11
	v_mul_lo_u32 v3, s17, v19
	v_mul_lo_u32 v8, s16, v20
	;; [unrolled: 1-line block ×3, first 2 shown]
	v_mad_u64_u32 v[12:13], null, s20, v19, v[14:15]
	v_mul_lo_u32 v10, s21, v19
	v_mad_u64_u32 v[16:17], null, s16, v19, v[21:22]
	s_delay_alu instid0(VALU_DEP_2) | instskip(NEXT) | instid1(VALU_DEP_2)
	v_add3_u32 v13, v10, v13, v9
	v_add3_u32 v17, v3, v17, v8
	v_mov_b32_e32 v8, v12
	s_delay_alu instid0(VALU_DEP_3) | instskip(NEXT) | instid1(VALU_DEP_3)
	v_dual_mov_b32 v10, v16 :: v_dual_mov_b32 v9, v13
	v_mov_b32_e32 v11, v17
	s_cbranch_vccnz .LBB51_28
.LBB51_12:                              ;   in Loop: Header=BB51_3 Depth=1
	v_sub_co_u32 v6, vcc_lo, v4, v19
	v_sub_co_ci_u32_e32 v7, vcc_lo, v5, v20, vcc_lo
	v_mov_b32_e32 v8, 0
	s_mov_b32 s5, exec_lo
	s_delay_alu instid0(VALU_DEP_2)
	v_cmpx_ge_i64_e64 s[8:9], v[6:7]
	s_cbranch_execz .LBB51_22
; %bb.13:                               ;   in Loop: Header=BB51_3 Depth=1
	v_mov_b32_e32 v3, 0
	s_mov_b32 s0, exec_lo
	v_cmpx_gt_i64_e64 s[14:15], v[4:5]
	s_cbranch_execz .LBB51_21
; %bb.14:                               ;   in Loop: Header=BB51_3 Depth=1
	v_add_co_u32 v8, vcc_lo, s24, v16
	v_add_co_ci_u32_e32 v9, vcc_lo, s25, v17, vcc_lo
	v_add_co_u32 v10, vcc_lo, v4, 1
	v_add_co_ci_u32_e32 v11, vcc_lo, 0, v5, vcc_lo
	global_load_u8 v3, v[8:9], off
	s_mov_b32 s1, exec_lo
	v_cmpx_gt_i64_e64 s[14:15], v[10:11]
	s_xor_b32 s1, exec_lo, s1
	s_cbranch_execz .LBB51_20
; %bb.15:                               ;   in Loop: Header=BB51_3 Depth=1
	v_add_co_u32 v8, vcc_lo, v8, s18
	v_add_co_ci_u32_e32 v9, vcc_lo, s19, v9, vcc_lo
	s_mov_b32 s2, exec_lo
	global_load_u8 v10, v[8:9], off
	s_waitcnt vmcnt(0)
	v_lshlrev_b16 v14, 8, v10
	v_add_co_u32 v10, vcc_lo, v4, 2
	v_add_co_ci_u32_e32 v11, vcc_lo, 0, v5, vcc_lo
	s_delay_alu instid0(VALU_DEP_3) | instskip(NEXT) | instid1(VALU_DEP_1)
	v_or_b32_e32 v3, v3, v14
	v_and_b32_e32 v3, 0xffff, v3
	s_delay_alu instid0(VALU_DEP_3)
	v_cmpx_gt_i64_e64 s[14:15], v[10:11]
	s_xor_b32 s2, exec_lo, s2
	s_cbranch_execz .LBB51_19
; %bb.16:                               ;   in Loop: Header=BB51_3 Depth=1
	v_add_co_u32 v8, vcc_lo, v8, s18
	v_add_co_ci_u32_e32 v9, vcc_lo, s19, v9, vcc_lo
	v_add_co_u32 v10, vcc_lo, v4, 3
	v_add_co_ci_u32_e32 v11, vcc_lo, 0, v5, vcc_lo
	global_load_u8 v14, v[8:9], off
	s_mov_b32 s3, exec_lo
	s_waitcnt vmcnt(0)
	v_lshl_or_b32 v3, v14, 16, v3
	v_cmpx_gt_i64_e64 s[14:15], v[10:11]
	s_xor_b32 s3, exec_lo, s3
	s_cbranch_execz .LBB51_18
; %bb.17:                               ;   in Loop: Header=BB51_3 Depth=1
	v_add_co_u32 v8, vcc_lo, v8, s18
	v_add_co_ci_u32_e32 v9, vcc_lo, s19, v9, vcc_lo
	global_load_u8 v8, v[8:9], off
	v_lshrrev_b32_e32 v9, 16, v3
	s_waitcnt vmcnt(0)
	v_lshlrev_b16 v8, 8, v8
	s_delay_alu instid0(VALU_DEP_1) | instskip(NEXT) | instid1(VALU_DEP_1)
	v_or_b32_e32 v8, v9, v8
	v_lshlrev_b32_e32 v8, 16, v8
	s_delay_alu instid0(VALU_DEP_1)
	v_and_or_b32 v3, 0xffff, v3, v8
.LBB51_18:                              ;   in Loop: Header=BB51_3 Depth=1
	s_or_b32 exec_lo, exec_lo, s3
.LBB51_19:                              ;   in Loop: Header=BB51_3 Depth=1
	s_delay_alu instid0(SALU_CYCLE_1)
	s_or_b32 exec_lo, exec_lo, s2
.LBB51_20:                              ;   in Loop: Header=BB51_3 Depth=1
	s_delay_alu instid0(SALU_CYCLE_1)
	s_or_b32 exec_lo, exec_lo, s1
.LBB51_21:                              ;   in Loop: Header=BB51_3 Depth=1
	s_delay_alu instid0(SALU_CYCLE_1)
	s_or_b32 exec_lo, exec_lo, s0
	v_add_co_u32 v8, vcc_lo, v6, 1
	v_add_co_ci_u32_e32 v9, vcc_lo, 0, v7, vcc_lo
	s_waitcnt vmcnt(0)
	v_lshrrev_b16 v10, 8, v3
	v_and_b32_e32 v11, 0x1000000, v3
	v_and_b32_e32 v14, 0x10000, v3
	v_cmp_ge_i64_e32 vcc_lo, s[8:9], v[8:9]
	v_add_co_u32 v8, s0, v6, 3
	v_and_b32_e32 v10, 1, v10
	v_add_co_ci_u32_e64 v9, s0, 0, v7, s0
	v_add_co_u32 v6, s0, v6, 2
	s_delay_alu instid0(VALU_DEP_1) | instskip(NEXT) | instid1(VALU_DEP_4)
	v_add_co_ci_u32_e64 v7, s0, 0, v7, s0
	v_cmp_eq_u32_e64 s0, 1, v10
	s_delay_alu instid0(VALU_DEP_4) | instskip(SKIP_1) | instid1(VALU_DEP_4)
	v_cmp_ge_i64_e64 s1, s[8:9], v[8:9]
	v_cmp_ne_u32_e64 s2, 0, v11
	v_cmp_ge_i64_e64 s4, s[8:9], v[6:7]
	v_cmp_ne_u32_e64 s3, 0, v14
	s_and_b32 s0, vcc_lo, s0
	v_and_b32_e32 v3, 1, v3
	v_cndmask_b32_e64 v6, 0, 1, s0
	s_and_b32 s0, s1, s2
	s_delay_alu instid0(SALU_CYCLE_1) | instskip(SKIP_1) | instid1(VALU_DEP_2)
	v_cndmask_b32_e64 v7, 0, 1, s0
	s_and_b32 s0, s4, s3
	v_lshlrev_b16 v6, 8, v6
	v_cndmask_b32_e64 v8, 0, 1, s0
	s_delay_alu instid0(VALU_DEP_3) | instskip(NEXT) | instid1(VALU_DEP_3)
	v_lshlrev_b16 v7, 8, v7
	v_or_b32_e32 v3, v3, v6
	s_delay_alu instid0(VALU_DEP_2) | instskip(NEXT) | instid1(VALU_DEP_2)
	v_or_b32_e32 v6, v8, v7
	v_and_b32_e32 v3, 0xffff, v3
	s_delay_alu instid0(VALU_DEP_2) | instskip(NEXT) | instid1(VALU_DEP_1)
	v_lshlrev_b32_e32 v6, 16, v6
	v_or_b32_e32 v8, v3, v6
.LBB51_22:                              ;   in Loop: Header=BB51_3 Depth=1
	s_or_b32 exec_lo, exec_lo, s5
	s_delay_alu instid0(SALU_CYCLE_1)
	s_mov_b32 s0, exec_lo
	v_cmpx_gt_i64_e64 s[14:15], v[4:5]
	s_cbranch_execz .LBB51_2
; %bb.23:                               ;   in Loop: Header=BB51_3 Depth=1
	v_add_co_u32 v9, vcc_lo, v4, 1
	v_add_co_ci_u32_e32 v10, vcc_lo, 0, v5, vcc_lo
	v_add_co_u32 v6, vcc_lo, s26, v12
	v_add_co_ci_u32_e32 v7, vcc_lo, s27, v13, vcc_lo
	s_mov_b32 s1, exec_lo
	global_store_b8 v[6:7], v8, off
	v_cmpx_gt_i64_e64 s[14:15], v[9:10]
	s_xor_b32 s1, exec_lo, s1
	s_cbranch_execz .LBB51_2
; %bb.24:                               ;   in Loop: Header=BB51_3 Depth=1
	v_add_co_u32 v9, vcc_lo, v4, 2
	v_add_co_ci_u32_e32 v10, vcc_lo, 0, v5, vcc_lo
	v_add_co_u32 v6, vcc_lo, v6, s22
	v_lshrrev_b32_e32 v3, 8, v8
	v_add_co_ci_u32_e32 v7, vcc_lo, s23, v7, vcc_lo
	s_mov_b32 s1, exec_lo
	global_store_b8 v[6:7], v3, off
	v_cmpx_gt_i64_e64 s[14:15], v[9:10]
	s_xor_b32 s1, exec_lo, s1
	s_cbranch_execz .LBB51_2
; %bb.25:                               ;   in Loop: Header=BB51_3 Depth=1
	v_add_co_u32 v9, vcc_lo, v4, 3
	v_add_co_ci_u32_e32 v10, vcc_lo, 0, v5, vcc_lo
	v_add_co_u32 v3, vcc_lo, v6, s22
	v_add_co_ci_u32_e32 v4, vcc_lo, s23, v7, vcc_lo
	s_mov_b32 s1, exec_lo
	global_store_d16_hi_b8 v[3:4], v8, off
	v_cmpx_gt_i64_e64 s[14:15], v[9:10]
	s_xor_b32 s1, exec_lo, s1
	s_cbranch_execz .LBB51_2
; %bb.26:                               ;   in Loop: Header=BB51_3 Depth=1
	v_add_co_u32 v3, vcc_lo, v3, s22
	v_lshrrev_b32_e32 v5, 24, v8
	v_add_co_ci_u32_e32 v4, vcc_lo, s23, v4, vcc_lo
	global_store_b8 v[3:4], v5, off
	s_branch .LBB51_2
.LBB51_27:                              ;   in Loop: Header=BB51_28 Depth=2
	s_or_b32 exec_lo, exec_lo, s0
	s_delay_alu instid0(VALU_DEP_1) | instskip(NEXT) | instid1(VALU_DEP_2)
	v_mul_lo_u32 v3, v15, s40
	v_mul_lo_u32 v16, v14, s41
	s_load_b64 s[0:1], s[4:5], 0xc8
	v_mad_u64_u32 v[12:13], null, v14, s40, 0
	s_load_b64 s[40:41], s[38:39], 0x0
	s_add_u32 s38, s38, -8
	s_addc_u32 s39, s39, -1
	s_add_u32 s4, s4, -8
	s_addc_u32 s5, s5, -1
	s_add_u32 s2, s2, -1
	s_delay_alu instid0(VALU_DEP_1) | instskip(SKIP_2) | instid1(VALU_DEP_2)
	v_add3_u32 v3, v13, v16, v3
	v_sub_co_u32 v6, vcc_lo, v6, v12
	s_addc_u32 s3, s3, -1
	v_sub_co_ci_u32_e32 v3, vcc_lo, v7, v3, vcc_lo
	s_waitcnt lgkmcnt(0)
	s_delay_alu instid0(VALU_DEP_1)
	v_mul_lo_u32 v7, s0, v3
	v_mul_lo_u32 v21, s1, v6
	v_mad_u64_u32 v[16:17], null, s0, v6, v[10:11]
	v_mul_lo_u32 v3, s40, v3
	v_mul_lo_u32 v10, s41, v6
	v_mad_u64_u32 v[12:13], null, s40, v6, v[8:9]
	v_cmp_lt_i64_e64 s0, s[2:3], 1
	v_add3_u32 v17, v21, v17, v7
	v_dual_mov_b32 v6, v14 :: v_dual_mov_b32 v7, v15
	s_delay_alu instid0(VALU_DEP_4) | instskip(SKIP_1) | instid1(VALU_DEP_4)
	v_add3_u32 v13, v10, v13, v3
	v_mov_b32_e32 v8, v12
	v_dual_mov_b32 v10, v16 :: v_dual_mov_b32 v11, v17
	s_and_b32 vcc_lo, exec_lo, s0
	s_delay_alu instid0(VALU_DEP_3)
	v_mov_b32_e32 v9, v13
	s_cbranch_vccnz .LBB51_12
.LBB51_28:                              ;   Parent Loop BB51_3 Depth=1
                                        ; =>  This Inner Loop Header: Depth=2
	s_load_b64 s[40:41], s[4:5], 0x0
                                        ; implicit-def: $vgpr14_vgpr15
	s_mov_b32 s0, exec_lo
	s_waitcnt lgkmcnt(0)
	v_or_b32_e32 v3, s41, v7
	s_delay_alu instid0(VALU_DEP_1)
	v_cmpx_ne_u64_e32 0, v[2:3]
	s_xor_b32 s1, exec_lo, s0
	s_cbranch_execz .LBB51_30
; %bb.29:                               ;   in Loop: Header=BB51_28 Depth=2
	s_ashr_i32 s42, s41, 31
	s_delay_alu instid0(SALU_CYCLE_1) | instskip(SKIP_2) | instid1(SALU_CYCLE_1)
	s_add_u32 s44, s40, s42
	s_mov_b32 s43, s42
	s_addc_u32 s45, s41, s42
	s_xor_b64 s[44:45], s[44:45], s[42:43]
	s_delay_alu instid0(SALU_CYCLE_1) | instskip(SKIP_3) | instid1(VALU_DEP_1)
	v_cvt_f32_u32_e32 v3, s44
	v_cvt_f32_u32_e32 v12, s45
	s_sub_u32 s0, 0, s44
	s_subb_u32 s37, 0, s45
	v_fmac_f32_e32 v3, 0x4f800000, v12
	s_delay_alu instid0(VALU_DEP_1) | instskip(SKIP_2) | instid1(VALU_DEP_1)
	v_rcp_f32_e32 v3, v3
	s_waitcnt_depctr 0xfff
	v_mul_f32_e32 v3, 0x5f7ffffc, v3
	v_mul_f32_e32 v12, 0x2f800000, v3
	s_delay_alu instid0(VALU_DEP_1) | instskip(NEXT) | instid1(VALU_DEP_1)
	v_trunc_f32_e32 v12, v12
	v_fmac_f32_e32 v3, 0xcf800000, v12
	v_cvt_u32_f32_e32 v12, v12
	s_delay_alu instid0(VALU_DEP_2) | instskip(NEXT) | instid1(VALU_DEP_2)
	v_cvt_u32_f32_e32 v3, v3
	v_mul_lo_u32 v13, s0, v12
	s_delay_alu instid0(VALU_DEP_2) | instskip(SKIP_1) | instid1(VALU_DEP_2)
	v_mul_hi_u32 v14, s0, v3
	v_mul_lo_u32 v15, s37, v3
	v_add_nc_u32_e32 v13, v14, v13
	v_mul_lo_u32 v14, s0, v3
	s_delay_alu instid0(VALU_DEP_2) | instskip(NEXT) | instid1(VALU_DEP_2)
	v_add_nc_u32_e32 v13, v13, v15
	v_mul_hi_u32 v15, v3, v14
	s_delay_alu instid0(VALU_DEP_2)
	v_mul_lo_u32 v16, v3, v13
	v_mul_hi_u32 v17, v3, v13
	v_mul_hi_u32 v21, v12, v14
	v_mul_lo_u32 v14, v12, v14
	v_mul_hi_u32 v22, v12, v13
	v_mul_lo_u32 v13, v12, v13
	v_add_co_u32 v15, vcc_lo, v15, v16
	v_add_co_ci_u32_e32 v16, vcc_lo, 0, v17, vcc_lo
	s_delay_alu instid0(VALU_DEP_2) | instskip(NEXT) | instid1(VALU_DEP_2)
	v_add_co_u32 v14, vcc_lo, v15, v14
	v_add_co_ci_u32_e32 v14, vcc_lo, v16, v21, vcc_lo
	v_add_co_ci_u32_e32 v15, vcc_lo, 0, v22, vcc_lo
	v_ashrrev_i32_e32 v21, 31, v7
	s_delay_alu instid0(VALU_DEP_3) | instskip(NEXT) | instid1(VALU_DEP_3)
	v_add_co_u32 v13, vcc_lo, v14, v13
	v_add_co_ci_u32_e32 v14, vcc_lo, 0, v15, vcc_lo
	s_delay_alu instid0(VALU_DEP_2) | instskip(NEXT) | instid1(VALU_DEP_2)
	v_add_co_u32 v3, vcc_lo, v3, v13
	v_add_co_ci_u32_e32 v12, vcc_lo, v12, v14, vcc_lo
	s_delay_alu instid0(VALU_DEP_2) | instskip(SKIP_1) | instid1(VALU_DEP_3)
	v_mul_hi_u32 v13, s0, v3
	v_mul_lo_u32 v15, s37, v3
	v_mul_lo_u32 v14, s0, v12
	s_delay_alu instid0(VALU_DEP_1) | instskip(SKIP_1) | instid1(VALU_DEP_2)
	v_add_nc_u32_e32 v13, v13, v14
	v_mul_lo_u32 v14, s0, v3
	v_add_nc_u32_e32 v13, v13, v15
	s_delay_alu instid0(VALU_DEP_2) | instskip(NEXT) | instid1(VALU_DEP_2)
	v_mul_hi_u32 v15, v3, v14
	v_mul_lo_u32 v16, v3, v13
	v_mul_hi_u32 v17, v3, v13
	v_mul_hi_u32 v22, v12, v14
	v_mul_lo_u32 v14, v12, v14
	v_mul_hi_u32 v23, v12, v13
	v_mul_lo_u32 v13, v12, v13
	v_add_co_u32 v15, vcc_lo, v15, v16
	v_add_co_ci_u32_e32 v16, vcc_lo, 0, v17, vcc_lo
	s_delay_alu instid0(VALU_DEP_2) | instskip(NEXT) | instid1(VALU_DEP_2)
	v_add_co_u32 v14, vcc_lo, v15, v14
	v_add_co_ci_u32_e32 v14, vcc_lo, v16, v22, vcc_lo
	v_add_co_ci_u32_e32 v15, vcc_lo, 0, v23, vcc_lo
	v_add_co_u32 v16, vcc_lo, v6, v21
	v_add_co_ci_u32_e32 v17, vcc_lo, v7, v21, vcc_lo
	s_delay_alu instid0(VALU_DEP_4) | instskip(NEXT) | instid1(VALU_DEP_4)
	v_add_co_u32 v13, vcc_lo, v14, v13
	v_add_co_ci_u32_e32 v14, vcc_lo, 0, v15, vcc_lo
	s_delay_alu instid0(VALU_DEP_4) | instskip(NEXT) | instid1(VALU_DEP_3)
	v_xor_b32_e32 v22, v16, v21
	v_add_co_u32 v3, vcc_lo, v3, v13
	s_delay_alu instid0(VALU_DEP_3) | instskip(SKIP_1) | instid1(VALU_DEP_3)
	v_add_co_ci_u32_e32 v23, vcc_lo, v12, v14, vcc_lo
	v_xor_b32_e32 v24, v17, v21
	v_mul_hi_u32 v25, v22, v3
	s_delay_alu instid0(VALU_DEP_3) | instskip(NEXT) | instid1(VALU_DEP_3)
	v_mad_u64_u32 v[12:13], null, v22, v23, 0
	v_mad_u64_u32 v[14:15], null, v24, v3, 0
	;; [unrolled: 1-line block ×3, first 2 shown]
	s_delay_alu instid0(VALU_DEP_3) | instskip(NEXT) | instid1(VALU_DEP_4)
	v_add_co_u32 v3, vcc_lo, v25, v12
	v_add_co_ci_u32_e32 v12, vcc_lo, 0, v13, vcc_lo
	s_delay_alu instid0(VALU_DEP_2) | instskip(NEXT) | instid1(VALU_DEP_2)
	v_add_co_u32 v3, vcc_lo, v3, v14
	v_add_co_ci_u32_e32 v3, vcc_lo, v12, v15, vcc_lo
	v_add_co_ci_u32_e32 v12, vcc_lo, 0, v17, vcc_lo
	s_delay_alu instid0(VALU_DEP_2) | instskip(NEXT) | instid1(VALU_DEP_2)
	v_add_co_u32 v3, vcc_lo, v3, v16
	v_add_co_ci_u32_e32 v14, vcc_lo, 0, v12, vcc_lo
	s_delay_alu instid0(VALU_DEP_2) | instskip(SKIP_1) | instid1(VALU_DEP_3)
	v_mul_lo_u32 v15, s45, v3
	v_mad_u64_u32 v[12:13], null, s44, v3, 0
	v_mul_lo_u32 v16, s44, v14
	s_delay_alu instid0(VALU_DEP_2) | instskip(NEXT) | instid1(VALU_DEP_2)
	v_sub_co_u32 v12, vcc_lo, v22, v12
	v_add3_u32 v13, v13, v16, v15
	s_delay_alu instid0(VALU_DEP_1) | instskip(NEXT) | instid1(VALU_DEP_1)
	v_sub_nc_u32_e32 v15, v24, v13
	v_subrev_co_ci_u32_e64 v15, s0, s45, v15, vcc_lo
	v_add_co_u32 v16, s0, v3, 2
	s_delay_alu instid0(VALU_DEP_1) | instskip(SKIP_3) | instid1(VALU_DEP_3)
	v_add_co_ci_u32_e64 v17, s0, 0, v14, s0
	v_sub_co_u32 v22, s0, v12, s44
	v_sub_co_ci_u32_e32 v13, vcc_lo, v24, v13, vcc_lo
	v_subrev_co_ci_u32_e64 v15, s0, 0, v15, s0
	v_cmp_le_u32_e32 vcc_lo, s44, v22
	s_delay_alu instid0(VALU_DEP_3) | instskip(SKIP_1) | instid1(VALU_DEP_4)
	v_cmp_eq_u32_e64 s0, s45, v13
	v_cndmask_b32_e64 v22, 0, -1, vcc_lo
	v_cmp_le_u32_e32 vcc_lo, s45, v15
	v_cndmask_b32_e64 v23, 0, -1, vcc_lo
	v_cmp_le_u32_e32 vcc_lo, s44, v12
	v_cndmask_b32_e64 v12, 0, -1, vcc_lo
	v_cmp_le_u32_e32 vcc_lo, s45, v13
	v_cndmask_b32_e64 v24, 0, -1, vcc_lo
	v_cmp_eq_u32_e32 vcc_lo, s45, v15
	s_delay_alu instid0(VALU_DEP_2) | instskip(SKIP_3) | instid1(VALU_DEP_3)
	v_cndmask_b32_e64 v12, v24, v12, s0
	v_cndmask_b32_e32 v15, v23, v22, vcc_lo
	v_add_co_u32 v22, vcc_lo, v3, 1
	v_add_co_ci_u32_e32 v23, vcc_lo, 0, v14, vcc_lo
	v_cmp_ne_u32_e32 vcc_lo, 0, v15
	s_delay_alu instid0(VALU_DEP_2) | instskip(NEXT) | instid1(VALU_DEP_4)
	v_cndmask_b32_e32 v13, v23, v17, vcc_lo
	v_cndmask_b32_e32 v15, v22, v16, vcc_lo
	v_cmp_ne_u32_e32 vcc_lo, 0, v12
	v_xor_b32_e32 v12, s42, v21
	s_delay_alu instid0(VALU_DEP_3) | instskip(SKIP_1) | instid1(VALU_DEP_2)
	v_cndmask_b32_e32 v3, v3, v15, vcc_lo
	v_cndmask_b32_e32 v13, v14, v13, vcc_lo
	v_xor_b32_e32 v3, v3, v12
	s_delay_alu instid0(VALU_DEP_2) | instskip(NEXT) | instid1(VALU_DEP_2)
	v_xor_b32_e32 v13, v13, v12
	v_sub_co_u32 v14, vcc_lo, v3, v12
	s_delay_alu instid0(VALU_DEP_2)
	v_sub_co_ci_u32_e32 v15, vcc_lo, v13, v12, vcc_lo
.LBB51_30:                              ;   in Loop: Header=BB51_28 Depth=2
	s_and_not1_saveexec_b32 s0, s1
	s_cbranch_execz .LBB51_27
; %bb.31:                               ;   in Loop: Header=BB51_28 Depth=2
	v_cvt_f32_u32_e32 v3, s40
	s_sub_i32 s1, 0, s40
	v_mov_b32_e32 v15, v2
	s_delay_alu instid0(VALU_DEP_2) | instskip(SKIP_2) | instid1(VALU_DEP_1)
	v_rcp_iflag_f32_e32 v3, v3
	s_waitcnt_depctr 0xfff
	v_mul_f32_e32 v3, 0x4f7ffffe, v3
	v_cvt_u32_f32_e32 v3, v3
	s_delay_alu instid0(VALU_DEP_1) | instskip(NEXT) | instid1(VALU_DEP_1)
	v_mul_lo_u32 v12, s1, v3
	v_mul_hi_u32 v12, v3, v12
	s_delay_alu instid0(VALU_DEP_1) | instskip(NEXT) | instid1(VALU_DEP_1)
	v_add_nc_u32_e32 v3, v3, v12
	v_mul_hi_u32 v3, v6, v3
	s_delay_alu instid0(VALU_DEP_1) | instskip(SKIP_1) | instid1(VALU_DEP_2)
	v_mul_lo_u32 v12, v3, s40
	v_add_nc_u32_e32 v13, 1, v3
	v_sub_nc_u32_e32 v12, v6, v12
	s_delay_alu instid0(VALU_DEP_1) | instskip(SKIP_1) | instid1(VALU_DEP_2)
	v_subrev_nc_u32_e32 v14, s40, v12
	v_cmp_le_u32_e32 vcc_lo, s40, v12
	v_dual_cndmask_b32 v12, v12, v14 :: v_dual_cndmask_b32 v3, v3, v13
	s_delay_alu instid0(VALU_DEP_1) | instskip(NEXT) | instid1(VALU_DEP_2)
	v_cmp_le_u32_e32 vcc_lo, s40, v12
	v_add_nc_u32_e32 v13, 1, v3
	s_delay_alu instid0(VALU_DEP_1)
	v_cndmask_b32_e32 v14, v3, v13, vcc_lo
	s_branch .LBB51_27
.LBB51_32:
	s_nop 0
	s_sendmsg sendmsg(MSG_DEALLOC_VGPRS)
	s_endpgm
	.section	.rodata,"a",@progbits
	.p2align	6, 0x0
	.amdhsa_kernel _ZN2at6native16triu_tril_kernelIblLb0ELi4ELb0EEEvNS_4cuda6detail10TensorInfoIT_T0_EENS4_IKS5_S6_EEllS6_
		.amdhsa_group_segment_fixed_size 0
		.amdhsa_private_segment_fixed_size 0
		.amdhsa_kernarg_size 1112
		.amdhsa_user_sgpr_count 15
		.amdhsa_user_sgpr_dispatch_ptr 0
		.amdhsa_user_sgpr_queue_ptr 0
		.amdhsa_user_sgpr_kernarg_segment_ptr 1
		.amdhsa_user_sgpr_dispatch_id 0
		.amdhsa_user_sgpr_private_segment_size 0
		.amdhsa_wavefront_size32 1
		.amdhsa_uses_dynamic_stack 0
		.amdhsa_enable_private_segment 0
		.amdhsa_system_sgpr_workgroup_id_x 1
		.amdhsa_system_sgpr_workgroup_id_y 0
		.amdhsa_system_sgpr_workgroup_id_z 0
		.amdhsa_system_sgpr_workgroup_info 0
		.amdhsa_system_vgpr_workitem_id 0
		.amdhsa_next_free_vgpr 26
		.amdhsa_next_free_sgpr 48
		.amdhsa_reserve_vcc 1
		.amdhsa_float_round_mode_32 0
		.amdhsa_float_round_mode_16_64 0
		.amdhsa_float_denorm_mode_32 3
		.amdhsa_float_denorm_mode_16_64 3
		.amdhsa_dx10_clamp 1
		.amdhsa_ieee_mode 1
		.amdhsa_fp16_overflow 0
		.amdhsa_workgroup_processor_mode 1
		.amdhsa_memory_ordered 1
		.amdhsa_forward_progress 0
		.amdhsa_shared_vgpr_count 0
		.amdhsa_exception_fp_ieee_invalid_op 0
		.amdhsa_exception_fp_denorm_src 0
		.amdhsa_exception_fp_ieee_div_zero 0
		.amdhsa_exception_fp_ieee_overflow 0
		.amdhsa_exception_fp_ieee_underflow 0
		.amdhsa_exception_fp_ieee_inexact 0
		.amdhsa_exception_int_div_zero 0
	.end_amdhsa_kernel
	.section	.text._ZN2at6native16triu_tril_kernelIblLb0ELi4ELb0EEEvNS_4cuda6detail10TensorInfoIT_T0_EENS4_IKS5_S6_EEllS6_,"axG",@progbits,_ZN2at6native16triu_tril_kernelIblLb0ELi4ELb0EEEvNS_4cuda6detail10TensorInfoIT_T0_EENS4_IKS5_S6_EEllS6_,comdat
.Lfunc_end51:
	.size	_ZN2at6native16triu_tril_kernelIblLb0ELi4ELb0EEEvNS_4cuda6detail10TensorInfoIT_T0_EENS4_IKS5_S6_EEllS6_, .Lfunc_end51-_ZN2at6native16triu_tril_kernelIblLb0ELi4ELb0EEEvNS_4cuda6detail10TensorInfoIT_T0_EENS4_IKS5_S6_EEllS6_
                                        ; -- End function
	.section	.AMDGPU.csdata,"",@progbits
; Kernel info:
; codeLenInByte = 4620
; NumSgprs: 50
; NumVgprs: 26
; ScratchSize: 0
; MemoryBound: 0
; FloatMode: 240
; IeeeMode: 1
; LDSByteSize: 0 bytes/workgroup (compile time only)
; SGPRBlocks: 6
; VGPRBlocks: 3
; NumSGPRsForWavesPerEU: 50
; NumVGPRsForWavesPerEU: 26
; Occupancy: 16
; WaveLimiterHint : 0
; COMPUTE_PGM_RSRC2:SCRATCH_EN: 0
; COMPUTE_PGM_RSRC2:USER_SGPR: 15
; COMPUTE_PGM_RSRC2:TRAP_HANDLER: 0
; COMPUTE_PGM_RSRC2:TGID_X_EN: 1
; COMPUTE_PGM_RSRC2:TGID_Y_EN: 0
; COMPUTE_PGM_RSRC2:TGID_Z_EN: 0
; COMPUTE_PGM_RSRC2:TIDIG_COMP_CNT: 0
	.section	.text._ZN2at6native16triu_tril_kernelIhiLb1ELi4ELb1EEEvNS_4cuda6detail10TensorInfoIT_T0_EENS4_IKS5_S6_EEllS6_,"axG",@progbits,_ZN2at6native16triu_tril_kernelIhiLb1ELi4ELb1EEEvNS_4cuda6detail10TensorInfoIT_T0_EENS4_IKS5_S6_EEllS6_,comdat
	.protected	_ZN2at6native16triu_tril_kernelIhiLb1ELi4ELb1EEEvNS_4cuda6detail10TensorInfoIT_T0_EENS4_IKS5_S6_EEllS6_ ; -- Begin function _ZN2at6native16triu_tril_kernelIhiLb1ELi4ELb1EEEvNS_4cuda6detail10TensorInfoIT_T0_EENS4_IKS5_S6_EEllS6_
	.globl	_ZN2at6native16triu_tril_kernelIhiLb1ELi4ELb1EEEvNS_4cuda6detail10TensorInfoIT_T0_EENS4_IKS5_S6_EEllS6_
	.p2align	8
	.type	_ZN2at6native16triu_tril_kernelIhiLb1ELi4ELb1EEEvNS_4cuda6detail10TensorInfoIT_T0_EENS4_IKS5_S6_EEllS6_,@function
_ZN2at6native16triu_tril_kernelIhiLb1ELi4ELb1EEEvNS_4cuda6detail10TensorInfoIT_T0_EENS4_IKS5_S6_EEllS6_: ; @_ZN2at6native16triu_tril_kernelIhiLb1ELi4ELb1EEEvNS_4cuda6detail10TensorInfoIT_T0_EENS4_IKS5_S6_EEllS6_
; %bb.0:
	s_clause 0x1
	s_load_b32 s2, s[0:1], 0x1d4
	s_load_b128 s[4:7], s[0:1], 0x1b0
	v_mov_b32_e32 v2, 0
	s_add_u32 s8, s0, 0x1c8
	s_addc_u32 s9, s1, 0
	s_delay_alu instid0(VALU_DEP_1) | instskip(SKIP_3) | instid1(VALU_DEP_1)
	v_mov_b32_e32 v1, v2
	s_waitcnt lgkmcnt(0)
	s_and_b32 s14, s2, 0xffff
	s_mov_b32 s2, exec_lo
	v_mad_u64_u32 v[3:4], null, s14, s15, v[0:1]
	s_delay_alu instid0(VALU_DEP_1) | instskip(NEXT) | instid1(VALU_DEP_1)
	v_lshlrev_b64 v[0:1], 2, v[3:4]
	v_cmpx_gt_i64_e64 s[6:7], v[0:1]
	s_cbranch_execz .LBB52_68
; %bb.1:
	s_clause 0x2
	s_load_b32 s24, s[0:1], 0x1c0
	s_load_b32 s16, s[0:1], 0x1a8
	s_load_b64 s[2:3], s[0:1], 0x0
	s_load_b32 s19, s[8:9], 0x0
	s_mov_b32 s38, 0
	s_waitcnt lgkmcnt(0)
	s_ashr_i32 s25, s24, 31
	s_ashr_i32 s17, s16, 31
	s_add_u32 s26, s0, 0xe0
	s_addc_u32 s27, s1, 0
	s_lshl_b64 s[10:11], s[16:17], 2
	v_cvt_f32_u32_e32 v3, s24
	s_add_u32 s15, s10, -8
	s_addc_u32 s18, s11, -1
	s_add_u32 s12, s26, s15
	s_addc_u32 s13, s27, s18
	v_rcp_iflag_f32_e32 v3, v3
	s_load_b32 s28, s[12:13], 0x0
	s_mul_i32 s19, s19, s14
	v_cmp_gt_i64_e64 s37, s[16:17], 2
	s_waitcnt_depctr 0xfff
	v_mul_f32_e32 v3, 0x4f7ffffe, v3
	s_delay_alu instid0(VALU_DEP_1)
	v_cvt_u32_f32_e32 v3, v3
	s_waitcnt lgkmcnt(0)
	s_ashr_i32 s29, s28, 31
	s_add_u32 s12, s10, -4
	s_addc_u32 s13, s11, -1
	s_add_u32 s30, s0, 0x6c
	s_addc_u32 s1, s1, 0
	s_add_u32 s8, s30, s12
	s_addc_u32 s9, s1, s13
	;; [unrolled: 2-line block ×3, first 2 shown]
	s_add_i32 s31, s16, -3
	s_add_u32 s12, s26, s12
	s_addc_u32 s13, s27, s13
	s_add_i32 s0, s16, 6
	s_lshl_b32 s34, s19, 2
	s_and_b32 s33, s0, 7
	s_mov_b32 s15, 0
	s_cmp_lg_u32 s33, 0
	s_cselect_b32 s35, -1, 0
	s_cmp_gt_u32 s31, 6
	s_cselect_b32 s36, -1, 0
	s_sub_i32 s0, 0, s24
	s_delay_alu instid0(SALU_CYCLE_1) | instskip(NEXT) | instid1(VALU_DEP_1)
	v_mul_lo_u32 v4, s0, v3
	v_mul_hi_u32 v4, v3, v4
	s_delay_alu instid0(VALU_DEP_1)
	v_add_nc_u32_e32 v24, v3, v4
	s_branch .LBB52_3
.LBB52_2:                               ;   in Loop: Header=BB52_3 Depth=1
	s_or_b32 exec_lo, exec_lo, s39
	v_add_co_u32 v0, vcc_lo, v0, s34
	v_add_co_ci_u32_e32 v1, vcc_lo, 0, v1, vcc_lo
	s_delay_alu instid0(VALU_DEP_1) | instskip(SKIP_1) | instid1(SALU_CYCLE_1)
	v_cmp_le_i64_e32 vcc_lo, s[6:7], v[0:1]
	s_or_b32 s38, vcc_lo, s38
	s_and_not1_b32 exec_lo, exec_lo, s38
	s_cbranch_execz .LBB52_68
.LBB52_3:                               ; =>This Loop Header: Depth=1
                                        ;     Child Loop BB52_15 Depth 2
                                        ;     Child Loop BB52_24 Depth 2
	v_or_b32_e32 v3, s25, v1
                                        ; implicit-def: $vgpr4_vgpr5
	s_mov_b32 s0, exec_lo
	s_delay_alu instid0(VALU_DEP_1)
	v_cmpx_ne_u64_e32 0, v[2:3]
	s_xor_b32 s14, exec_lo, s0
	s_cbranch_execz .LBB52_5
; %bb.4:                                ;   in Loop: Header=BB52_3 Depth=1
	s_add_u32 s18, s24, s25
	s_mov_b32 s16, s25
	s_mov_b32 s17, s25
	s_addc_u32 s19, s25, s25
	s_delay_alu instid0(SALU_CYCLE_1) | instskip(NEXT) | instid1(SALU_CYCLE_1)
	s_xor_b64 s[18:19], s[18:19], s[16:17]
	v_cvt_f32_u32_e32 v3, s18
	v_cvt_f32_u32_e32 v4, s19
	s_sub_u32 s0, 0, s18
	s_subb_u32 s20, 0, s19
	s_delay_alu instid0(VALU_DEP_1) | instskip(NEXT) | instid1(VALU_DEP_1)
	v_fmac_f32_e32 v3, 0x4f800000, v4
	v_rcp_f32_e32 v3, v3
	s_waitcnt_depctr 0xfff
	v_mul_f32_e32 v3, 0x5f7ffffc, v3
	s_delay_alu instid0(VALU_DEP_1) | instskip(NEXT) | instid1(VALU_DEP_1)
	v_mul_f32_e32 v4, 0x2f800000, v3
	v_trunc_f32_e32 v4, v4
	s_delay_alu instid0(VALU_DEP_1) | instskip(SKIP_1) | instid1(VALU_DEP_2)
	v_fmac_f32_e32 v3, 0xcf800000, v4
	v_cvt_u32_f32_e32 v4, v4
	v_cvt_u32_f32_e32 v3, v3
	s_delay_alu instid0(VALU_DEP_2) | instskip(NEXT) | instid1(VALU_DEP_2)
	v_mul_lo_u32 v5, s0, v4
	v_mul_hi_u32 v6, s0, v3
	v_mul_lo_u32 v7, s20, v3
	s_delay_alu instid0(VALU_DEP_2) | instskip(SKIP_1) | instid1(VALU_DEP_2)
	v_add_nc_u32_e32 v5, v6, v5
	v_mul_lo_u32 v6, s0, v3
	v_add_nc_u32_e32 v5, v5, v7
	s_delay_alu instid0(VALU_DEP_2) | instskip(NEXT) | instid1(VALU_DEP_2)
	v_mul_hi_u32 v7, v3, v6
	v_mul_lo_u32 v8, v3, v5
	v_mul_hi_u32 v9, v3, v5
	v_mul_hi_u32 v10, v4, v6
	v_mul_lo_u32 v6, v4, v6
	v_mul_hi_u32 v11, v4, v5
	v_mul_lo_u32 v5, v4, v5
	v_add_co_u32 v7, vcc_lo, v7, v8
	v_add_co_ci_u32_e32 v8, vcc_lo, 0, v9, vcc_lo
	s_delay_alu instid0(VALU_DEP_2) | instskip(NEXT) | instid1(VALU_DEP_2)
	v_add_co_u32 v6, vcc_lo, v7, v6
	v_add_co_ci_u32_e32 v6, vcc_lo, v8, v10, vcc_lo
	v_add_co_ci_u32_e32 v7, vcc_lo, 0, v11, vcc_lo
	v_ashrrev_i32_e32 v10, 31, v1
	s_delay_alu instid0(VALU_DEP_3) | instskip(NEXT) | instid1(VALU_DEP_3)
	v_add_co_u32 v5, vcc_lo, v6, v5
	v_add_co_ci_u32_e32 v6, vcc_lo, 0, v7, vcc_lo
	s_delay_alu instid0(VALU_DEP_2) | instskip(NEXT) | instid1(VALU_DEP_2)
	v_add_co_u32 v3, vcc_lo, v3, v5
	v_add_co_ci_u32_e32 v4, vcc_lo, v4, v6, vcc_lo
	s_delay_alu instid0(VALU_DEP_2) | instskip(SKIP_1) | instid1(VALU_DEP_3)
	v_mul_hi_u32 v5, s0, v3
	v_mul_lo_u32 v7, s20, v3
	v_mul_lo_u32 v6, s0, v4
	s_delay_alu instid0(VALU_DEP_1) | instskip(SKIP_1) | instid1(VALU_DEP_2)
	v_add_nc_u32_e32 v5, v5, v6
	v_mul_lo_u32 v6, s0, v3
	v_add_nc_u32_e32 v5, v5, v7
	s_delay_alu instid0(VALU_DEP_2) | instskip(NEXT) | instid1(VALU_DEP_2)
	v_mul_hi_u32 v7, v3, v6
	v_mul_lo_u32 v8, v3, v5
	v_mul_hi_u32 v9, v3, v5
	v_mul_hi_u32 v11, v4, v6
	v_mul_lo_u32 v6, v4, v6
	v_mul_hi_u32 v12, v4, v5
	v_mul_lo_u32 v5, v4, v5
	v_add_co_u32 v7, vcc_lo, v7, v8
	v_add_co_ci_u32_e32 v8, vcc_lo, 0, v9, vcc_lo
	s_delay_alu instid0(VALU_DEP_2) | instskip(NEXT) | instid1(VALU_DEP_2)
	v_add_co_u32 v6, vcc_lo, v7, v6
	v_add_co_ci_u32_e32 v6, vcc_lo, v8, v11, vcc_lo
	v_add_co_ci_u32_e32 v7, vcc_lo, 0, v12, vcc_lo
	v_add_co_u32 v8, vcc_lo, v0, v10
	v_add_co_ci_u32_e32 v9, vcc_lo, v1, v10, vcc_lo
	s_delay_alu instid0(VALU_DEP_4) | instskip(NEXT) | instid1(VALU_DEP_4)
	v_add_co_u32 v5, vcc_lo, v6, v5
	v_add_co_ci_u32_e32 v6, vcc_lo, 0, v7, vcc_lo
	s_delay_alu instid0(VALU_DEP_4) | instskip(NEXT) | instid1(VALU_DEP_3)
	v_xor_b32_e32 v11, v8, v10
	v_add_co_u32 v7, vcc_lo, v3, v5
	s_delay_alu instid0(VALU_DEP_3) | instskip(SKIP_1) | instid1(VALU_DEP_3)
	v_add_co_ci_u32_e32 v12, vcc_lo, v4, v6, vcc_lo
	v_xor_b32_e32 v9, v9, v10
	v_mul_hi_u32 v13, v11, v7
	s_delay_alu instid0(VALU_DEP_3) | instskip(NEXT) | instid1(VALU_DEP_3)
	v_mad_u64_u32 v[3:4], null, v11, v12, 0
	v_mad_u64_u32 v[5:6], null, v9, v7, 0
	;; [unrolled: 1-line block ×3, first 2 shown]
	s_delay_alu instid0(VALU_DEP_3) | instskip(NEXT) | instid1(VALU_DEP_4)
	v_add_co_u32 v3, vcc_lo, v13, v3
	v_add_co_ci_u32_e32 v4, vcc_lo, 0, v4, vcc_lo
	s_delay_alu instid0(VALU_DEP_2) | instskip(NEXT) | instid1(VALU_DEP_2)
	v_add_co_u32 v3, vcc_lo, v3, v5
	v_add_co_ci_u32_e32 v3, vcc_lo, v4, v6, vcc_lo
	v_add_co_ci_u32_e32 v4, vcc_lo, 0, v8, vcc_lo
	s_delay_alu instid0(VALU_DEP_2) | instskip(NEXT) | instid1(VALU_DEP_2)
	v_add_co_u32 v5, vcc_lo, v3, v7
	v_add_co_ci_u32_e32 v6, vcc_lo, 0, v4, vcc_lo
	s_delay_alu instid0(VALU_DEP_2) | instskip(SKIP_1) | instid1(VALU_DEP_3)
	v_mul_lo_u32 v7, s19, v5
	v_mad_u64_u32 v[3:4], null, s18, v5, 0
	v_mul_lo_u32 v8, s18, v6
	s_delay_alu instid0(VALU_DEP_2) | instskip(NEXT) | instid1(VALU_DEP_2)
	v_sub_co_u32 v3, vcc_lo, v11, v3
	v_add3_u32 v4, v4, v8, v7
	s_delay_alu instid0(VALU_DEP_1) | instskip(NEXT) | instid1(VALU_DEP_1)
	v_sub_nc_u32_e32 v7, v9, v4
	v_subrev_co_ci_u32_e64 v7, s0, s19, v7, vcc_lo
	v_add_co_u32 v8, s0, v5, 2
	s_delay_alu instid0(VALU_DEP_1) | instskip(SKIP_3) | instid1(VALU_DEP_3)
	v_add_co_ci_u32_e64 v11, s0, 0, v6, s0
	v_sub_co_u32 v12, s0, v3, s18
	v_sub_co_ci_u32_e32 v4, vcc_lo, v9, v4, vcc_lo
	v_subrev_co_ci_u32_e64 v7, s0, 0, v7, s0
	v_cmp_le_u32_e32 vcc_lo, s18, v12
	s_delay_alu instid0(VALU_DEP_3) | instskip(SKIP_1) | instid1(VALU_DEP_4)
	v_cmp_eq_u32_e64 s0, s19, v4
	v_cndmask_b32_e64 v9, 0, -1, vcc_lo
	v_cmp_le_u32_e32 vcc_lo, s19, v7
	v_cndmask_b32_e64 v12, 0, -1, vcc_lo
	v_cmp_le_u32_e32 vcc_lo, s18, v3
	;; [unrolled: 2-line block ×3, first 2 shown]
	v_cndmask_b32_e64 v13, 0, -1, vcc_lo
	v_cmp_eq_u32_e32 vcc_lo, s19, v7
	s_delay_alu instid0(VALU_DEP_2) | instskip(SKIP_3) | instid1(VALU_DEP_3)
	v_cndmask_b32_e64 v3, v13, v3, s0
	v_cndmask_b32_e32 v7, v12, v9, vcc_lo
	v_add_co_u32 v9, vcc_lo, v5, 1
	v_add_co_ci_u32_e32 v12, vcc_lo, 0, v6, vcc_lo
	v_cmp_ne_u32_e32 vcc_lo, 0, v7
	s_delay_alu instid0(VALU_DEP_2) | instskip(SKIP_2) | instid1(VALU_DEP_3)
	v_dual_cndmask_b32 v4, v12, v11 :: v_dual_cndmask_b32 v7, v9, v8
	v_cmp_ne_u32_e32 vcc_lo, 0, v3
	v_xor_b32_e32 v3, s16, v10
	v_dual_cndmask_b32 v5, v5, v7 :: v_dual_cndmask_b32 v4, v6, v4
	v_xor_b32_e32 v6, s17, v10
	s_delay_alu instid0(VALU_DEP_2) | instskip(NEXT) | instid1(VALU_DEP_2)
	v_xor_b32_e32 v5, v5, v3
	v_xor_b32_e32 v7, v4, v6
	s_delay_alu instid0(VALU_DEP_2) | instskip(NEXT) | instid1(VALU_DEP_2)
	v_sub_co_u32 v4, vcc_lo, v5, v3
	v_sub_co_ci_u32_e32 v5, vcc_lo, v7, v6, vcc_lo
.LBB52_5:                               ;   in Loop: Header=BB52_3 Depth=1
	s_and_not1_saveexec_b32 s0, s14
; %bb.6:                                ;   in Loop: Header=BB52_3 Depth=1
	v_mul_hi_u32 v3, v0, v24
	s_delay_alu instid0(VALU_DEP_1) | instskip(NEXT) | instid1(VALU_DEP_1)
	v_mul_lo_u32 v4, v3, s24
	v_sub_nc_u32_e32 v4, v0, v4
	s_delay_alu instid0(VALU_DEP_1) | instskip(SKIP_1) | instid1(VALU_DEP_2)
	v_subrev_nc_u32_e32 v6, s24, v4
	v_cmp_le_u32_e32 vcc_lo, s24, v4
	v_dual_cndmask_b32 v4, v4, v6 :: v_dual_add_nc_u32 v5, 1, v3
	s_delay_alu instid0(VALU_DEP_1) | instskip(NEXT) | instid1(VALU_DEP_2)
	v_cndmask_b32_e32 v3, v3, v5, vcc_lo
	v_cmp_le_u32_e32 vcc_lo, s24, v4
	s_delay_alu instid0(VALU_DEP_2) | instskip(NEXT) | instid1(VALU_DEP_1)
	v_add_nc_u32_e32 v5, 1, v3
	v_dual_cndmask_b32 v4, v3, v5 :: v_dual_mov_b32 v5, v2
; %bb.7:                                ;   in Loop: Header=BB52_3 Depth=1
	s_or_b32 exec_lo, exec_lo, s0
	s_delay_alu instid0(VALU_DEP_1) | instskip(SKIP_1) | instid1(VALU_DEP_1)
	v_or_b32_e32 v3, s29, v5
                                        ; implicit-def: $vgpr6_vgpr7
	s_mov_b32 s0, exec_lo
	v_cmpx_ne_u64_e32 0, v[2:3]
	s_xor_b32 s14, exec_lo, s0
	s_cbranch_execz .LBB52_9
; %bb.8:                                ;   in Loop: Header=BB52_3 Depth=1
	s_add_u32 s18, s28, s29
	s_mov_b32 s16, s29
	s_mov_b32 s17, s29
	s_addc_u32 s19, s29, s29
	s_delay_alu instid0(SALU_CYCLE_1) | instskip(NEXT) | instid1(SALU_CYCLE_1)
	s_xor_b64 s[18:19], s[18:19], s[16:17]
	v_cvt_f32_u32_e32 v3, s18
	v_cvt_f32_u32_e32 v6, s19
	s_sub_u32 s0, 0, s18
	s_subb_u32 s20, 0, s19
	s_delay_alu instid0(VALU_DEP_1) | instskip(NEXT) | instid1(VALU_DEP_1)
	v_fmac_f32_e32 v3, 0x4f800000, v6
	v_rcp_f32_e32 v3, v3
	s_waitcnt_depctr 0xfff
	v_mul_f32_e32 v3, 0x5f7ffffc, v3
	s_delay_alu instid0(VALU_DEP_1) | instskip(NEXT) | instid1(VALU_DEP_1)
	v_mul_f32_e32 v6, 0x2f800000, v3
	v_trunc_f32_e32 v6, v6
	s_delay_alu instid0(VALU_DEP_1) | instskip(SKIP_1) | instid1(VALU_DEP_2)
	v_fmac_f32_e32 v3, 0xcf800000, v6
	v_cvt_u32_f32_e32 v6, v6
	v_cvt_u32_f32_e32 v3, v3
	s_delay_alu instid0(VALU_DEP_2) | instskip(NEXT) | instid1(VALU_DEP_2)
	v_mul_lo_u32 v7, s0, v6
	v_mul_hi_u32 v8, s0, v3
	v_mul_lo_u32 v9, s20, v3
	s_delay_alu instid0(VALU_DEP_2) | instskip(SKIP_1) | instid1(VALU_DEP_2)
	v_add_nc_u32_e32 v7, v8, v7
	v_mul_lo_u32 v8, s0, v3
	v_add_nc_u32_e32 v7, v7, v9
	s_delay_alu instid0(VALU_DEP_2) | instskip(NEXT) | instid1(VALU_DEP_2)
	v_mul_hi_u32 v9, v3, v8
	v_mul_lo_u32 v10, v3, v7
	v_mul_hi_u32 v11, v3, v7
	v_mul_hi_u32 v12, v6, v8
	v_mul_lo_u32 v8, v6, v8
	v_mul_hi_u32 v13, v6, v7
	v_mul_lo_u32 v7, v6, v7
	v_add_co_u32 v9, vcc_lo, v9, v10
	v_add_co_ci_u32_e32 v10, vcc_lo, 0, v11, vcc_lo
	s_delay_alu instid0(VALU_DEP_2) | instskip(NEXT) | instid1(VALU_DEP_2)
	v_add_co_u32 v8, vcc_lo, v9, v8
	v_add_co_ci_u32_e32 v8, vcc_lo, v10, v12, vcc_lo
	v_add_co_ci_u32_e32 v9, vcc_lo, 0, v13, vcc_lo
	v_ashrrev_i32_e32 v12, 31, v5
	s_delay_alu instid0(VALU_DEP_3) | instskip(NEXT) | instid1(VALU_DEP_3)
	v_add_co_u32 v7, vcc_lo, v8, v7
	v_add_co_ci_u32_e32 v8, vcc_lo, 0, v9, vcc_lo
	s_delay_alu instid0(VALU_DEP_2) | instskip(NEXT) | instid1(VALU_DEP_2)
	v_add_co_u32 v3, vcc_lo, v3, v7
	v_add_co_ci_u32_e32 v6, vcc_lo, v6, v8, vcc_lo
	s_delay_alu instid0(VALU_DEP_2) | instskip(SKIP_1) | instid1(VALU_DEP_3)
	v_mul_hi_u32 v7, s0, v3
	v_mul_lo_u32 v9, s20, v3
	v_mul_lo_u32 v8, s0, v6
	s_delay_alu instid0(VALU_DEP_1) | instskip(SKIP_1) | instid1(VALU_DEP_2)
	v_add_nc_u32_e32 v7, v7, v8
	v_mul_lo_u32 v8, s0, v3
	v_add_nc_u32_e32 v7, v7, v9
	s_delay_alu instid0(VALU_DEP_2) | instskip(NEXT) | instid1(VALU_DEP_2)
	v_mul_hi_u32 v9, v3, v8
	v_mul_lo_u32 v10, v3, v7
	v_mul_hi_u32 v11, v3, v7
	v_mul_hi_u32 v13, v6, v8
	v_mul_lo_u32 v8, v6, v8
	v_mul_hi_u32 v14, v6, v7
	v_mul_lo_u32 v7, v6, v7
	v_add_co_u32 v9, vcc_lo, v9, v10
	v_add_co_ci_u32_e32 v10, vcc_lo, 0, v11, vcc_lo
	s_delay_alu instid0(VALU_DEP_2) | instskip(NEXT) | instid1(VALU_DEP_2)
	v_add_co_u32 v8, vcc_lo, v9, v8
	v_add_co_ci_u32_e32 v8, vcc_lo, v10, v13, vcc_lo
	v_add_co_ci_u32_e32 v9, vcc_lo, 0, v14, vcc_lo
	v_add_co_u32 v10, vcc_lo, v4, v12
	v_add_co_ci_u32_e32 v5, vcc_lo, v5, v12, vcc_lo
	s_delay_alu instid0(VALU_DEP_4) | instskip(NEXT) | instid1(VALU_DEP_4)
	v_add_co_u32 v7, vcc_lo, v8, v7
	v_add_co_ci_u32_e32 v8, vcc_lo, 0, v9, vcc_lo
	s_delay_alu instid0(VALU_DEP_4) | instskip(NEXT) | instid1(VALU_DEP_3)
	v_xor_b32_e32 v11, v10, v12
	v_add_co_u32 v3, vcc_lo, v3, v7
	s_delay_alu instid0(VALU_DEP_3) | instskip(SKIP_1) | instid1(VALU_DEP_3)
	v_add_co_ci_u32_e32 v13, vcc_lo, v6, v8, vcc_lo
	v_xor_b32_e32 v14, v5, v12
	v_mul_hi_u32 v15, v11, v3
	s_delay_alu instid0(VALU_DEP_3) | instskip(NEXT) | instid1(VALU_DEP_3)
	v_mad_u64_u32 v[5:6], null, v11, v13, 0
	v_mad_u64_u32 v[7:8], null, v14, v3, 0
	;; [unrolled: 1-line block ×3, first 2 shown]
	s_delay_alu instid0(VALU_DEP_3) | instskip(NEXT) | instid1(VALU_DEP_4)
	v_add_co_u32 v3, vcc_lo, v15, v5
	v_add_co_ci_u32_e32 v5, vcc_lo, 0, v6, vcc_lo
	s_delay_alu instid0(VALU_DEP_2) | instskip(NEXT) | instid1(VALU_DEP_2)
	v_add_co_u32 v3, vcc_lo, v3, v7
	v_add_co_ci_u32_e32 v3, vcc_lo, v5, v8, vcc_lo
	v_add_co_ci_u32_e32 v5, vcc_lo, 0, v10, vcc_lo
	s_delay_alu instid0(VALU_DEP_2) | instskip(NEXT) | instid1(VALU_DEP_2)
	v_add_co_u32 v3, vcc_lo, v3, v9
	v_add_co_ci_u32_e32 v7, vcc_lo, 0, v5, vcc_lo
	s_delay_alu instid0(VALU_DEP_2) | instskip(SKIP_1) | instid1(VALU_DEP_3)
	v_mul_lo_u32 v8, s19, v3
	v_mad_u64_u32 v[5:6], null, s18, v3, 0
	v_mul_lo_u32 v9, s18, v7
	s_delay_alu instid0(VALU_DEP_2) | instskip(NEXT) | instid1(VALU_DEP_2)
	v_sub_co_u32 v5, vcc_lo, v11, v5
	v_add3_u32 v6, v6, v9, v8
	s_delay_alu instid0(VALU_DEP_1) | instskip(NEXT) | instid1(VALU_DEP_1)
	v_sub_nc_u32_e32 v8, v14, v6
	v_subrev_co_ci_u32_e64 v8, s0, s19, v8, vcc_lo
	v_add_co_u32 v9, s0, v3, 2
	s_delay_alu instid0(VALU_DEP_1) | instskip(SKIP_3) | instid1(VALU_DEP_3)
	v_add_co_ci_u32_e64 v10, s0, 0, v7, s0
	v_sub_co_u32 v11, s0, v5, s18
	v_sub_co_ci_u32_e32 v6, vcc_lo, v14, v6, vcc_lo
	v_subrev_co_ci_u32_e64 v8, s0, 0, v8, s0
	v_cmp_le_u32_e32 vcc_lo, s18, v11
	s_delay_alu instid0(VALU_DEP_3) | instskip(SKIP_1) | instid1(VALU_DEP_4)
	v_cmp_eq_u32_e64 s0, s19, v6
	v_cndmask_b32_e64 v11, 0, -1, vcc_lo
	v_cmp_le_u32_e32 vcc_lo, s19, v8
	v_cndmask_b32_e64 v13, 0, -1, vcc_lo
	v_cmp_le_u32_e32 vcc_lo, s18, v5
	;; [unrolled: 2-line block ×3, first 2 shown]
	v_cndmask_b32_e64 v14, 0, -1, vcc_lo
	v_cmp_eq_u32_e32 vcc_lo, s19, v8
	s_delay_alu instid0(VALU_DEP_2) | instskip(SKIP_3) | instid1(VALU_DEP_3)
	v_cndmask_b32_e64 v5, v14, v5, s0
	v_cndmask_b32_e32 v8, v13, v11, vcc_lo
	v_add_co_u32 v11, vcc_lo, v3, 1
	v_add_co_ci_u32_e32 v13, vcc_lo, 0, v7, vcc_lo
	v_cmp_ne_u32_e32 vcc_lo, 0, v8
	s_delay_alu instid0(VALU_DEP_3) | instskip(NEXT) | instid1(VALU_DEP_3)
	v_cndmask_b32_e32 v8, v11, v9, vcc_lo
	v_cndmask_b32_e32 v6, v13, v10, vcc_lo
	v_cmp_ne_u32_e32 vcc_lo, 0, v5
	v_xor_b32_e32 v5, s16, v12
	s_delay_alu instid0(VALU_DEP_4) | instskip(NEXT) | instid1(VALU_DEP_4)
	v_cndmask_b32_e32 v3, v3, v8, vcc_lo
	v_cndmask_b32_e32 v6, v7, v6, vcc_lo
	v_xor_b32_e32 v7, s17, v12
	s_delay_alu instid0(VALU_DEP_3) | instskip(NEXT) | instid1(VALU_DEP_2)
	v_xor_b32_e32 v3, v3, v5
	v_xor_b32_e32 v8, v6, v7
	s_delay_alu instid0(VALU_DEP_2) | instskip(NEXT) | instid1(VALU_DEP_2)
	v_sub_co_u32 v6, vcc_lo, v3, v5
	v_sub_co_ci_u32_e32 v7, vcc_lo, v8, v7, vcc_lo
.LBB52_9:                               ;   in Loop: Header=BB52_3 Depth=1
	s_and_not1_saveexec_b32 s0, s14
	s_cbranch_execz .LBB52_11
; %bb.10:                               ;   in Loop: Header=BB52_3 Depth=1
	v_cvt_f32_u32_e32 v3, s28
	s_sub_i32 s14, 0, s28
	s_delay_alu instid0(VALU_DEP_1) | instskip(SKIP_2) | instid1(VALU_DEP_1)
	v_rcp_iflag_f32_e32 v3, v3
	s_waitcnt_depctr 0xfff
	v_mul_f32_e32 v3, 0x4f7ffffe, v3
	v_cvt_u32_f32_e32 v3, v3
	s_delay_alu instid0(VALU_DEP_1) | instskip(NEXT) | instid1(VALU_DEP_1)
	v_mul_lo_u32 v5, s14, v3
	v_mul_hi_u32 v5, v3, v5
	s_delay_alu instid0(VALU_DEP_1) | instskip(NEXT) | instid1(VALU_DEP_1)
	v_add_nc_u32_e32 v3, v3, v5
	v_mul_hi_u32 v3, v4, v3
	s_delay_alu instid0(VALU_DEP_1) | instskip(SKIP_1) | instid1(VALU_DEP_2)
	v_mul_lo_u32 v5, v3, s28
	v_add_nc_u32_e32 v6, 1, v3
	v_sub_nc_u32_e32 v5, v4, v5
	s_delay_alu instid0(VALU_DEP_1) | instskip(SKIP_1) | instid1(VALU_DEP_2)
	v_subrev_nc_u32_e32 v7, s28, v5
	v_cmp_le_u32_e32 vcc_lo, s28, v5
	v_cndmask_b32_e32 v5, v5, v7, vcc_lo
	v_mov_b32_e32 v7, v2
	v_cndmask_b32_e32 v3, v3, v6, vcc_lo
	s_delay_alu instid0(VALU_DEP_3) | instskip(NEXT) | instid1(VALU_DEP_2)
	v_cmp_le_u32_e32 vcc_lo, s28, v5
	v_add_nc_u32_e32 v6, 1, v3
	s_delay_alu instid0(VALU_DEP_1)
	v_cndmask_b32_e32 v6, v3, v6, vcc_lo
.LBB52_11:                              ;   in Loop: Header=BB52_3 Depth=1
	s_or_b32 exec_lo, exec_lo, s0
	v_mad_u64_u32 v[8:9], null, v4, s24, 0
	s_delay_alu instid0(VALU_DEP_2) | instskip(SKIP_1) | instid1(VALU_DEP_2)
	v_mad_u64_u32 v[9:10], null, v6, s28, 0
	s_mov_b32 s39, exec_lo
	v_sub_co_u32 v26, null, v0, v8
	s_delay_alu instid0(VALU_DEP_2) | instskip(NEXT) | instid1(VALU_DEP_1)
	v_sub_co_u32 v25, null, v4, v9
	v_sub_nc_u32_e32 v3, v26, v25
	s_delay_alu instid0(VALU_DEP_1) | instskip(NEXT) | instid1(VALU_DEP_1)
	v_ashrrev_i32_e32 v4, 31, v3
	v_cmpx_gt_i64_e64 s[4:5], v[3:4]
	s_cbranch_execz .LBB52_2
; %bb.12:                               ;   in Loop: Header=BB52_3 Depth=1
	s_clause 0x1
	s_load_b32 s40, s[8:9], 0x0
	s_load_b32 s0, s[10:11], 0x0
	s_and_not1_b32 vcc_lo, exec_lo, s37
	s_waitcnt lgkmcnt(0)
	v_mul_lo_u32 v3, s40, v26
	s_delay_alu instid0(VALU_DEP_1)
	v_mad_u64_u32 v[4:5], null, s0, v25, v[3:4]
	s_cbranch_vccnz .LBB52_58
; %bb.13:                               ;   in Loop: Header=BB52_3 Depth=1
	s_and_not1_b32 vcc_lo, exec_lo, s35
	s_cbranch_vccnz .LBB52_21
; %bb.14:                               ;   in Loop: Header=BB52_3 Depth=1
	v_dual_mov_b32 v9, v7 :: v_dual_mov_b32 v8, v6
	s_mov_b32 s22, s33
	s_mov_b32 s14, s31
.LBB52_15:                              ;   Parent Loop BB52_3 Depth=1
                                        ; =>  This Inner Loop Header: Depth=2
	s_delay_alu instid0(SALU_CYCLE_1) | instskip(NEXT) | instid1(SALU_CYCLE_1)
	s_lshl_b64 s[16:17], s[14:15], 2
                                        ; implicit-def: $vgpr6_vgpr7
	s_add_u32 s18, s26, s16
	s_addc_u32 s19, s27, s17
	s_load_b32 s23, s[18:19], 0x0
	s_mov_b32 s18, exec_lo
	s_waitcnt lgkmcnt(0)
	s_ashr_i32 s0, s23, 31
	s_delay_alu instid0(SALU_CYCLE_1) | instskip(NEXT) | instid1(VALU_DEP_1)
	v_or_b32_e32 v3, s0, v9
	v_cmpx_ne_u64_e32 0, v[2:3]
	s_xor_b32 s41, exec_lo, s18
	s_cbranch_execz .LBB52_17
; %bb.16:                               ;   in Loop: Header=BB52_15 Depth=2
	s_add_u32 s20, s23, s0
	s_mov_b32 s18, s0
	s_mov_b32 s19, s0
	s_addc_u32 s21, s0, s0
	s_delay_alu instid0(SALU_CYCLE_1) | instskip(NEXT) | instid1(SALU_CYCLE_1)
	s_xor_b64 s[20:21], s[20:21], s[18:19]
	v_cvt_f32_u32_e32 v3, s20
	v_cvt_f32_u32_e32 v5, s21
	s_sub_u32 s0, 0, s20
	s_subb_u32 s42, 0, s21
	s_delay_alu instid0(VALU_DEP_1) | instskip(NEXT) | instid1(VALU_DEP_1)
	v_fmac_f32_e32 v3, 0x4f800000, v5
	v_rcp_f32_e32 v3, v3
	s_waitcnt_depctr 0xfff
	v_mul_f32_e32 v3, 0x5f7ffffc, v3
	s_delay_alu instid0(VALU_DEP_1) | instskip(NEXT) | instid1(VALU_DEP_1)
	v_mul_f32_e32 v5, 0x2f800000, v3
	v_trunc_f32_e32 v5, v5
	s_delay_alu instid0(VALU_DEP_1) | instskip(SKIP_1) | instid1(VALU_DEP_2)
	v_fmac_f32_e32 v3, 0xcf800000, v5
	v_cvt_u32_f32_e32 v5, v5
	v_cvt_u32_f32_e32 v3, v3
	s_delay_alu instid0(VALU_DEP_2) | instskip(NEXT) | instid1(VALU_DEP_2)
	v_mul_lo_u32 v6, s0, v5
	v_mul_hi_u32 v7, s0, v3
	v_mul_lo_u32 v10, s42, v3
	s_delay_alu instid0(VALU_DEP_2) | instskip(SKIP_1) | instid1(VALU_DEP_2)
	v_add_nc_u32_e32 v6, v7, v6
	v_mul_lo_u32 v7, s0, v3
	v_add_nc_u32_e32 v6, v6, v10
	s_delay_alu instid0(VALU_DEP_2) | instskip(NEXT) | instid1(VALU_DEP_2)
	v_mul_hi_u32 v10, v3, v7
	v_mul_lo_u32 v11, v3, v6
	v_mul_hi_u32 v12, v3, v6
	v_mul_hi_u32 v13, v5, v7
	v_mul_lo_u32 v7, v5, v7
	v_mul_hi_u32 v14, v5, v6
	v_mul_lo_u32 v6, v5, v6
	v_add_co_u32 v10, vcc_lo, v10, v11
	v_add_co_ci_u32_e32 v11, vcc_lo, 0, v12, vcc_lo
	s_delay_alu instid0(VALU_DEP_2) | instskip(NEXT) | instid1(VALU_DEP_2)
	v_add_co_u32 v7, vcc_lo, v10, v7
	v_add_co_ci_u32_e32 v7, vcc_lo, v11, v13, vcc_lo
	v_add_co_ci_u32_e32 v10, vcc_lo, 0, v14, vcc_lo
	v_ashrrev_i32_e32 v13, 31, v9
	s_delay_alu instid0(VALU_DEP_3) | instskip(NEXT) | instid1(VALU_DEP_3)
	v_add_co_u32 v6, vcc_lo, v7, v6
	v_add_co_ci_u32_e32 v7, vcc_lo, 0, v10, vcc_lo
	s_delay_alu instid0(VALU_DEP_2) | instskip(NEXT) | instid1(VALU_DEP_2)
	v_add_co_u32 v3, vcc_lo, v3, v6
	v_add_co_ci_u32_e32 v5, vcc_lo, v5, v7, vcc_lo
	s_delay_alu instid0(VALU_DEP_2) | instskip(SKIP_1) | instid1(VALU_DEP_3)
	v_mul_hi_u32 v6, s0, v3
	v_mul_lo_u32 v10, s42, v3
	v_mul_lo_u32 v7, s0, v5
	s_delay_alu instid0(VALU_DEP_1) | instskip(SKIP_1) | instid1(VALU_DEP_2)
	v_add_nc_u32_e32 v6, v6, v7
	v_mul_lo_u32 v7, s0, v3
	v_add_nc_u32_e32 v6, v6, v10
	s_delay_alu instid0(VALU_DEP_2) | instskip(NEXT) | instid1(VALU_DEP_2)
	v_mul_hi_u32 v10, v3, v7
	v_mul_lo_u32 v11, v3, v6
	v_mul_hi_u32 v12, v3, v6
	v_mul_hi_u32 v14, v5, v7
	v_mul_lo_u32 v7, v5, v7
	v_mul_hi_u32 v15, v5, v6
	v_mul_lo_u32 v6, v5, v6
	v_add_co_u32 v10, vcc_lo, v10, v11
	v_add_co_ci_u32_e32 v11, vcc_lo, 0, v12, vcc_lo
	s_delay_alu instid0(VALU_DEP_2) | instskip(NEXT) | instid1(VALU_DEP_2)
	v_add_co_u32 v7, vcc_lo, v10, v7
	v_add_co_ci_u32_e32 v7, vcc_lo, v11, v14, vcc_lo
	v_add_co_ci_u32_e32 v10, vcc_lo, 0, v15, vcc_lo
	v_add_co_u32 v11, vcc_lo, v8, v13
	v_add_co_ci_u32_e32 v9, vcc_lo, v9, v13, vcc_lo
	s_delay_alu instid0(VALU_DEP_4) | instskip(NEXT) | instid1(VALU_DEP_4)
	v_add_co_u32 v6, vcc_lo, v7, v6
	v_add_co_ci_u32_e32 v7, vcc_lo, 0, v10, vcc_lo
	s_delay_alu instid0(VALU_DEP_4) | instskip(NEXT) | instid1(VALU_DEP_3)
	v_xor_b32_e32 v14, v11, v13
	v_add_co_u32 v3, vcc_lo, v3, v6
	s_delay_alu instid0(VALU_DEP_3) | instskip(SKIP_1) | instid1(VALU_DEP_3)
	v_add_co_ci_u32_e32 v7, vcc_lo, v5, v7, vcc_lo
	v_xor_b32_e32 v15, v9, v13
	v_mul_hi_u32 v16, v14, v3
	s_delay_alu instid0(VALU_DEP_3) | instskip(NEXT) | instid1(VALU_DEP_3)
	v_mad_u64_u32 v[5:6], null, v14, v7, 0
	v_mad_u64_u32 v[9:10], null, v15, v3, 0
	;; [unrolled: 1-line block ×3, first 2 shown]
	s_delay_alu instid0(VALU_DEP_3) | instskip(NEXT) | instid1(VALU_DEP_4)
	v_add_co_u32 v3, vcc_lo, v16, v5
	v_add_co_ci_u32_e32 v5, vcc_lo, 0, v6, vcc_lo
	s_delay_alu instid0(VALU_DEP_2) | instskip(NEXT) | instid1(VALU_DEP_2)
	v_add_co_u32 v3, vcc_lo, v3, v9
	v_add_co_ci_u32_e32 v3, vcc_lo, v5, v10, vcc_lo
	v_add_co_ci_u32_e32 v5, vcc_lo, 0, v12, vcc_lo
	s_delay_alu instid0(VALU_DEP_2) | instskip(NEXT) | instid1(VALU_DEP_2)
	v_add_co_u32 v3, vcc_lo, v3, v11
	v_add_co_ci_u32_e32 v7, vcc_lo, 0, v5, vcc_lo
	s_delay_alu instid0(VALU_DEP_2) | instskip(SKIP_1) | instid1(VALU_DEP_3)
	v_mul_lo_u32 v9, s21, v3
	v_mad_u64_u32 v[5:6], null, s20, v3, 0
	v_mul_lo_u32 v10, s20, v7
	s_delay_alu instid0(VALU_DEP_2) | instskip(NEXT) | instid1(VALU_DEP_2)
	v_sub_co_u32 v5, vcc_lo, v14, v5
	v_add3_u32 v6, v6, v10, v9
	s_delay_alu instid0(VALU_DEP_1) | instskip(NEXT) | instid1(VALU_DEP_1)
	v_sub_nc_u32_e32 v9, v15, v6
	v_subrev_co_ci_u32_e64 v9, s0, s21, v9, vcc_lo
	v_add_co_u32 v10, s0, v3, 2
	s_delay_alu instid0(VALU_DEP_1) | instskip(SKIP_3) | instid1(VALU_DEP_3)
	v_add_co_ci_u32_e64 v11, s0, 0, v7, s0
	v_sub_co_u32 v12, s0, v5, s20
	v_sub_co_ci_u32_e32 v6, vcc_lo, v15, v6, vcc_lo
	v_subrev_co_ci_u32_e64 v9, s0, 0, v9, s0
	v_cmp_le_u32_e32 vcc_lo, s20, v12
	s_delay_alu instid0(VALU_DEP_3) | instskip(SKIP_1) | instid1(VALU_DEP_4)
	v_cmp_eq_u32_e64 s0, s21, v6
	v_cndmask_b32_e64 v12, 0, -1, vcc_lo
	v_cmp_le_u32_e32 vcc_lo, s21, v9
	v_cndmask_b32_e64 v14, 0, -1, vcc_lo
	v_cmp_le_u32_e32 vcc_lo, s20, v5
	;; [unrolled: 2-line block ×3, first 2 shown]
	v_cndmask_b32_e64 v15, 0, -1, vcc_lo
	v_cmp_eq_u32_e32 vcc_lo, s21, v9
	s_delay_alu instid0(VALU_DEP_2) | instskip(SKIP_3) | instid1(VALU_DEP_3)
	v_cndmask_b32_e64 v5, v15, v5, s0
	v_cndmask_b32_e32 v9, v14, v12, vcc_lo
	v_add_co_u32 v12, vcc_lo, v3, 1
	v_add_co_ci_u32_e32 v14, vcc_lo, 0, v7, vcc_lo
	v_cmp_ne_u32_e32 vcc_lo, 0, v9
	s_delay_alu instid0(VALU_DEP_2) | instskip(SKIP_2) | instid1(VALU_DEP_3)
	v_dual_cndmask_b32 v6, v14, v11 :: v_dual_cndmask_b32 v9, v12, v10
	v_cmp_ne_u32_e32 vcc_lo, 0, v5
	v_xor_b32_e32 v5, s18, v13
	v_cndmask_b32_e32 v3, v3, v9, vcc_lo
	s_delay_alu instid0(VALU_DEP_4) | instskip(SKIP_1) | instid1(VALU_DEP_3)
	v_cndmask_b32_e32 v6, v7, v6, vcc_lo
	v_xor_b32_e32 v7, s19, v13
	v_xor_b32_e32 v3, v3, v5
	s_delay_alu instid0(VALU_DEP_2) | instskip(NEXT) | instid1(VALU_DEP_2)
	v_xor_b32_e32 v9, v6, v7
	v_sub_co_u32 v6, vcc_lo, v3, v5
	s_delay_alu instid0(VALU_DEP_2)
	v_sub_co_ci_u32_e32 v7, vcc_lo, v9, v7, vcc_lo
.LBB52_17:                              ;   in Loop: Header=BB52_15 Depth=2
	s_and_not1_saveexec_b32 s0, s41
	s_cbranch_execz .LBB52_19
; %bb.18:                               ;   in Loop: Header=BB52_15 Depth=2
	v_cvt_f32_u32_e32 v3, s23
	s_sub_i32 s18, 0, s23
	s_delay_alu instid0(VALU_DEP_1) | instskip(SKIP_2) | instid1(VALU_DEP_1)
	v_rcp_iflag_f32_e32 v3, v3
	s_waitcnt_depctr 0xfff
	v_mul_f32_e32 v3, 0x4f7ffffe, v3
	v_cvt_u32_f32_e32 v3, v3
	s_delay_alu instid0(VALU_DEP_1) | instskip(NEXT) | instid1(VALU_DEP_1)
	v_mul_lo_u32 v5, s18, v3
	v_mul_hi_u32 v5, v3, v5
	s_delay_alu instid0(VALU_DEP_1) | instskip(NEXT) | instid1(VALU_DEP_1)
	v_add_nc_u32_e32 v3, v3, v5
	v_mul_hi_u32 v3, v8, v3
	s_delay_alu instid0(VALU_DEP_1) | instskip(SKIP_1) | instid1(VALU_DEP_2)
	v_mul_lo_u32 v5, v3, s23
	v_add_nc_u32_e32 v6, 1, v3
	v_sub_nc_u32_e32 v5, v8, v5
	s_delay_alu instid0(VALU_DEP_1) | instskip(SKIP_1) | instid1(VALU_DEP_2)
	v_subrev_nc_u32_e32 v7, s23, v5
	v_cmp_le_u32_e32 vcc_lo, s23, v5
	v_cndmask_b32_e32 v5, v5, v7, vcc_lo
	v_mov_b32_e32 v7, v2
	v_cndmask_b32_e32 v3, v3, v6, vcc_lo
	s_delay_alu instid0(VALU_DEP_3) | instskip(NEXT) | instid1(VALU_DEP_2)
	v_cmp_le_u32_e32 vcc_lo, s23, v5
	v_add_nc_u32_e32 v6, 1, v3
	s_delay_alu instid0(VALU_DEP_1)
	v_cndmask_b32_e32 v6, v3, v6, vcc_lo
.LBB52_19:                              ;   in Loop: Header=BB52_15 Depth=2
	s_or_b32 exec_lo, exec_lo, s0
	s_add_u32 s16, s30, s16
	s_addc_u32 s17, s1, s17
	s_delay_alu instid0(VALU_DEP_1) | instskip(SKIP_4) | instid1(VALU_DEP_1)
	v_mul_lo_u32 v3, v6, s23
	s_load_b32 s0, s[16:17], 0x0
	s_add_i32 s22, s22, -1
	s_add_i32 s14, s14, -1
	s_cmp_lg_u32 s22, 0
	v_sub_nc_u32_e32 v3, v8, v3
	s_waitcnt lgkmcnt(0)
	s_delay_alu instid0(VALU_DEP_1) | instskip(NEXT) | instid1(VALU_DEP_1)
	v_mad_u64_u32 v[8:9], null, s0, v3, v[4:5]
	v_mov_b32_e32 v4, v8
	s_cbranch_scc0 .LBB52_22
; %bb.20:                               ;   in Loop: Header=BB52_15 Depth=2
	v_dual_mov_b32 v9, v7 :: v_dual_mov_b32 v8, v6
	s_branch .LBB52_15
.LBB52_21:                              ;   in Loop: Header=BB52_3 Depth=1
	s_mov_b32 s14, s31
.LBB52_22:                              ;   in Loop: Header=BB52_3 Depth=1
	s_and_not1_b32 vcc_lo, exec_lo, s36
	s_cbranch_vccnz .LBB52_58
; %bb.23:                               ;   in Loop: Header=BB52_3 Depth=1
	s_add_i32 s16, s14, -7
.LBB52_24:                              ;   Parent Loop BB52_3 Depth=1
                                        ; =>  This Inner Loop Header: Depth=2
	s_delay_alu instid0(SALU_CYCLE_1) | instskip(NEXT) | instid1(SALU_CYCLE_1)
	s_add_i32 s14, s16, 7
                                        ; implicit-def: $vgpr8_vgpr9
	s_lshl_b64 s[18:19], s[14:15], 2
	s_mov_b32 s14, exec_lo
	s_add_u32 s20, s26, s18
	s_addc_u32 s21, s27, s19
	s_load_b32 s41, s[20:21], 0x0
	s_waitcnt lgkmcnt(0)
	s_ashr_i32 s0, s41, 31
	s_delay_alu instid0(SALU_CYCLE_1) | instskip(NEXT) | instid1(VALU_DEP_1)
	v_or_b32_e32 v3, s0, v7
	v_cmpx_ne_u64_e32 0, v[2:3]
	s_xor_b32 s14, exec_lo, s14
	s_cbranch_execz .LBB52_26
; %bb.25:                               ;   in Loop: Header=BB52_24 Depth=2
	s_add_u32 s22, s41, s0
	s_mov_b32 s20, s0
	s_mov_b32 s21, s0
	s_addc_u32 s23, s0, s0
	s_delay_alu instid0(SALU_CYCLE_1) | instskip(NEXT) | instid1(SALU_CYCLE_1)
	s_xor_b64 s[22:23], s[22:23], s[20:21]
	v_cvt_f32_u32_e32 v3, s22
	v_cvt_f32_u32_e32 v5, s23
	s_sub_u32 s0, 0, s22
	s_subb_u32 s17, 0, s23
	s_delay_alu instid0(VALU_DEP_1) | instskip(NEXT) | instid1(VALU_DEP_1)
	v_fmac_f32_e32 v3, 0x4f800000, v5
	v_rcp_f32_e32 v3, v3
	s_waitcnt_depctr 0xfff
	v_mul_f32_e32 v3, 0x5f7ffffc, v3
	s_delay_alu instid0(VALU_DEP_1) | instskip(NEXT) | instid1(VALU_DEP_1)
	v_mul_f32_e32 v5, 0x2f800000, v3
	v_trunc_f32_e32 v5, v5
	s_delay_alu instid0(VALU_DEP_1) | instskip(SKIP_1) | instid1(VALU_DEP_2)
	v_fmac_f32_e32 v3, 0xcf800000, v5
	v_cvt_u32_f32_e32 v5, v5
	v_cvt_u32_f32_e32 v3, v3
	s_delay_alu instid0(VALU_DEP_2) | instskip(NEXT) | instid1(VALU_DEP_2)
	v_mul_lo_u32 v8, s0, v5
	v_mul_hi_u32 v9, s0, v3
	v_mul_lo_u32 v10, s17, v3
	s_delay_alu instid0(VALU_DEP_2) | instskip(SKIP_1) | instid1(VALU_DEP_2)
	v_add_nc_u32_e32 v8, v9, v8
	v_mul_lo_u32 v9, s0, v3
	v_add_nc_u32_e32 v8, v8, v10
	s_delay_alu instid0(VALU_DEP_2) | instskip(NEXT) | instid1(VALU_DEP_2)
	v_mul_hi_u32 v10, v3, v9
	v_mul_lo_u32 v11, v3, v8
	v_mul_hi_u32 v12, v3, v8
	v_mul_hi_u32 v13, v5, v9
	v_mul_lo_u32 v9, v5, v9
	v_mul_hi_u32 v14, v5, v8
	v_mul_lo_u32 v8, v5, v8
	v_add_co_u32 v10, vcc_lo, v10, v11
	v_add_co_ci_u32_e32 v11, vcc_lo, 0, v12, vcc_lo
	s_delay_alu instid0(VALU_DEP_2) | instskip(NEXT) | instid1(VALU_DEP_2)
	v_add_co_u32 v9, vcc_lo, v10, v9
	v_add_co_ci_u32_e32 v9, vcc_lo, v11, v13, vcc_lo
	v_add_co_ci_u32_e32 v10, vcc_lo, 0, v14, vcc_lo
	v_ashrrev_i32_e32 v13, 31, v7
	s_delay_alu instid0(VALU_DEP_3) | instskip(NEXT) | instid1(VALU_DEP_3)
	v_add_co_u32 v8, vcc_lo, v9, v8
	v_add_co_ci_u32_e32 v9, vcc_lo, 0, v10, vcc_lo
	s_delay_alu instid0(VALU_DEP_2) | instskip(NEXT) | instid1(VALU_DEP_2)
	v_add_co_u32 v3, vcc_lo, v3, v8
	v_add_co_ci_u32_e32 v5, vcc_lo, v5, v9, vcc_lo
	s_delay_alu instid0(VALU_DEP_2) | instskip(SKIP_1) | instid1(VALU_DEP_3)
	v_mul_hi_u32 v8, s0, v3
	v_mul_lo_u32 v10, s17, v3
	v_mul_lo_u32 v9, s0, v5
	s_delay_alu instid0(VALU_DEP_1) | instskip(SKIP_1) | instid1(VALU_DEP_2)
	v_add_nc_u32_e32 v8, v8, v9
	v_mul_lo_u32 v9, s0, v3
	v_add_nc_u32_e32 v8, v8, v10
	s_delay_alu instid0(VALU_DEP_2) | instskip(NEXT) | instid1(VALU_DEP_2)
	v_mul_hi_u32 v10, v3, v9
	v_mul_lo_u32 v11, v3, v8
	v_mul_hi_u32 v12, v3, v8
	v_mul_hi_u32 v14, v5, v9
	v_mul_lo_u32 v9, v5, v9
	v_mul_hi_u32 v15, v5, v8
	v_mul_lo_u32 v8, v5, v8
	v_add_co_u32 v10, vcc_lo, v10, v11
	v_add_co_ci_u32_e32 v11, vcc_lo, 0, v12, vcc_lo
	s_delay_alu instid0(VALU_DEP_2) | instskip(NEXT) | instid1(VALU_DEP_2)
	v_add_co_u32 v9, vcc_lo, v10, v9
	v_add_co_ci_u32_e32 v9, vcc_lo, v11, v14, vcc_lo
	v_add_co_ci_u32_e32 v10, vcc_lo, 0, v15, vcc_lo
	v_add_co_u32 v11, vcc_lo, v6, v13
	v_add_co_ci_u32_e32 v7, vcc_lo, v7, v13, vcc_lo
	s_delay_alu instid0(VALU_DEP_4) | instskip(NEXT) | instid1(VALU_DEP_4)
	v_add_co_u32 v8, vcc_lo, v9, v8
	v_add_co_ci_u32_e32 v9, vcc_lo, 0, v10, vcc_lo
	s_delay_alu instid0(VALU_DEP_4) | instskip(NEXT) | instid1(VALU_DEP_3)
	v_xor_b32_e32 v14, v11, v13
	v_add_co_u32 v3, vcc_lo, v3, v8
	s_delay_alu instid0(VALU_DEP_3) | instskip(SKIP_1) | instid1(VALU_DEP_3)
	v_add_co_ci_u32_e32 v5, vcc_lo, v5, v9, vcc_lo
	v_xor_b32_e32 v15, v7, v13
	v_mul_hi_u32 v16, v14, v3
	s_delay_alu instid0(VALU_DEP_3) | instskip(NEXT) | instid1(VALU_DEP_3)
	v_mad_u64_u32 v[7:8], null, v14, v5, 0
	v_mad_u64_u32 v[9:10], null, v15, v3, 0
	;; [unrolled: 1-line block ×3, first 2 shown]
	s_delay_alu instid0(VALU_DEP_3) | instskip(NEXT) | instid1(VALU_DEP_4)
	v_add_co_u32 v3, vcc_lo, v16, v7
	v_add_co_ci_u32_e32 v5, vcc_lo, 0, v8, vcc_lo
	s_delay_alu instid0(VALU_DEP_2) | instskip(NEXT) | instid1(VALU_DEP_2)
	v_add_co_u32 v3, vcc_lo, v3, v9
	v_add_co_ci_u32_e32 v3, vcc_lo, v5, v10, vcc_lo
	v_add_co_ci_u32_e32 v5, vcc_lo, 0, v12, vcc_lo
	s_delay_alu instid0(VALU_DEP_2) | instskip(NEXT) | instid1(VALU_DEP_2)
	v_add_co_u32 v3, vcc_lo, v3, v11
	v_add_co_ci_u32_e32 v5, vcc_lo, 0, v5, vcc_lo
	s_delay_alu instid0(VALU_DEP_2) | instskip(SKIP_1) | instid1(VALU_DEP_3)
	v_mul_lo_u32 v9, s23, v3
	v_mad_u64_u32 v[7:8], null, s22, v3, 0
	v_mul_lo_u32 v10, s22, v5
	s_delay_alu instid0(VALU_DEP_2) | instskip(NEXT) | instid1(VALU_DEP_2)
	v_sub_co_u32 v7, vcc_lo, v14, v7
	v_add3_u32 v8, v8, v10, v9
	s_delay_alu instid0(VALU_DEP_1) | instskip(NEXT) | instid1(VALU_DEP_1)
	v_sub_nc_u32_e32 v9, v15, v8
	v_subrev_co_ci_u32_e64 v9, s0, s23, v9, vcc_lo
	v_add_co_u32 v10, s0, v3, 2
	s_delay_alu instid0(VALU_DEP_1) | instskip(SKIP_3) | instid1(VALU_DEP_3)
	v_add_co_ci_u32_e64 v11, s0, 0, v5, s0
	v_sub_co_u32 v12, s0, v7, s22
	v_sub_co_ci_u32_e32 v8, vcc_lo, v15, v8, vcc_lo
	v_subrev_co_ci_u32_e64 v9, s0, 0, v9, s0
	v_cmp_le_u32_e32 vcc_lo, s22, v12
	s_delay_alu instid0(VALU_DEP_3) | instskip(SKIP_1) | instid1(VALU_DEP_4)
	v_cmp_eq_u32_e64 s0, s23, v8
	v_cndmask_b32_e64 v12, 0, -1, vcc_lo
	v_cmp_le_u32_e32 vcc_lo, s23, v9
	v_cndmask_b32_e64 v14, 0, -1, vcc_lo
	v_cmp_le_u32_e32 vcc_lo, s22, v7
	v_cndmask_b32_e64 v7, 0, -1, vcc_lo
	v_cmp_le_u32_e32 vcc_lo, s23, v8
	v_cndmask_b32_e64 v15, 0, -1, vcc_lo
	v_cmp_eq_u32_e32 vcc_lo, s23, v9
	s_delay_alu instid0(VALU_DEP_2) | instskip(SKIP_3) | instid1(VALU_DEP_3)
	v_cndmask_b32_e64 v7, v15, v7, s0
	v_cndmask_b32_e32 v9, v14, v12, vcc_lo
	v_add_co_u32 v12, vcc_lo, v3, 1
	v_add_co_ci_u32_e32 v14, vcc_lo, 0, v5, vcc_lo
	v_cmp_ne_u32_e32 vcc_lo, 0, v9
	s_delay_alu instid0(VALU_DEP_2) | instskip(SKIP_2) | instid1(VALU_DEP_3)
	v_dual_cndmask_b32 v8, v14, v11 :: v_dual_cndmask_b32 v9, v12, v10
	v_cmp_ne_u32_e32 vcc_lo, 0, v7
	v_xor_b32_e32 v7, s20, v13
	v_cndmask_b32_e32 v3, v3, v9, vcc_lo
	s_delay_alu instid0(VALU_DEP_4) | instskip(SKIP_1) | instid1(VALU_DEP_3)
	v_cndmask_b32_e32 v5, v5, v8, vcc_lo
	v_xor_b32_e32 v9, s21, v13
	v_xor_b32_e32 v3, v3, v7
	s_delay_alu instid0(VALU_DEP_2) | instskip(NEXT) | instid1(VALU_DEP_2)
	v_xor_b32_e32 v5, v5, v9
	v_sub_co_u32 v8, vcc_lo, v3, v7
	s_delay_alu instid0(VALU_DEP_2)
	v_sub_co_ci_u32_e32 v9, vcc_lo, v5, v9, vcc_lo
.LBB52_26:                              ;   in Loop: Header=BB52_24 Depth=2
	s_and_not1_saveexec_b32 s0, s14
	s_cbranch_execz .LBB52_28
; %bb.27:                               ;   in Loop: Header=BB52_24 Depth=2
	v_cvt_f32_u32_e32 v3, s41
	s_sub_i32 s14, 0, s41
	v_mov_b32_e32 v9, v2
	s_delay_alu instid0(VALU_DEP_2) | instskip(SKIP_2) | instid1(VALU_DEP_1)
	v_rcp_iflag_f32_e32 v3, v3
	s_waitcnt_depctr 0xfff
	v_mul_f32_e32 v3, 0x4f7ffffe, v3
	v_cvt_u32_f32_e32 v3, v3
	s_delay_alu instid0(VALU_DEP_1) | instskip(NEXT) | instid1(VALU_DEP_1)
	v_mul_lo_u32 v5, s14, v3
	v_mul_hi_u32 v5, v3, v5
	s_delay_alu instid0(VALU_DEP_1) | instskip(NEXT) | instid1(VALU_DEP_1)
	v_add_nc_u32_e32 v3, v3, v5
	v_mul_hi_u32 v3, v6, v3
	s_delay_alu instid0(VALU_DEP_1) | instskip(SKIP_1) | instid1(VALU_DEP_2)
	v_mul_lo_u32 v5, v3, s41
	v_add_nc_u32_e32 v7, 1, v3
	v_sub_nc_u32_e32 v5, v6, v5
	s_delay_alu instid0(VALU_DEP_1) | instskip(SKIP_1) | instid1(VALU_DEP_4)
	v_cmp_le_u32_e32 vcc_lo, s41, v5
	v_subrev_nc_u32_e32 v8, s41, v5
	v_cndmask_b32_e32 v3, v3, v7, vcc_lo
	s_delay_alu instid0(VALU_DEP_1) | instskip(NEXT) | instid1(VALU_DEP_3)
	v_add_nc_u32_e32 v7, 1, v3
	v_cndmask_b32_e32 v5, v5, v8, vcc_lo
	s_delay_alu instid0(VALU_DEP_1) | instskip(NEXT) | instid1(VALU_DEP_3)
	v_cmp_le_u32_e32 vcc_lo, s41, v5
	v_cndmask_b32_e32 v8, v3, v7, vcc_lo
.LBB52_28:                              ;   in Loop: Header=BB52_24 Depth=2
	s_or_b32 exec_lo, exec_lo, s0
	s_add_u32 s20, s30, s18
	s_addc_u32 s21, s1, s19
	s_add_i32 s14, s16, 6
                                        ; implicit-def: $vgpr10_vgpr11
	s_delay_alu instid0(SALU_CYCLE_1)
	s_lshl_b64 s[18:19], s[14:15], 2
	s_mov_b32 s14, exec_lo
	s_add_u32 s22, s26, s18
	s_addc_u32 s23, s27, s19
	s_clause 0x1
	s_load_b32 s43, s[22:23], 0x0
	s_load_b32 s42, s[20:21], 0x0
	s_waitcnt lgkmcnt(0)
	s_ashr_i32 s0, s43, 31
	s_delay_alu instid0(SALU_CYCLE_1) | instskip(NEXT) | instid1(VALU_DEP_1)
	v_or_b32_e32 v3, s0, v9
	v_cmpx_ne_u64_e32 0, v[2:3]
	s_xor_b32 s14, exec_lo, s14
	s_cbranch_execz .LBB52_30
; %bb.29:                               ;   in Loop: Header=BB52_24 Depth=2
	s_add_u32 s22, s43, s0
	s_mov_b32 s20, s0
	s_mov_b32 s21, s0
	s_addc_u32 s23, s0, s0
	s_delay_alu instid0(SALU_CYCLE_1) | instskip(NEXT) | instid1(SALU_CYCLE_1)
	s_xor_b64 s[22:23], s[22:23], s[20:21]
	v_cvt_f32_u32_e32 v3, s22
	v_cvt_f32_u32_e32 v5, s23
	s_sub_u32 s0, 0, s22
	s_subb_u32 s17, 0, s23
	s_delay_alu instid0(VALU_DEP_1) | instskip(NEXT) | instid1(VALU_DEP_1)
	v_fmac_f32_e32 v3, 0x4f800000, v5
	v_rcp_f32_e32 v3, v3
	s_waitcnt_depctr 0xfff
	v_mul_f32_e32 v3, 0x5f7ffffc, v3
	s_delay_alu instid0(VALU_DEP_1) | instskip(NEXT) | instid1(VALU_DEP_1)
	v_mul_f32_e32 v5, 0x2f800000, v3
	v_trunc_f32_e32 v5, v5
	s_delay_alu instid0(VALU_DEP_1) | instskip(SKIP_1) | instid1(VALU_DEP_2)
	v_fmac_f32_e32 v3, 0xcf800000, v5
	v_cvt_u32_f32_e32 v5, v5
	v_cvt_u32_f32_e32 v3, v3
	s_delay_alu instid0(VALU_DEP_2) | instskip(NEXT) | instid1(VALU_DEP_2)
	v_mul_lo_u32 v7, s0, v5
	v_mul_hi_u32 v10, s0, v3
	v_mul_lo_u32 v11, s17, v3
	s_delay_alu instid0(VALU_DEP_2) | instskip(SKIP_1) | instid1(VALU_DEP_2)
	v_add_nc_u32_e32 v7, v10, v7
	v_mul_lo_u32 v10, s0, v3
	v_add_nc_u32_e32 v7, v7, v11
	s_delay_alu instid0(VALU_DEP_2) | instskip(NEXT) | instid1(VALU_DEP_2)
	v_mul_hi_u32 v11, v3, v10
	v_mul_lo_u32 v12, v3, v7
	v_mul_hi_u32 v13, v3, v7
	v_mul_hi_u32 v14, v5, v10
	v_mul_lo_u32 v10, v5, v10
	v_mul_hi_u32 v15, v5, v7
	v_mul_lo_u32 v7, v5, v7
	v_add_co_u32 v11, vcc_lo, v11, v12
	v_add_co_ci_u32_e32 v12, vcc_lo, 0, v13, vcc_lo
	s_delay_alu instid0(VALU_DEP_2) | instskip(NEXT) | instid1(VALU_DEP_2)
	v_add_co_u32 v10, vcc_lo, v11, v10
	v_add_co_ci_u32_e32 v10, vcc_lo, v12, v14, vcc_lo
	v_add_co_ci_u32_e32 v11, vcc_lo, 0, v15, vcc_lo
	v_ashrrev_i32_e32 v15, 31, v9
	s_delay_alu instid0(VALU_DEP_3) | instskip(NEXT) | instid1(VALU_DEP_3)
	v_add_co_u32 v7, vcc_lo, v10, v7
	v_add_co_ci_u32_e32 v10, vcc_lo, 0, v11, vcc_lo
	s_delay_alu instid0(VALU_DEP_2) | instskip(NEXT) | instid1(VALU_DEP_2)
	v_add_co_u32 v3, vcc_lo, v3, v7
	v_add_co_ci_u32_e32 v5, vcc_lo, v5, v10, vcc_lo
	s_delay_alu instid0(VALU_DEP_2) | instskip(SKIP_1) | instid1(VALU_DEP_3)
	v_mul_hi_u32 v7, s0, v3
	v_mul_lo_u32 v11, s17, v3
	v_mul_lo_u32 v10, s0, v5
	s_delay_alu instid0(VALU_DEP_1) | instskip(SKIP_1) | instid1(VALU_DEP_2)
	v_add_nc_u32_e32 v7, v7, v10
	v_mul_lo_u32 v10, s0, v3
	v_add_nc_u32_e32 v7, v7, v11
	s_delay_alu instid0(VALU_DEP_2) | instskip(NEXT) | instid1(VALU_DEP_2)
	v_mul_hi_u32 v11, v3, v10
	v_mul_lo_u32 v12, v3, v7
	v_mul_hi_u32 v13, v3, v7
	v_mul_hi_u32 v14, v5, v10
	v_mul_lo_u32 v10, v5, v10
	v_mul_hi_u32 v16, v5, v7
	v_mul_lo_u32 v7, v5, v7
	v_add_co_u32 v11, vcc_lo, v11, v12
	v_add_co_ci_u32_e32 v12, vcc_lo, 0, v13, vcc_lo
	s_delay_alu instid0(VALU_DEP_2) | instskip(NEXT) | instid1(VALU_DEP_2)
	v_add_co_u32 v10, vcc_lo, v11, v10
	v_add_co_ci_u32_e32 v10, vcc_lo, v12, v14, vcc_lo
	v_add_co_ci_u32_e32 v11, vcc_lo, 0, v16, vcc_lo
	v_add_co_u32 v12, vcc_lo, v8, v15
	v_add_co_ci_u32_e32 v9, vcc_lo, v9, v15, vcc_lo
	s_delay_alu instid0(VALU_DEP_4) | instskip(NEXT) | instid1(VALU_DEP_4)
	v_add_co_u32 v7, vcc_lo, v10, v7
	v_add_co_ci_u32_e32 v10, vcc_lo, 0, v11, vcc_lo
	s_delay_alu instid0(VALU_DEP_4) | instskip(NEXT) | instid1(VALU_DEP_3)
	v_xor_b32_e32 v16, v12, v15
	v_add_co_u32 v3, vcc_lo, v3, v7
	s_delay_alu instid0(VALU_DEP_3) | instskip(SKIP_1) | instid1(VALU_DEP_3)
	v_add_co_ci_u32_e32 v5, vcc_lo, v5, v10, vcc_lo
	v_xor_b32_e32 v7, v9, v15
	v_mul_hi_u32 v17, v16, v3
	s_delay_alu instid0(VALU_DEP_3) | instskip(NEXT) | instid1(VALU_DEP_3)
	v_mad_u64_u32 v[9:10], null, v16, v5, 0
	v_mad_u64_u32 v[11:12], null, v7, v3, 0
	;; [unrolled: 1-line block ×3, first 2 shown]
	s_delay_alu instid0(VALU_DEP_3) | instskip(NEXT) | instid1(VALU_DEP_4)
	v_add_co_u32 v3, vcc_lo, v17, v9
	v_add_co_ci_u32_e32 v5, vcc_lo, 0, v10, vcc_lo
	s_delay_alu instid0(VALU_DEP_2) | instskip(NEXT) | instid1(VALU_DEP_2)
	v_add_co_u32 v3, vcc_lo, v3, v11
	v_add_co_ci_u32_e32 v3, vcc_lo, v5, v12, vcc_lo
	v_add_co_ci_u32_e32 v5, vcc_lo, 0, v14, vcc_lo
	s_delay_alu instid0(VALU_DEP_2) | instskip(NEXT) | instid1(VALU_DEP_2)
	v_add_co_u32 v3, vcc_lo, v3, v13
	v_add_co_ci_u32_e32 v5, vcc_lo, 0, v5, vcc_lo
	s_delay_alu instid0(VALU_DEP_2) | instskip(SKIP_1) | instid1(VALU_DEP_3)
	v_mul_lo_u32 v11, s23, v3
	v_mad_u64_u32 v[9:10], null, s22, v3, 0
	v_mul_lo_u32 v12, s22, v5
	s_delay_alu instid0(VALU_DEP_2) | instskip(NEXT) | instid1(VALU_DEP_2)
	v_sub_co_u32 v9, vcc_lo, v16, v9
	v_add3_u32 v10, v10, v12, v11
	s_delay_alu instid0(VALU_DEP_1) | instskip(NEXT) | instid1(VALU_DEP_1)
	v_sub_nc_u32_e32 v11, v7, v10
	v_subrev_co_ci_u32_e64 v11, s0, s23, v11, vcc_lo
	v_add_co_u32 v12, s0, v3, 2
	s_delay_alu instid0(VALU_DEP_1) | instskip(SKIP_3) | instid1(VALU_DEP_3)
	v_add_co_ci_u32_e64 v13, s0, 0, v5, s0
	v_sub_co_u32 v14, s0, v9, s22
	v_sub_co_ci_u32_e32 v7, vcc_lo, v7, v10, vcc_lo
	v_subrev_co_ci_u32_e64 v11, s0, 0, v11, s0
	v_cmp_le_u32_e32 vcc_lo, s22, v14
	s_delay_alu instid0(VALU_DEP_3) | instskip(SKIP_1) | instid1(VALU_DEP_4)
	v_cmp_eq_u32_e64 s0, s23, v7
	v_cndmask_b32_e64 v10, 0, -1, vcc_lo
	v_cmp_le_u32_e32 vcc_lo, s23, v11
	v_cndmask_b32_e64 v14, 0, -1, vcc_lo
	v_cmp_le_u32_e32 vcc_lo, s22, v9
	;; [unrolled: 2-line block ×3, first 2 shown]
	v_cndmask_b32_e64 v16, 0, -1, vcc_lo
	v_cmp_eq_u32_e32 vcc_lo, s23, v11
	s_delay_alu instid0(VALU_DEP_2) | instskip(SKIP_3) | instid1(VALU_DEP_3)
	v_cndmask_b32_e64 v7, v16, v9, s0
	v_cndmask_b32_e32 v10, v14, v10, vcc_lo
	v_add_co_u32 v11, vcc_lo, v3, 1
	v_add_co_ci_u32_e32 v14, vcc_lo, 0, v5, vcc_lo
	v_cmp_ne_u32_e32 vcc_lo, 0, v10
	s_delay_alu instid0(VALU_DEP_2) | instskip(SKIP_2) | instid1(VALU_DEP_3)
	v_dual_cndmask_b32 v10, v11, v12 :: v_dual_cndmask_b32 v9, v14, v13
	v_cmp_ne_u32_e32 vcc_lo, 0, v7
	v_xor_b32_e32 v7, s20, v15
	v_cndmask_b32_e32 v3, v3, v10, vcc_lo
	s_delay_alu instid0(VALU_DEP_4) | instskip(SKIP_1) | instid1(VALU_DEP_3)
	v_cndmask_b32_e32 v5, v5, v9, vcc_lo
	v_xor_b32_e32 v9, s21, v15
	v_xor_b32_e32 v3, v3, v7
	s_delay_alu instid0(VALU_DEP_2) | instskip(NEXT) | instid1(VALU_DEP_2)
	v_xor_b32_e32 v5, v5, v9
	v_sub_co_u32 v10, vcc_lo, v3, v7
	s_delay_alu instid0(VALU_DEP_2)
	v_sub_co_ci_u32_e32 v11, vcc_lo, v5, v9, vcc_lo
.LBB52_30:                              ;   in Loop: Header=BB52_24 Depth=2
	s_and_not1_saveexec_b32 s0, s14
	s_cbranch_execz .LBB52_32
; %bb.31:                               ;   in Loop: Header=BB52_24 Depth=2
	v_cvt_f32_u32_e32 v3, s43
	s_sub_i32 s14, 0, s43
	v_mov_b32_e32 v11, v2
	s_delay_alu instid0(VALU_DEP_2) | instskip(SKIP_2) | instid1(VALU_DEP_1)
	v_rcp_iflag_f32_e32 v3, v3
	s_waitcnt_depctr 0xfff
	v_mul_f32_e32 v3, 0x4f7ffffe, v3
	v_cvt_u32_f32_e32 v3, v3
	s_delay_alu instid0(VALU_DEP_1) | instskip(NEXT) | instid1(VALU_DEP_1)
	v_mul_lo_u32 v5, s14, v3
	v_mul_hi_u32 v5, v3, v5
	s_delay_alu instid0(VALU_DEP_1) | instskip(NEXT) | instid1(VALU_DEP_1)
	v_add_nc_u32_e32 v3, v3, v5
	v_mul_hi_u32 v3, v8, v3
	s_delay_alu instid0(VALU_DEP_1) | instskip(SKIP_1) | instid1(VALU_DEP_2)
	v_mul_lo_u32 v5, v3, s43
	v_add_nc_u32_e32 v7, 1, v3
	v_sub_nc_u32_e32 v5, v8, v5
	s_delay_alu instid0(VALU_DEP_1) | instskip(SKIP_1) | instid1(VALU_DEP_4)
	v_cmp_le_u32_e32 vcc_lo, s43, v5
	v_subrev_nc_u32_e32 v9, s43, v5
	v_cndmask_b32_e32 v3, v3, v7, vcc_lo
	s_delay_alu instid0(VALU_DEP_1) | instskip(NEXT) | instid1(VALU_DEP_3)
	v_add_nc_u32_e32 v7, 1, v3
	v_cndmask_b32_e32 v5, v5, v9, vcc_lo
	s_delay_alu instid0(VALU_DEP_1) | instskip(NEXT) | instid1(VALU_DEP_3)
	v_cmp_le_u32_e32 vcc_lo, s43, v5
	v_cndmask_b32_e32 v10, v3, v7, vcc_lo
.LBB52_32:                              ;   in Loop: Header=BB52_24 Depth=2
	s_or_b32 exec_lo, exec_lo, s0
	s_add_u32 s20, s30, s18
	s_addc_u32 s21, s1, s19
	s_add_i32 s14, s16, 5
                                        ; implicit-def: $vgpr12_vgpr13
	s_delay_alu instid0(SALU_CYCLE_1)
	s_lshl_b64 s[18:19], s[14:15], 2
	s_mov_b32 s14, exec_lo
	s_add_u32 s22, s26, s18
	s_addc_u32 s23, s27, s19
	s_clause 0x1
	s_load_b32 s45, s[22:23], 0x0
	s_load_b32 s44, s[20:21], 0x0
	s_waitcnt lgkmcnt(0)
	s_ashr_i32 s0, s45, 31
	s_delay_alu instid0(SALU_CYCLE_1) | instskip(NEXT) | instid1(VALU_DEP_1)
	v_or_b32_e32 v3, s0, v11
	v_cmpx_ne_u64_e32 0, v[2:3]
	s_xor_b32 s14, exec_lo, s14
	s_cbranch_execz .LBB52_34
; %bb.33:                               ;   in Loop: Header=BB52_24 Depth=2
	s_add_u32 s22, s45, s0
	s_mov_b32 s20, s0
	s_mov_b32 s21, s0
	s_addc_u32 s23, s0, s0
	v_ashrrev_i32_e32 v17, 31, v11
	s_xor_b64 s[22:23], s[22:23], s[20:21]
	s_delay_alu instid0(SALU_CYCLE_1) | instskip(SKIP_3) | instid1(VALU_DEP_1)
	v_cvt_f32_u32_e32 v3, s22
	v_cvt_f32_u32_e32 v5, s23
	s_sub_u32 s0, 0, s22
	s_subb_u32 s17, 0, s23
	v_fmac_f32_e32 v3, 0x4f800000, v5
	s_delay_alu instid0(VALU_DEP_1) | instskip(SKIP_2) | instid1(VALU_DEP_1)
	v_rcp_f32_e32 v3, v3
	s_waitcnt_depctr 0xfff
	v_mul_f32_e32 v3, 0x5f7ffffc, v3
	v_mul_f32_e32 v5, 0x2f800000, v3
	s_delay_alu instid0(VALU_DEP_1) | instskip(NEXT) | instid1(VALU_DEP_1)
	v_trunc_f32_e32 v5, v5
	v_fmac_f32_e32 v3, 0xcf800000, v5
	v_cvt_u32_f32_e32 v5, v5
	s_delay_alu instid0(VALU_DEP_2) | instskip(NEXT) | instid1(VALU_DEP_2)
	v_cvt_u32_f32_e32 v3, v3
	v_mul_lo_u32 v7, s0, v5
	s_delay_alu instid0(VALU_DEP_2) | instskip(SKIP_1) | instid1(VALU_DEP_2)
	v_mul_hi_u32 v9, s0, v3
	v_mul_lo_u32 v12, s17, v3
	v_add_nc_u32_e32 v7, v9, v7
	v_mul_lo_u32 v9, s0, v3
	s_delay_alu instid0(VALU_DEP_2) | instskip(NEXT) | instid1(VALU_DEP_2)
	v_add_nc_u32_e32 v7, v7, v12
	v_mul_hi_u32 v12, v3, v9
	s_delay_alu instid0(VALU_DEP_2)
	v_mul_lo_u32 v13, v3, v7
	v_mul_hi_u32 v14, v3, v7
	v_mul_hi_u32 v15, v5, v9
	v_mul_lo_u32 v9, v5, v9
	v_mul_hi_u32 v16, v5, v7
	v_mul_lo_u32 v7, v5, v7
	v_add_co_u32 v12, vcc_lo, v12, v13
	v_add_co_ci_u32_e32 v13, vcc_lo, 0, v14, vcc_lo
	s_delay_alu instid0(VALU_DEP_2) | instskip(NEXT) | instid1(VALU_DEP_2)
	v_add_co_u32 v9, vcc_lo, v12, v9
	v_add_co_ci_u32_e32 v9, vcc_lo, v13, v15, vcc_lo
	v_add_co_ci_u32_e32 v12, vcc_lo, 0, v16, vcc_lo
	s_delay_alu instid0(VALU_DEP_2) | instskip(NEXT) | instid1(VALU_DEP_2)
	v_add_co_u32 v7, vcc_lo, v9, v7
	v_add_co_ci_u32_e32 v9, vcc_lo, 0, v12, vcc_lo
	s_delay_alu instid0(VALU_DEP_2) | instskip(NEXT) | instid1(VALU_DEP_2)
	v_add_co_u32 v3, vcc_lo, v3, v7
	v_add_co_ci_u32_e32 v5, vcc_lo, v5, v9, vcc_lo
	s_delay_alu instid0(VALU_DEP_2) | instskip(SKIP_1) | instid1(VALU_DEP_3)
	v_mul_hi_u32 v7, s0, v3
	v_mul_lo_u32 v12, s17, v3
	v_mul_lo_u32 v9, s0, v5
	s_delay_alu instid0(VALU_DEP_1) | instskip(SKIP_1) | instid1(VALU_DEP_2)
	v_add_nc_u32_e32 v7, v7, v9
	v_mul_lo_u32 v9, s0, v3
	v_add_nc_u32_e32 v7, v7, v12
	s_delay_alu instid0(VALU_DEP_2) | instskip(NEXT) | instid1(VALU_DEP_2)
	v_mul_hi_u32 v12, v3, v9
	v_mul_lo_u32 v13, v3, v7
	v_mul_hi_u32 v14, v3, v7
	v_mul_hi_u32 v15, v5, v9
	v_mul_lo_u32 v9, v5, v9
	v_mul_hi_u32 v16, v5, v7
	v_mul_lo_u32 v7, v5, v7
	v_add_co_u32 v12, vcc_lo, v12, v13
	v_add_co_ci_u32_e32 v13, vcc_lo, 0, v14, vcc_lo
	s_delay_alu instid0(VALU_DEP_2) | instskip(NEXT) | instid1(VALU_DEP_2)
	v_add_co_u32 v9, vcc_lo, v12, v9
	v_add_co_ci_u32_e32 v9, vcc_lo, v13, v15, vcc_lo
	v_add_co_ci_u32_e32 v12, vcc_lo, 0, v16, vcc_lo
	v_add_co_u32 v13, vcc_lo, v10, v17
	v_add_co_ci_u32_e32 v11, vcc_lo, v11, v17, vcc_lo
	s_delay_alu instid0(VALU_DEP_4) | instskip(NEXT) | instid1(VALU_DEP_4)
	v_add_co_u32 v7, vcc_lo, v9, v7
	v_add_co_ci_u32_e32 v9, vcc_lo, 0, v12, vcc_lo
	s_delay_alu instid0(VALU_DEP_4) | instskip(NEXT) | instid1(VALU_DEP_3)
	v_xor_b32_e32 v18, v13, v17
	v_add_co_u32 v3, vcc_lo, v3, v7
	s_delay_alu instid0(VALU_DEP_3) | instskip(SKIP_1) | instid1(VALU_DEP_3)
	v_add_co_ci_u32_e32 v5, vcc_lo, v5, v9, vcc_lo
	v_xor_b32_e32 v7, v11, v17
	v_mul_hi_u32 v9, v18, v3
	s_delay_alu instid0(VALU_DEP_3) | instskip(NEXT) | instid1(VALU_DEP_3)
	v_mad_u64_u32 v[11:12], null, v18, v5, 0
	v_mad_u64_u32 v[13:14], null, v7, v3, 0
	;; [unrolled: 1-line block ×3, first 2 shown]
	s_delay_alu instid0(VALU_DEP_3) | instskip(NEXT) | instid1(VALU_DEP_4)
	v_add_co_u32 v3, vcc_lo, v9, v11
	v_add_co_ci_u32_e32 v5, vcc_lo, 0, v12, vcc_lo
	s_delay_alu instid0(VALU_DEP_2) | instskip(NEXT) | instid1(VALU_DEP_2)
	v_add_co_u32 v3, vcc_lo, v3, v13
	v_add_co_ci_u32_e32 v3, vcc_lo, v5, v14, vcc_lo
	v_add_co_ci_u32_e32 v5, vcc_lo, 0, v16, vcc_lo
	s_delay_alu instid0(VALU_DEP_2) | instskip(NEXT) | instid1(VALU_DEP_2)
	v_add_co_u32 v3, vcc_lo, v3, v15
	v_add_co_ci_u32_e32 v5, vcc_lo, 0, v5, vcc_lo
	s_delay_alu instid0(VALU_DEP_2) | instskip(SKIP_1) | instid1(VALU_DEP_3)
	v_mul_lo_u32 v9, s23, v3
	v_mad_u64_u32 v[11:12], null, s22, v3, 0
	v_mul_lo_u32 v13, s22, v5
	s_delay_alu instid0(VALU_DEP_2) | instskip(NEXT) | instid1(VALU_DEP_2)
	v_sub_co_u32 v11, vcc_lo, v18, v11
	v_add3_u32 v9, v12, v13, v9
	s_delay_alu instid0(VALU_DEP_1) | instskip(NEXT) | instid1(VALU_DEP_1)
	v_sub_nc_u32_e32 v12, v7, v9
	v_subrev_co_ci_u32_e64 v12, s0, s23, v12, vcc_lo
	v_add_co_u32 v13, s0, v3, 2
	s_delay_alu instid0(VALU_DEP_1) | instskip(SKIP_3) | instid1(VALU_DEP_3)
	v_add_co_ci_u32_e64 v14, s0, 0, v5, s0
	v_sub_co_u32 v15, s0, v11, s22
	v_sub_co_ci_u32_e32 v7, vcc_lo, v7, v9, vcc_lo
	v_subrev_co_ci_u32_e64 v12, s0, 0, v12, s0
	v_cmp_le_u32_e32 vcc_lo, s22, v15
	s_delay_alu instid0(VALU_DEP_3) | instskip(SKIP_1) | instid1(VALU_DEP_4)
	v_cmp_eq_u32_e64 s0, s23, v7
	v_cndmask_b32_e64 v9, 0, -1, vcc_lo
	v_cmp_le_u32_e32 vcc_lo, s23, v12
	v_cndmask_b32_e64 v15, 0, -1, vcc_lo
	v_cmp_le_u32_e32 vcc_lo, s22, v11
	v_cndmask_b32_e64 v11, 0, -1, vcc_lo
	v_cmp_le_u32_e32 vcc_lo, s23, v7
	v_cndmask_b32_e64 v16, 0, -1, vcc_lo
	v_cmp_eq_u32_e32 vcc_lo, s23, v12
	s_delay_alu instid0(VALU_DEP_2) | instskip(SKIP_3) | instid1(VALU_DEP_3)
	v_cndmask_b32_e64 v7, v16, v11, s0
	v_cndmask_b32_e32 v9, v15, v9, vcc_lo
	v_add_co_u32 v12, vcc_lo, v3, 1
	v_add_co_ci_u32_e32 v15, vcc_lo, 0, v5, vcc_lo
	v_cmp_ne_u32_e32 vcc_lo, 0, v9
	s_delay_alu instid0(VALU_DEP_2) | instskip(NEXT) | instid1(VALU_DEP_4)
	v_cndmask_b32_e32 v9, v15, v14, vcc_lo
	v_cndmask_b32_e32 v11, v12, v13, vcc_lo
	v_cmp_ne_u32_e32 vcc_lo, 0, v7
	v_xor_b32_e32 v7, s20, v17
	s_delay_alu instid0(VALU_DEP_3) | instskip(SKIP_2) | instid1(VALU_DEP_3)
	v_cndmask_b32_e32 v3, v3, v11, vcc_lo
	v_cndmask_b32_e32 v5, v5, v9, vcc_lo
	v_xor_b32_e32 v9, s21, v17
	v_xor_b32_e32 v3, v3, v7
	s_delay_alu instid0(VALU_DEP_2) | instskip(NEXT) | instid1(VALU_DEP_2)
	v_xor_b32_e32 v5, v5, v9
	v_sub_co_u32 v12, vcc_lo, v3, v7
	s_delay_alu instid0(VALU_DEP_2)
	v_sub_co_ci_u32_e32 v13, vcc_lo, v5, v9, vcc_lo
.LBB52_34:                              ;   in Loop: Header=BB52_24 Depth=2
	s_and_not1_saveexec_b32 s0, s14
	s_cbranch_execz .LBB52_36
; %bb.35:                               ;   in Loop: Header=BB52_24 Depth=2
	v_cvt_f32_u32_e32 v3, s45
	s_sub_i32 s14, 0, s45
	v_mov_b32_e32 v13, v2
	s_delay_alu instid0(VALU_DEP_2) | instskip(SKIP_2) | instid1(VALU_DEP_1)
	v_rcp_iflag_f32_e32 v3, v3
	s_waitcnt_depctr 0xfff
	v_mul_f32_e32 v3, 0x4f7ffffe, v3
	v_cvt_u32_f32_e32 v3, v3
	s_delay_alu instid0(VALU_DEP_1) | instskip(NEXT) | instid1(VALU_DEP_1)
	v_mul_lo_u32 v5, s14, v3
	v_mul_hi_u32 v5, v3, v5
	s_delay_alu instid0(VALU_DEP_1) | instskip(NEXT) | instid1(VALU_DEP_1)
	v_add_nc_u32_e32 v3, v3, v5
	v_mul_hi_u32 v3, v10, v3
	s_delay_alu instid0(VALU_DEP_1) | instskip(SKIP_1) | instid1(VALU_DEP_2)
	v_mul_lo_u32 v5, v3, s45
	v_add_nc_u32_e32 v7, 1, v3
	v_sub_nc_u32_e32 v5, v10, v5
	s_delay_alu instid0(VALU_DEP_1) | instskip(SKIP_1) | instid1(VALU_DEP_4)
	v_cmp_le_u32_e32 vcc_lo, s45, v5
	v_subrev_nc_u32_e32 v9, s45, v5
	v_cndmask_b32_e32 v3, v3, v7, vcc_lo
	s_delay_alu instid0(VALU_DEP_1) | instskip(NEXT) | instid1(VALU_DEP_3)
	v_add_nc_u32_e32 v7, 1, v3
	v_cndmask_b32_e32 v5, v5, v9, vcc_lo
	s_delay_alu instid0(VALU_DEP_1) | instskip(NEXT) | instid1(VALU_DEP_3)
	v_cmp_le_u32_e32 vcc_lo, s45, v5
	v_cndmask_b32_e32 v12, v3, v7, vcc_lo
.LBB52_36:                              ;   in Loop: Header=BB52_24 Depth=2
	s_or_b32 exec_lo, exec_lo, s0
	s_add_u32 s20, s30, s18
	s_addc_u32 s21, s1, s19
	s_add_i32 s14, s16, 4
                                        ; implicit-def: $vgpr14_vgpr15
	s_delay_alu instid0(SALU_CYCLE_1)
	s_lshl_b64 s[18:19], s[14:15], 2
	s_mov_b32 s14, exec_lo
	s_add_u32 s22, s26, s18
	s_addc_u32 s23, s27, s19
	s_clause 0x1
	s_load_b32 s47, s[22:23], 0x0
	s_load_b32 s46, s[20:21], 0x0
	s_waitcnt lgkmcnt(0)
	s_ashr_i32 s0, s47, 31
	s_delay_alu instid0(SALU_CYCLE_1) | instskip(NEXT) | instid1(VALU_DEP_1)
	v_or_b32_e32 v3, s0, v13
	v_cmpx_ne_u64_e32 0, v[2:3]
	s_xor_b32 s14, exec_lo, s14
	s_cbranch_execz .LBB52_38
; %bb.37:                               ;   in Loop: Header=BB52_24 Depth=2
	s_add_u32 s22, s47, s0
	s_mov_b32 s20, s0
	s_mov_b32 s21, s0
	s_addc_u32 s23, s0, s0
	v_ashrrev_i32_e32 v19, 31, v13
	s_xor_b64 s[22:23], s[22:23], s[20:21]
	s_delay_alu instid0(SALU_CYCLE_1) | instskip(SKIP_3) | instid1(VALU_DEP_1)
	v_cvt_f32_u32_e32 v3, s22
	v_cvt_f32_u32_e32 v5, s23
	s_sub_u32 s0, 0, s22
	s_subb_u32 s17, 0, s23
	v_fmac_f32_e32 v3, 0x4f800000, v5
	s_delay_alu instid0(VALU_DEP_1) | instskip(SKIP_2) | instid1(VALU_DEP_1)
	v_rcp_f32_e32 v3, v3
	s_waitcnt_depctr 0xfff
	v_mul_f32_e32 v3, 0x5f7ffffc, v3
	v_mul_f32_e32 v5, 0x2f800000, v3
	s_delay_alu instid0(VALU_DEP_1) | instskip(NEXT) | instid1(VALU_DEP_1)
	v_trunc_f32_e32 v5, v5
	v_fmac_f32_e32 v3, 0xcf800000, v5
	v_cvt_u32_f32_e32 v5, v5
	s_delay_alu instid0(VALU_DEP_2) | instskip(NEXT) | instid1(VALU_DEP_2)
	v_cvt_u32_f32_e32 v3, v3
	v_mul_lo_u32 v7, s0, v5
	s_delay_alu instid0(VALU_DEP_2) | instskip(SKIP_1) | instid1(VALU_DEP_2)
	v_mul_hi_u32 v9, s0, v3
	v_mul_lo_u32 v11, s17, v3
	v_add_nc_u32_e32 v7, v9, v7
	v_mul_lo_u32 v9, s0, v3
	s_delay_alu instid0(VALU_DEP_2) | instskip(NEXT) | instid1(VALU_DEP_2)
	v_add_nc_u32_e32 v7, v7, v11
	v_mul_hi_u32 v11, v3, v9
	s_delay_alu instid0(VALU_DEP_2)
	v_mul_lo_u32 v14, v3, v7
	v_mul_hi_u32 v15, v3, v7
	v_mul_hi_u32 v16, v5, v9
	v_mul_lo_u32 v9, v5, v9
	v_mul_hi_u32 v17, v5, v7
	v_mul_lo_u32 v7, v5, v7
	v_add_co_u32 v11, vcc_lo, v11, v14
	v_add_co_ci_u32_e32 v14, vcc_lo, 0, v15, vcc_lo
	s_delay_alu instid0(VALU_DEP_2) | instskip(NEXT) | instid1(VALU_DEP_2)
	v_add_co_u32 v9, vcc_lo, v11, v9
	v_add_co_ci_u32_e32 v9, vcc_lo, v14, v16, vcc_lo
	v_add_co_ci_u32_e32 v11, vcc_lo, 0, v17, vcc_lo
	s_delay_alu instid0(VALU_DEP_2) | instskip(NEXT) | instid1(VALU_DEP_2)
	v_add_co_u32 v7, vcc_lo, v9, v7
	v_add_co_ci_u32_e32 v9, vcc_lo, 0, v11, vcc_lo
	s_delay_alu instid0(VALU_DEP_2) | instskip(NEXT) | instid1(VALU_DEP_2)
	v_add_co_u32 v3, vcc_lo, v3, v7
	v_add_co_ci_u32_e32 v5, vcc_lo, v5, v9, vcc_lo
	s_delay_alu instid0(VALU_DEP_2) | instskip(SKIP_1) | instid1(VALU_DEP_3)
	v_mul_hi_u32 v7, s0, v3
	v_mul_lo_u32 v11, s17, v3
	v_mul_lo_u32 v9, s0, v5
	s_delay_alu instid0(VALU_DEP_1) | instskip(SKIP_1) | instid1(VALU_DEP_2)
	v_add_nc_u32_e32 v7, v7, v9
	v_mul_lo_u32 v9, s0, v3
	v_add_nc_u32_e32 v7, v7, v11
	s_delay_alu instid0(VALU_DEP_2) | instskip(NEXT) | instid1(VALU_DEP_2)
	v_mul_hi_u32 v11, v3, v9
	v_mul_lo_u32 v14, v3, v7
	v_mul_hi_u32 v15, v3, v7
	v_mul_hi_u32 v16, v5, v9
	v_mul_lo_u32 v9, v5, v9
	v_mul_hi_u32 v17, v5, v7
	v_mul_lo_u32 v7, v5, v7
	v_add_co_u32 v11, vcc_lo, v11, v14
	v_add_co_ci_u32_e32 v14, vcc_lo, 0, v15, vcc_lo
	s_delay_alu instid0(VALU_DEP_2) | instskip(NEXT) | instid1(VALU_DEP_2)
	v_add_co_u32 v9, vcc_lo, v11, v9
	v_add_co_ci_u32_e32 v9, vcc_lo, v14, v16, vcc_lo
	v_add_co_ci_u32_e32 v11, vcc_lo, 0, v17, vcc_lo
	v_add_co_u32 v14, vcc_lo, v12, v19
	v_add_co_ci_u32_e32 v13, vcc_lo, v13, v19, vcc_lo
	s_delay_alu instid0(VALU_DEP_4) | instskip(NEXT) | instid1(VALU_DEP_4)
	v_add_co_u32 v7, vcc_lo, v9, v7
	v_add_co_ci_u32_e32 v9, vcc_lo, 0, v11, vcc_lo
	s_delay_alu instid0(VALU_DEP_4) | instskip(NEXT) | instid1(VALU_DEP_3)
	v_xor_b32_e32 v11, v14, v19
	v_add_co_u32 v3, vcc_lo, v3, v7
	s_delay_alu instid0(VALU_DEP_3) | instskip(SKIP_1) | instid1(VALU_DEP_3)
	v_add_co_ci_u32_e32 v5, vcc_lo, v5, v9, vcc_lo
	v_xor_b32_e32 v7, v13, v19
	v_mul_hi_u32 v9, v11, v3
	s_delay_alu instid0(VALU_DEP_3) | instskip(NEXT) | instid1(VALU_DEP_3)
	v_mad_u64_u32 v[13:14], null, v11, v5, 0
	v_mad_u64_u32 v[15:16], null, v7, v3, 0
	;; [unrolled: 1-line block ×3, first 2 shown]
	s_delay_alu instid0(VALU_DEP_3) | instskip(NEXT) | instid1(VALU_DEP_4)
	v_add_co_u32 v3, vcc_lo, v9, v13
	v_add_co_ci_u32_e32 v5, vcc_lo, 0, v14, vcc_lo
	s_delay_alu instid0(VALU_DEP_2) | instskip(NEXT) | instid1(VALU_DEP_2)
	v_add_co_u32 v3, vcc_lo, v3, v15
	v_add_co_ci_u32_e32 v3, vcc_lo, v5, v16, vcc_lo
	v_add_co_ci_u32_e32 v5, vcc_lo, 0, v18, vcc_lo
	s_delay_alu instid0(VALU_DEP_2) | instskip(NEXT) | instid1(VALU_DEP_2)
	v_add_co_u32 v3, vcc_lo, v3, v17
	v_add_co_ci_u32_e32 v5, vcc_lo, 0, v5, vcc_lo
	s_delay_alu instid0(VALU_DEP_2) | instskip(SKIP_1) | instid1(VALU_DEP_3)
	v_mul_lo_u32 v9, s23, v3
	v_mad_u64_u32 v[13:14], null, s22, v3, 0
	v_mul_lo_u32 v15, s22, v5
	s_delay_alu instid0(VALU_DEP_2) | instskip(NEXT) | instid1(VALU_DEP_2)
	v_sub_co_u32 v11, vcc_lo, v11, v13
	v_add3_u32 v9, v14, v15, v9
	s_delay_alu instid0(VALU_DEP_1) | instskip(NEXT) | instid1(VALU_DEP_1)
	v_sub_nc_u32_e32 v14, v7, v9
	v_subrev_co_ci_u32_e64 v13, s0, s23, v14, vcc_lo
	v_add_co_u32 v14, s0, v3, 2
	s_delay_alu instid0(VALU_DEP_1) | instskip(SKIP_3) | instid1(VALU_DEP_3)
	v_add_co_ci_u32_e64 v15, s0, 0, v5, s0
	v_sub_co_u32 v16, s0, v11, s22
	v_sub_co_ci_u32_e32 v7, vcc_lo, v7, v9, vcc_lo
	v_subrev_co_ci_u32_e64 v13, s0, 0, v13, s0
	v_cmp_le_u32_e32 vcc_lo, s22, v16
	s_delay_alu instid0(VALU_DEP_3) | instskip(SKIP_1) | instid1(VALU_DEP_4)
	v_cmp_eq_u32_e64 s0, s23, v7
	v_cndmask_b32_e64 v9, 0, -1, vcc_lo
	v_cmp_le_u32_e32 vcc_lo, s23, v13
	v_cndmask_b32_e64 v16, 0, -1, vcc_lo
	v_cmp_le_u32_e32 vcc_lo, s22, v11
	;; [unrolled: 2-line block ×3, first 2 shown]
	v_cndmask_b32_e64 v17, 0, -1, vcc_lo
	v_cmp_eq_u32_e32 vcc_lo, s23, v13
	s_delay_alu instid0(VALU_DEP_2) | instskip(SKIP_3) | instid1(VALU_DEP_3)
	v_cndmask_b32_e64 v7, v17, v11, s0
	v_cndmask_b32_e32 v9, v16, v9, vcc_lo
	v_add_co_u32 v13, vcc_lo, v3, 1
	v_add_co_ci_u32_e32 v16, vcc_lo, 0, v5, vcc_lo
	v_cmp_ne_u32_e32 vcc_lo, 0, v9
	s_delay_alu instid0(VALU_DEP_2) | instskip(NEXT) | instid1(VALU_DEP_4)
	v_cndmask_b32_e32 v9, v16, v15, vcc_lo
	v_cndmask_b32_e32 v11, v13, v14, vcc_lo
	v_cmp_ne_u32_e32 vcc_lo, 0, v7
	v_xor_b32_e32 v7, s20, v19
	s_delay_alu instid0(VALU_DEP_3) | instskip(SKIP_2) | instid1(VALU_DEP_3)
	v_cndmask_b32_e32 v3, v3, v11, vcc_lo
	v_cndmask_b32_e32 v5, v5, v9, vcc_lo
	v_xor_b32_e32 v9, s21, v19
	v_xor_b32_e32 v3, v3, v7
	s_delay_alu instid0(VALU_DEP_2) | instskip(NEXT) | instid1(VALU_DEP_2)
	v_xor_b32_e32 v5, v5, v9
	v_sub_co_u32 v14, vcc_lo, v3, v7
	s_delay_alu instid0(VALU_DEP_2)
	v_sub_co_ci_u32_e32 v15, vcc_lo, v5, v9, vcc_lo
.LBB52_38:                              ;   in Loop: Header=BB52_24 Depth=2
	s_and_not1_saveexec_b32 s0, s14
	s_cbranch_execz .LBB52_40
; %bb.39:                               ;   in Loop: Header=BB52_24 Depth=2
	v_cvt_f32_u32_e32 v3, s47
	s_sub_i32 s14, 0, s47
	v_mov_b32_e32 v15, v2
	s_delay_alu instid0(VALU_DEP_2) | instskip(SKIP_2) | instid1(VALU_DEP_1)
	v_rcp_iflag_f32_e32 v3, v3
	s_waitcnt_depctr 0xfff
	v_mul_f32_e32 v3, 0x4f7ffffe, v3
	v_cvt_u32_f32_e32 v3, v3
	s_delay_alu instid0(VALU_DEP_1) | instskip(NEXT) | instid1(VALU_DEP_1)
	v_mul_lo_u32 v5, s14, v3
	v_mul_hi_u32 v5, v3, v5
	s_delay_alu instid0(VALU_DEP_1) | instskip(NEXT) | instid1(VALU_DEP_1)
	v_add_nc_u32_e32 v3, v3, v5
	v_mul_hi_u32 v3, v12, v3
	s_delay_alu instid0(VALU_DEP_1) | instskip(SKIP_1) | instid1(VALU_DEP_2)
	v_mul_lo_u32 v5, v3, s47
	v_add_nc_u32_e32 v7, 1, v3
	v_sub_nc_u32_e32 v5, v12, v5
	s_delay_alu instid0(VALU_DEP_1) | instskip(SKIP_1) | instid1(VALU_DEP_4)
	v_cmp_le_u32_e32 vcc_lo, s47, v5
	v_subrev_nc_u32_e32 v9, s47, v5
	v_cndmask_b32_e32 v3, v3, v7, vcc_lo
	s_delay_alu instid0(VALU_DEP_1) | instskip(NEXT) | instid1(VALU_DEP_3)
	v_add_nc_u32_e32 v7, 1, v3
	v_cndmask_b32_e32 v5, v5, v9, vcc_lo
	s_delay_alu instid0(VALU_DEP_1) | instskip(NEXT) | instid1(VALU_DEP_3)
	v_cmp_le_u32_e32 vcc_lo, s47, v5
	v_cndmask_b32_e32 v14, v3, v7, vcc_lo
.LBB52_40:                              ;   in Loop: Header=BB52_24 Depth=2
	s_or_b32 exec_lo, exec_lo, s0
	s_add_u32 s20, s30, s18
	s_addc_u32 s21, s1, s19
	s_add_i32 s14, s16, 3
                                        ; implicit-def: $vgpr16_vgpr17
	s_delay_alu instid0(SALU_CYCLE_1)
	s_lshl_b64 s[18:19], s[14:15], 2
	s_mov_b32 s14, exec_lo
	s_add_u32 s22, s26, s18
	s_addc_u32 s23, s27, s19
	s_clause 0x1
	s_load_b32 s49, s[22:23], 0x0
	s_load_b32 s48, s[20:21], 0x0
	s_waitcnt lgkmcnt(0)
	s_ashr_i32 s0, s49, 31
	s_delay_alu instid0(SALU_CYCLE_1) | instskip(NEXT) | instid1(VALU_DEP_1)
	v_or_b32_e32 v3, s0, v15
	v_cmpx_ne_u64_e32 0, v[2:3]
	s_xor_b32 s14, exec_lo, s14
	s_cbranch_execz .LBB52_42
; %bb.41:                               ;   in Loop: Header=BB52_24 Depth=2
	s_add_u32 s22, s49, s0
	s_mov_b32 s20, s0
	s_mov_b32 s21, s0
	s_addc_u32 s23, s0, s0
	v_ashrrev_i32_e32 v21, 31, v15
	s_xor_b64 s[22:23], s[22:23], s[20:21]
	s_delay_alu instid0(SALU_CYCLE_1) | instskip(SKIP_3) | instid1(VALU_DEP_1)
	v_cvt_f32_u32_e32 v3, s22
	v_cvt_f32_u32_e32 v5, s23
	s_sub_u32 s0, 0, s22
	s_subb_u32 s17, 0, s23
	v_fmac_f32_e32 v3, 0x4f800000, v5
	s_delay_alu instid0(VALU_DEP_1) | instskip(SKIP_2) | instid1(VALU_DEP_1)
	v_rcp_f32_e32 v3, v3
	s_waitcnt_depctr 0xfff
	v_mul_f32_e32 v3, 0x5f7ffffc, v3
	v_mul_f32_e32 v5, 0x2f800000, v3
	s_delay_alu instid0(VALU_DEP_1) | instskip(NEXT) | instid1(VALU_DEP_1)
	v_trunc_f32_e32 v5, v5
	v_fmac_f32_e32 v3, 0xcf800000, v5
	v_cvt_u32_f32_e32 v5, v5
	s_delay_alu instid0(VALU_DEP_2) | instskip(NEXT) | instid1(VALU_DEP_2)
	v_cvt_u32_f32_e32 v3, v3
	v_mul_lo_u32 v7, s0, v5
	s_delay_alu instid0(VALU_DEP_2) | instskip(SKIP_1) | instid1(VALU_DEP_2)
	v_mul_hi_u32 v9, s0, v3
	v_mul_lo_u32 v11, s17, v3
	v_add_nc_u32_e32 v7, v9, v7
	v_mul_lo_u32 v9, s0, v3
	s_delay_alu instid0(VALU_DEP_2) | instskip(NEXT) | instid1(VALU_DEP_2)
	v_add_nc_u32_e32 v7, v7, v11
	v_mul_hi_u32 v11, v3, v9
	s_delay_alu instid0(VALU_DEP_2)
	v_mul_lo_u32 v13, v3, v7
	v_mul_hi_u32 v16, v3, v7
	v_mul_hi_u32 v17, v5, v9
	v_mul_lo_u32 v9, v5, v9
	v_mul_hi_u32 v18, v5, v7
	v_mul_lo_u32 v7, v5, v7
	v_add_co_u32 v11, vcc_lo, v11, v13
	v_add_co_ci_u32_e32 v13, vcc_lo, 0, v16, vcc_lo
	s_delay_alu instid0(VALU_DEP_2) | instskip(NEXT) | instid1(VALU_DEP_2)
	v_add_co_u32 v9, vcc_lo, v11, v9
	v_add_co_ci_u32_e32 v9, vcc_lo, v13, v17, vcc_lo
	v_add_co_ci_u32_e32 v11, vcc_lo, 0, v18, vcc_lo
	s_delay_alu instid0(VALU_DEP_2) | instskip(NEXT) | instid1(VALU_DEP_2)
	v_add_co_u32 v7, vcc_lo, v9, v7
	v_add_co_ci_u32_e32 v9, vcc_lo, 0, v11, vcc_lo
	s_delay_alu instid0(VALU_DEP_2) | instskip(NEXT) | instid1(VALU_DEP_2)
	v_add_co_u32 v3, vcc_lo, v3, v7
	v_add_co_ci_u32_e32 v5, vcc_lo, v5, v9, vcc_lo
	s_delay_alu instid0(VALU_DEP_2) | instskip(SKIP_1) | instid1(VALU_DEP_3)
	v_mul_hi_u32 v7, s0, v3
	v_mul_lo_u32 v11, s17, v3
	v_mul_lo_u32 v9, s0, v5
	s_delay_alu instid0(VALU_DEP_1) | instskip(SKIP_1) | instid1(VALU_DEP_2)
	v_add_nc_u32_e32 v7, v7, v9
	v_mul_lo_u32 v9, s0, v3
	v_add_nc_u32_e32 v7, v7, v11
	s_delay_alu instid0(VALU_DEP_2) | instskip(NEXT) | instid1(VALU_DEP_2)
	v_mul_hi_u32 v11, v3, v9
	v_mul_lo_u32 v13, v3, v7
	v_mul_hi_u32 v16, v3, v7
	v_mul_hi_u32 v17, v5, v9
	v_mul_lo_u32 v9, v5, v9
	v_mul_hi_u32 v18, v5, v7
	v_mul_lo_u32 v7, v5, v7
	v_add_co_u32 v11, vcc_lo, v11, v13
	v_add_co_ci_u32_e32 v13, vcc_lo, 0, v16, vcc_lo
	s_delay_alu instid0(VALU_DEP_2) | instskip(NEXT) | instid1(VALU_DEP_2)
	v_add_co_u32 v9, vcc_lo, v11, v9
	v_add_co_ci_u32_e32 v9, vcc_lo, v13, v17, vcc_lo
	v_add_co_ci_u32_e32 v11, vcc_lo, 0, v18, vcc_lo
	v_add_co_u32 v13, vcc_lo, v14, v21
	v_add_co_ci_u32_e32 v15, vcc_lo, v15, v21, vcc_lo
	s_delay_alu instid0(VALU_DEP_4) | instskip(NEXT) | instid1(VALU_DEP_4)
	v_add_co_u32 v7, vcc_lo, v9, v7
	v_add_co_ci_u32_e32 v9, vcc_lo, 0, v11, vcc_lo
	s_delay_alu instid0(VALU_DEP_4) | instskip(NEXT) | instid1(VALU_DEP_3)
	v_xor_b32_e32 v11, v13, v21
	v_add_co_u32 v3, vcc_lo, v3, v7
	s_delay_alu instid0(VALU_DEP_3) | instskip(SKIP_1) | instid1(VALU_DEP_3)
	v_add_co_ci_u32_e32 v5, vcc_lo, v5, v9, vcc_lo
	v_xor_b32_e32 v7, v15, v21
	v_mul_hi_u32 v9, v11, v3
	s_delay_alu instid0(VALU_DEP_3) | instskip(NEXT) | instid1(VALU_DEP_3)
	v_mad_u64_u32 v[15:16], null, v11, v5, 0
	v_mad_u64_u32 v[17:18], null, v7, v3, 0
	;; [unrolled: 1-line block ×3, first 2 shown]
	s_delay_alu instid0(VALU_DEP_3) | instskip(NEXT) | instid1(VALU_DEP_4)
	v_add_co_u32 v3, vcc_lo, v9, v15
	v_add_co_ci_u32_e32 v5, vcc_lo, 0, v16, vcc_lo
	s_delay_alu instid0(VALU_DEP_2) | instskip(NEXT) | instid1(VALU_DEP_2)
	v_add_co_u32 v3, vcc_lo, v3, v17
	v_add_co_ci_u32_e32 v3, vcc_lo, v5, v18, vcc_lo
	v_add_co_ci_u32_e32 v5, vcc_lo, 0, v20, vcc_lo
	s_delay_alu instid0(VALU_DEP_2) | instskip(NEXT) | instid1(VALU_DEP_2)
	v_add_co_u32 v3, vcc_lo, v3, v19
	v_add_co_ci_u32_e32 v5, vcc_lo, 0, v5, vcc_lo
	s_delay_alu instid0(VALU_DEP_2) | instskip(SKIP_1) | instid1(VALU_DEP_3)
	v_mul_lo_u32 v9, s23, v3
	v_mad_u64_u32 v[15:16], null, s22, v3, 0
	v_mul_lo_u32 v13, s22, v5
	s_delay_alu instid0(VALU_DEP_2) | instskip(NEXT) | instid1(VALU_DEP_2)
	v_sub_co_u32 v11, vcc_lo, v11, v15
	v_add3_u32 v9, v16, v13, v9
	s_delay_alu instid0(VALU_DEP_1) | instskip(NEXT) | instid1(VALU_DEP_1)
	v_sub_nc_u32_e32 v13, v7, v9
	v_subrev_co_ci_u32_e64 v13, s0, s23, v13, vcc_lo
	v_add_co_u32 v15, s0, v3, 2
	s_delay_alu instid0(VALU_DEP_1) | instskip(SKIP_3) | instid1(VALU_DEP_3)
	v_add_co_ci_u32_e64 v16, s0, 0, v5, s0
	v_sub_co_u32 v17, s0, v11, s22
	v_sub_co_ci_u32_e32 v7, vcc_lo, v7, v9, vcc_lo
	v_subrev_co_ci_u32_e64 v13, s0, 0, v13, s0
	v_cmp_le_u32_e32 vcc_lo, s22, v17
	s_delay_alu instid0(VALU_DEP_3) | instskip(SKIP_1) | instid1(VALU_DEP_4)
	v_cmp_eq_u32_e64 s0, s23, v7
	v_cndmask_b32_e64 v9, 0, -1, vcc_lo
	v_cmp_le_u32_e32 vcc_lo, s23, v13
	v_cndmask_b32_e64 v17, 0, -1, vcc_lo
	v_cmp_le_u32_e32 vcc_lo, s22, v11
	;; [unrolled: 2-line block ×3, first 2 shown]
	v_cndmask_b32_e64 v18, 0, -1, vcc_lo
	v_cmp_eq_u32_e32 vcc_lo, s23, v13
	s_delay_alu instid0(VALU_DEP_2) | instskip(SKIP_3) | instid1(VALU_DEP_3)
	v_cndmask_b32_e64 v7, v18, v11, s0
	v_cndmask_b32_e32 v9, v17, v9, vcc_lo
	v_add_co_u32 v13, vcc_lo, v3, 1
	v_add_co_ci_u32_e32 v17, vcc_lo, 0, v5, vcc_lo
	v_cmp_ne_u32_e32 vcc_lo, 0, v9
	s_delay_alu instid0(VALU_DEP_2) | instskip(NEXT) | instid1(VALU_DEP_4)
	v_cndmask_b32_e32 v9, v17, v16, vcc_lo
	v_cndmask_b32_e32 v11, v13, v15, vcc_lo
	v_cmp_ne_u32_e32 vcc_lo, 0, v7
	v_xor_b32_e32 v7, s20, v21
	s_delay_alu instid0(VALU_DEP_3) | instskip(SKIP_2) | instid1(VALU_DEP_3)
	v_cndmask_b32_e32 v3, v3, v11, vcc_lo
	v_cndmask_b32_e32 v5, v5, v9, vcc_lo
	v_xor_b32_e32 v9, s21, v21
	v_xor_b32_e32 v3, v3, v7
	s_delay_alu instid0(VALU_DEP_2) | instskip(NEXT) | instid1(VALU_DEP_2)
	v_xor_b32_e32 v5, v5, v9
	v_sub_co_u32 v16, vcc_lo, v3, v7
	s_delay_alu instid0(VALU_DEP_2)
	v_sub_co_ci_u32_e32 v17, vcc_lo, v5, v9, vcc_lo
.LBB52_42:                              ;   in Loop: Header=BB52_24 Depth=2
	s_and_not1_saveexec_b32 s0, s14
	s_cbranch_execz .LBB52_44
; %bb.43:                               ;   in Loop: Header=BB52_24 Depth=2
	v_cvt_f32_u32_e32 v3, s49
	s_sub_i32 s14, 0, s49
	v_mov_b32_e32 v17, v2
	s_delay_alu instid0(VALU_DEP_2) | instskip(SKIP_2) | instid1(VALU_DEP_1)
	v_rcp_iflag_f32_e32 v3, v3
	s_waitcnt_depctr 0xfff
	v_mul_f32_e32 v3, 0x4f7ffffe, v3
	v_cvt_u32_f32_e32 v3, v3
	s_delay_alu instid0(VALU_DEP_1) | instskip(NEXT) | instid1(VALU_DEP_1)
	v_mul_lo_u32 v5, s14, v3
	v_mul_hi_u32 v5, v3, v5
	s_delay_alu instid0(VALU_DEP_1) | instskip(NEXT) | instid1(VALU_DEP_1)
	v_add_nc_u32_e32 v3, v3, v5
	v_mul_hi_u32 v3, v14, v3
	s_delay_alu instid0(VALU_DEP_1) | instskip(SKIP_1) | instid1(VALU_DEP_2)
	v_mul_lo_u32 v5, v3, s49
	v_add_nc_u32_e32 v7, 1, v3
	v_sub_nc_u32_e32 v5, v14, v5
	s_delay_alu instid0(VALU_DEP_1) | instskip(SKIP_1) | instid1(VALU_DEP_4)
	v_cmp_le_u32_e32 vcc_lo, s49, v5
	v_subrev_nc_u32_e32 v9, s49, v5
	v_cndmask_b32_e32 v3, v3, v7, vcc_lo
	s_delay_alu instid0(VALU_DEP_1) | instskip(NEXT) | instid1(VALU_DEP_3)
	v_add_nc_u32_e32 v7, 1, v3
	v_cndmask_b32_e32 v5, v5, v9, vcc_lo
	s_delay_alu instid0(VALU_DEP_1) | instskip(NEXT) | instid1(VALU_DEP_3)
	v_cmp_le_u32_e32 vcc_lo, s49, v5
	v_cndmask_b32_e32 v16, v3, v7, vcc_lo
.LBB52_44:                              ;   in Loop: Header=BB52_24 Depth=2
	s_or_b32 exec_lo, exec_lo, s0
	s_add_u32 s20, s30, s18
	s_addc_u32 s21, s1, s19
	s_add_i32 s14, s16, 2
                                        ; implicit-def: $vgpr18_vgpr19
	s_delay_alu instid0(SALU_CYCLE_1)
	s_lshl_b64 s[18:19], s[14:15], 2
	s_mov_b32 s14, exec_lo
	s_add_u32 s22, s26, s18
	s_addc_u32 s23, s27, s19
	s_clause 0x1
	s_load_b32 s51, s[22:23], 0x0
	s_load_b32 s50, s[20:21], 0x0
	s_waitcnt lgkmcnt(0)
	s_ashr_i32 s0, s51, 31
	s_delay_alu instid0(SALU_CYCLE_1) | instskip(NEXT) | instid1(VALU_DEP_1)
	v_or_b32_e32 v3, s0, v17
	v_cmpx_ne_u64_e32 0, v[2:3]
	s_xor_b32 s14, exec_lo, s14
	s_cbranch_execz .LBB52_46
; %bb.45:                               ;   in Loop: Header=BB52_24 Depth=2
	s_add_u32 s22, s51, s0
	s_mov_b32 s20, s0
	s_mov_b32 s21, s0
	s_addc_u32 s23, s0, s0
	v_ashrrev_i32_e32 v23, 31, v17
	s_xor_b64 s[22:23], s[22:23], s[20:21]
	s_delay_alu instid0(SALU_CYCLE_1) | instskip(SKIP_3) | instid1(VALU_DEP_1)
	v_cvt_f32_u32_e32 v3, s22
	v_cvt_f32_u32_e32 v5, s23
	s_sub_u32 s0, 0, s22
	s_subb_u32 s17, 0, s23
	v_fmac_f32_e32 v3, 0x4f800000, v5
	s_delay_alu instid0(VALU_DEP_1) | instskip(SKIP_2) | instid1(VALU_DEP_1)
	v_rcp_f32_e32 v3, v3
	s_waitcnt_depctr 0xfff
	v_mul_f32_e32 v3, 0x5f7ffffc, v3
	v_mul_f32_e32 v5, 0x2f800000, v3
	s_delay_alu instid0(VALU_DEP_1) | instskip(NEXT) | instid1(VALU_DEP_1)
	v_trunc_f32_e32 v5, v5
	v_fmac_f32_e32 v3, 0xcf800000, v5
	v_cvt_u32_f32_e32 v5, v5
	s_delay_alu instid0(VALU_DEP_2) | instskip(NEXT) | instid1(VALU_DEP_2)
	v_cvt_u32_f32_e32 v3, v3
	v_mul_lo_u32 v7, s0, v5
	s_delay_alu instid0(VALU_DEP_2) | instskip(SKIP_1) | instid1(VALU_DEP_2)
	v_mul_hi_u32 v9, s0, v3
	v_mul_lo_u32 v11, s17, v3
	v_add_nc_u32_e32 v7, v9, v7
	v_mul_lo_u32 v9, s0, v3
	s_delay_alu instid0(VALU_DEP_2) | instskip(NEXT) | instid1(VALU_DEP_2)
	v_add_nc_u32_e32 v7, v7, v11
	v_mul_hi_u32 v11, v3, v9
	s_delay_alu instid0(VALU_DEP_2)
	v_mul_lo_u32 v13, v3, v7
	v_mul_hi_u32 v15, v3, v7
	v_mul_hi_u32 v18, v5, v9
	v_mul_lo_u32 v9, v5, v9
	v_mul_hi_u32 v19, v5, v7
	v_mul_lo_u32 v7, v5, v7
	v_add_co_u32 v11, vcc_lo, v11, v13
	v_add_co_ci_u32_e32 v13, vcc_lo, 0, v15, vcc_lo
	s_delay_alu instid0(VALU_DEP_2) | instskip(NEXT) | instid1(VALU_DEP_2)
	v_add_co_u32 v9, vcc_lo, v11, v9
	v_add_co_ci_u32_e32 v9, vcc_lo, v13, v18, vcc_lo
	v_add_co_ci_u32_e32 v11, vcc_lo, 0, v19, vcc_lo
	s_delay_alu instid0(VALU_DEP_2) | instskip(NEXT) | instid1(VALU_DEP_2)
	v_add_co_u32 v7, vcc_lo, v9, v7
	v_add_co_ci_u32_e32 v9, vcc_lo, 0, v11, vcc_lo
	s_delay_alu instid0(VALU_DEP_2) | instskip(NEXT) | instid1(VALU_DEP_2)
	v_add_co_u32 v3, vcc_lo, v3, v7
	v_add_co_ci_u32_e32 v5, vcc_lo, v5, v9, vcc_lo
	s_delay_alu instid0(VALU_DEP_2) | instskip(SKIP_1) | instid1(VALU_DEP_3)
	v_mul_hi_u32 v7, s0, v3
	v_mul_lo_u32 v11, s17, v3
	v_mul_lo_u32 v9, s0, v5
	s_delay_alu instid0(VALU_DEP_1) | instskip(SKIP_1) | instid1(VALU_DEP_2)
	v_add_nc_u32_e32 v7, v7, v9
	v_mul_lo_u32 v9, s0, v3
	v_add_nc_u32_e32 v7, v7, v11
	s_delay_alu instid0(VALU_DEP_2) | instskip(NEXT) | instid1(VALU_DEP_2)
	v_mul_hi_u32 v11, v3, v9
	v_mul_lo_u32 v13, v3, v7
	v_mul_hi_u32 v15, v3, v7
	v_mul_hi_u32 v18, v5, v9
	v_mul_lo_u32 v9, v5, v9
	v_mul_hi_u32 v19, v5, v7
	v_mul_lo_u32 v7, v5, v7
	v_add_co_u32 v11, vcc_lo, v11, v13
	v_add_co_ci_u32_e32 v13, vcc_lo, 0, v15, vcc_lo
	s_delay_alu instid0(VALU_DEP_2) | instskip(NEXT) | instid1(VALU_DEP_2)
	v_add_co_u32 v9, vcc_lo, v11, v9
	v_add_co_ci_u32_e32 v9, vcc_lo, v13, v18, vcc_lo
	v_add_co_ci_u32_e32 v11, vcc_lo, 0, v19, vcc_lo
	v_add_co_u32 v13, vcc_lo, v16, v23
	v_add_co_ci_u32_e32 v15, vcc_lo, v17, v23, vcc_lo
	s_delay_alu instid0(VALU_DEP_4) | instskip(NEXT) | instid1(VALU_DEP_4)
	v_add_co_u32 v7, vcc_lo, v9, v7
	v_add_co_ci_u32_e32 v9, vcc_lo, 0, v11, vcc_lo
	s_delay_alu instid0(VALU_DEP_4) | instskip(NEXT) | instid1(VALU_DEP_3)
	v_xor_b32_e32 v11, v13, v23
	v_add_co_u32 v3, vcc_lo, v3, v7
	s_delay_alu instid0(VALU_DEP_3) | instskip(SKIP_1) | instid1(VALU_DEP_3)
	v_add_co_ci_u32_e32 v5, vcc_lo, v5, v9, vcc_lo
	v_xor_b32_e32 v7, v15, v23
	v_mul_hi_u32 v9, v11, v3
	s_delay_alu instid0(VALU_DEP_3) | instskip(NEXT) | instid1(VALU_DEP_3)
	v_mad_u64_u32 v[17:18], null, v11, v5, 0
	v_mad_u64_u32 v[19:20], null, v7, v3, 0
	;; [unrolled: 1-line block ×3, first 2 shown]
	s_delay_alu instid0(VALU_DEP_3) | instskip(NEXT) | instid1(VALU_DEP_4)
	v_add_co_u32 v3, vcc_lo, v9, v17
	v_add_co_ci_u32_e32 v5, vcc_lo, 0, v18, vcc_lo
	s_delay_alu instid0(VALU_DEP_2) | instskip(NEXT) | instid1(VALU_DEP_2)
	v_add_co_u32 v3, vcc_lo, v3, v19
	v_add_co_ci_u32_e32 v3, vcc_lo, v5, v20, vcc_lo
	v_add_co_ci_u32_e32 v5, vcc_lo, 0, v22, vcc_lo
	s_delay_alu instid0(VALU_DEP_2) | instskip(NEXT) | instid1(VALU_DEP_2)
	v_add_co_u32 v3, vcc_lo, v3, v21
	v_add_co_ci_u32_e32 v5, vcc_lo, 0, v5, vcc_lo
	s_delay_alu instid0(VALU_DEP_2) | instskip(SKIP_1) | instid1(VALU_DEP_3)
	v_mul_lo_u32 v9, s23, v3
	v_mad_u64_u32 v[17:18], null, s22, v3, 0
	v_mul_lo_u32 v13, s22, v5
	s_delay_alu instid0(VALU_DEP_2) | instskip(NEXT) | instid1(VALU_DEP_2)
	v_sub_co_u32 v11, vcc_lo, v11, v17
	v_add3_u32 v9, v18, v13, v9
	s_delay_alu instid0(VALU_DEP_1) | instskip(NEXT) | instid1(VALU_DEP_1)
	v_sub_nc_u32_e32 v13, v7, v9
	v_subrev_co_ci_u32_e64 v13, s0, s23, v13, vcc_lo
	v_add_co_u32 v15, s0, v3, 2
	s_delay_alu instid0(VALU_DEP_1) | instskip(SKIP_3) | instid1(VALU_DEP_3)
	v_add_co_ci_u32_e64 v17, s0, 0, v5, s0
	v_sub_co_u32 v18, s0, v11, s22
	v_sub_co_ci_u32_e32 v7, vcc_lo, v7, v9, vcc_lo
	v_subrev_co_ci_u32_e64 v13, s0, 0, v13, s0
	v_cmp_le_u32_e32 vcc_lo, s22, v18
	s_delay_alu instid0(VALU_DEP_3) | instskip(SKIP_1) | instid1(VALU_DEP_4)
	v_cmp_eq_u32_e64 s0, s23, v7
	v_cndmask_b32_e64 v9, 0, -1, vcc_lo
	v_cmp_le_u32_e32 vcc_lo, s23, v13
	v_cndmask_b32_e64 v18, 0, -1, vcc_lo
	v_cmp_le_u32_e32 vcc_lo, s22, v11
	;; [unrolled: 2-line block ×3, first 2 shown]
	v_cndmask_b32_e64 v19, 0, -1, vcc_lo
	v_cmp_eq_u32_e32 vcc_lo, s23, v13
	s_delay_alu instid0(VALU_DEP_2) | instskip(SKIP_3) | instid1(VALU_DEP_3)
	v_cndmask_b32_e64 v7, v19, v11, s0
	v_cndmask_b32_e32 v9, v18, v9, vcc_lo
	v_add_co_u32 v13, vcc_lo, v3, 1
	v_add_co_ci_u32_e32 v18, vcc_lo, 0, v5, vcc_lo
	v_cmp_ne_u32_e32 vcc_lo, 0, v9
	s_delay_alu instid0(VALU_DEP_2) | instskip(NEXT) | instid1(VALU_DEP_4)
	v_cndmask_b32_e32 v9, v18, v17, vcc_lo
	v_cndmask_b32_e32 v11, v13, v15, vcc_lo
	v_cmp_ne_u32_e32 vcc_lo, 0, v7
	v_xor_b32_e32 v7, s20, v23
	s_delay_alu instid0(VALU_DEP_3) | instskip(SKIP_2) | instid1(VALU_DEP_3)
	v_cndmask_b32_e32 v3, v3, v11, vcc_lo
	v_cndmask_b32_e32 v5, v5, v9, vcc_lo
	v_xor_b32_e32 v9, s21, v23
	v_xor_b32_e32 v3, v3, v7
	s_delay_alu instid0(VALU_DEP_2) | instskip(NEXT) | instid1(VALU_DEP_2)
	v_xor_b32_e32 v5, v5, v9
	v_sub_co_u32 v18, vcc_lo, v3, v7
	s_delay_alu instid0(VALU_DEP_2)
	v_sub_co_ci_u32_e32 v19, vcc_lo, v5, v9, vcc_lo
.LBB52_46:                              ;   in Loop: Header=BB52_24 Depth=2
	s_and_not1_saveexec_b32 s0, s14
	s_cbranch_execz .LBB52_48
; %bb.47:                               ;   in Loop: Header=BB52_24 Depth=2
	v_cvt_f32_u32_e32 v3, s51
	s_sub_i32 s14, 0, s51
	v_mov_b32_e32 v19, v2
	s_delay_alu instid0(VALU_DEP_2) | instskip(SKIP_2) | instid1(VALU_DEP_1)
	v_rcp_iflag_f32_e32 v3, v3
	s_waitcnt_depctr 0xfff
	v_mul_f32_e32 v3, 0x4f7ffffe, v3
	v_cvt_u32_f32_e32 v3, v3
	s_delay_alu instid0(VALU_DEP_1) | instskip(NEXT) | instid1(VALU_DEP_1)
	v_mul_lo_u32 v5, s14, v3
	v_mul_hi_u32 v5, v3, v5
	s_delay_alu instid0(VALU_DEP_1) | instskip(NEXT) | instid1(VALU_DEP_1)
	v_add_nc_u32_e32 v3, v3, v5
	v_mul_hi_u32 v3, v16, v3
	s_delay_alu instid0(VALU_DEP_1) | instskip(SKIP_1) | instid1(VALU_DEP_2)
	v_mul_lo_u32 v5, v3, s51
	v_add_nc_u32_e32 v7, 1, v3
	v_sub_nc_u32_e32 v5, v16, v5
	s_delay_alu instid0(VALU_DEP_1) | instskip(SKIP_1) | instid1(VALU_DEP_4)
	v_cmp_le_u32_e32 vcc_lo, s51, v5
	v_subrev_nc_u32_e32 v9, s51, v5
	v_cndmask_b32_e32 v3, v3, v7, vcc_lo
	s_delay_alu instid0(VALU_DEP_1) | instskip(NEXT) | instid1(VALU_DEP_3)
	v_add_nc_u32_e32 v7, 1, v3
	v_cndmask_b32_e32 v5, v5, v9, vcc_lo
	s_delay_alu instid0(VALU_DEP_1) | instskip(NEXT) | instid1(VALU_DEP_3)
	v_cmp_le_u32_e32 vcc_lo, s51, v5
	v_cndmask_b32_e32 v18, v3, v7, vcc_lo
.LBB52_48:                              ;   in Loop: Header=BB52_24 Depth=2
	s_or_b32 exec_lo, exec_lo, s0
	s_add_u32 s20, s30, s18
	s_addc_u32 s21, s1, s19
	s_add_i32 s14, s16, 1
	s_mov_b32 s17, exec_lo
	s_lshl_b64 s[18:19], s[14:15], 2
                                        ; implicit-def: $vgpr20_vgpr21
	s_delay_alu instid0(SALU_CYCLE_1)
	s_add_u32 s22, s26, s18
	s_addc_u32 s23, s27, s19
	s_clause 0x1
	s_load_b32 s52, s[22:23], 0x0
	s_load_b32 s14, s[20:21], 0x0
	s_waitcnt lgkmcnt(0)
	s_ashr_i32 s0, s52, 31
	s_delay_alu instid0(SALU_CYCLE_1) | instskip(NEXT) | instid1(VALU_DEP_1)
	v_or_b32_e32 v3, s0, v19
	v_cmpx_ne_u64_e32 0, v[2:3]
	s_xor_b32 s17, exec_lo, s17
	s_cbranch_execz .LBB52_50
; %bb.49:                               ;   in Loop: Header=BB52_24 Depth=2
	s_add_u32 s22, s52, s0
	s_mov_b32 s20, s0
	s_mov_b32 s21, s0
	s_addc_u32 s23, s0, s0
	s_delay_alu instid0(SALU_CYCLE_1) | instskip(NEXT) | instid1(SALU_CYCLE_1)
	s_xor_b64 s[22:23], s[22:23], s[20:21]
	v_cvt_f32_u32_e32 v3, s22
	v_cvt_f32_u32_e32 v5, s23
	s_sub_u32 s0, 0, s22
	s_subb_u32 s53, 0, s23
	s_delay_alu instid0(VALU_DEP_1) | instskip(NEXT) | instid1(VALU_DEP_1)
	v_fmac_f32_e32 v3, 0x4f800000, v5
	v_rcp_f32_e32 v3, v3
	s_waitcnt_depctr 0xfff
	v_mul_f32_e32 v3, 0x5f7ffffc, v3
	s_delay_alu instid0(VALU_DEP_1) | instskip(NEXT) | instid1(VALU_DEP_1)
	v_mul_f32_e32 v5, 0x2f800000, v3
	v_trunc_f32_e32 v5, v5
	s_delay_alu instid0(VALU_DEP_1) | instskip(SKIP_1) | instid1(VALU_DEP_2)
	v_fmac_f32_e32 v3, 0xcf800000, v5
	v_cvt_u32_f32_e32 v5, v5
	v_cvt_u32_f32_e32 v3, v3
	s_delay_alu instid0(VALU_DEP_2) | instskip(NEXT) | instid1(VALU_DEP_2)
	v_mul_lo_u32 v7, s0, v5
	v_mul_hi_u32 v9, s0, v3
	v_mul_lo_u32 v11, s53, v3
	s_delay_alu instid0(VALU_DEP_2) | instskip(SKIP_1) | instid1(VALU_DEP_2)
	v_add_nc_u32_e32 v7, v9, v7
	v_mul_lo_u32 v9, s0, v3
	v_add_nc_u32_e32 v7, v7, v11
	s_delay_alu instid0(VALU_DEP_2) | instskip(NEXT) | instid1(VALU_DEP_2)
	v_mul_hi_u32 v11, v3, v9
	v_mul_lo_u32 v13, v3, v7
	v_mul_hi_u32 v15, v3, v7
	v_mul_hi_u32 v17, v5, v9
	v_mul_lo_u32 v9, v5, v9
	v_mul_hi_u32 v20, v5, v7
	v_mul_lo_u32 v7, v5, v7
	v_add_co_u32 v11, vcc_lo, v11, v13
	v_add_co_ci_u32_e32 v13, vcc_lo, 0, v15, vcc_lo
	s_delay_alu instid0(VALU_DEP_2) | instskip(NEXT) | instid1(VALU_DEP_2)
	v_add_co_u32 v9, vcc_lo, v11, v9
	v_add_co_ci_u32_e32 v9, vcc_lo, v13, v17, vcc_lo
	v_add_co_ci_u32_e32 v11, vcc_lo, 0, v20, vcc_lo
	v_ashrrev_i32_e32 v17, 31, v19
	s_delay_alu instid0(VALU_DEP_3) | instskip(NEXT) | instid1(VALU_DEP_3)
	v_add_co_u32 v7, vcc_lo, v9, v7
	v_add_co_ci_u32_e32 v9, vcc_lo, 0, v11, vcc_lo
	s_delay_alu instid0(VALU_DEP_2) | instskip(NEXT) | instid1(VALU_DEP_2)
	v_add_co_u32 v3, vcc_lo, v3, v7
	v_add_co_ci_u32_e32 v5, vcc_lo, v5, v9, vcc_lo
	s_delay_alu instid0(VALU_DEP_2) | instskip(SKIP_1) | instid1(VALU_DEP_3)
	v_mul_hi_u32 v7, s0, v3
	v_mul_lo_u32 v11, s53, v3
	v_mul_lo_u32 v9, s0, v5
	s_delay_alu instid0(VALU_DEP_1) | instskip(SKIP_1) | instid1(VALU_DEP_2)
	v_add_nc_u32_e32 v7, v7, v9
	v_mul_lo_u32 v9, s0, v3
	v_add_nc_u32_e32 v7, v7, v11
	s_delay_alu instid0(VALU_DEP_2) | instskip(NEXT) | instid1(VALU_DEP_2)
	v_mul_hi_u32 v11, v3, v9
	v_mul_lo_u32 v13, v3, v7
	v_mul_hi_u32 v15, v3, v7
	v_mul_hi_u32 v20, v5, v9
	v_mul_lo_u32 v9, v5, v9
	v_mul_hi_u32 v21, v5, v7
	v_mul_lo_u32 v7, v5, v7
	v_add_co_u32 v11, vcc_lo, v11, v13
	v_add_co_ci_u32_e32 v13, vcc_lo, 0, v15, vcc_lo
	s_delay_alu instid0(VALU_DEP_2) | instskip(NEXT) | instid1(VALU_DEP_2)
	v_add_co_u32 v9, vcc_lo, v11, v9
	v_add_co_ci_u32_e32 v9, vcc_lo, v13, v20, vcc_lo
	v_add_co_ci_u32_e32 v11, vcc_lo, 0, v21, vcc_lo
	v_add_co_u32 v13, vcc_lo, v18, v17
	v_add_co_ci_u32_e32 v15, vcc_lo, v19, v17, vcc_lo
	s_delay_alu instid0(VALU_DEP_4) | instskip(NEXT) | instid1(VALU_DEP_4)
	v_add_co_u32 v7, vcc_lo, v9, v7
	v_add_co_ci_u32_e32 v9, vcc_lo, 0, v11, vcc_lo
	s_delay_alu instid0(VALU_DEP_4) | instskip(NEXT) | instid1(VALU_DEP_3)
	v_xor_b32_e32 v11, v13, v17
	v_add_co_u32 v3, vcc_lo, v3, v7
	s_delay_alu instid0(VALU_DEP_3) | instskip(SKIP_1) | instid1(VALU_DEP_3)
	v_add_co_ci_u32_e32 v5, vcc_lo, v5, v9, vcc_lo
	v_xor_b32_e32 v7, v15, v17
	v_mul_hi_u32 v9, v11, v3
	s_delay_alu instid0(VALU_DEP_3) | instskip(NEXT) | instid1(VALU_DEP_3)
	v_mad_u64_u32 v[19:20], null, v11, v5, 0
	v_mad_u64_u32 v[21:22], null, v7, v3, 0
	;; [unrolled: 1-line block ×3, first 2 shown]
	s_delay_alu instid0(VALU_DEP_3) | instskip(NEXT) | instid1(VALU_DEP_4)
	v_add_co_u32 v3, vcc_lo, v9, v19
	v_add_co_ci_u32_e32 v5, vcc_lo, 0, v20, vcc_lo
	s_delay_alu instid0(VALU_DEP_2) | instskip(NEXT) | instid1(VALU_DEP_2)
	v_add_co_u32 v3, vcc_lo, v3, v21
	v_add_co_ci_u32_e32 v3, vcc_lo, v5, v22, vcc_lo
	v_add_co_ci_u32_e32 v5, vcc_lo, 0, v28, vcc_lo
	s_delay_alu instid0(VALU_DEP_2) | instskip(NEXT) | instid1(VALU_DEP_2)
	v_add_co_u32 v3, vcc_lo, v3, v27
	v_add_co_ci_u32_e32 v5, vcc_lo, 0, v5, vcc_lo
	s_delay_alu instid0(VALU_DEP_2) | instskip(SKIP_1) | instid1(VALU_DEP_3)
	v_mul_lo_u32 v9, s23, v3
	v_mad_u64_u32 v[19:20], null, s22, v3, 0
	v_mul_lo_u32 v13, s22, v5
	s_delay_alu instid0(VALU_DEP_2) | instskip(NEXT) | instid1(VALU_DEP_2)
	v_sub_co_u32 v11, vcc_lo, v11, v19
	v_add3_u32 v9, v20, v13, v9
	s_delay_alu instid0(VALU_DEP_1) | instskip(NEXT) | instid1(VALU_DEP_1)
	v_sub_nc_u32_e32 v13, v7, v9
	v_subrev_co_ci_u32_e64 v13, s0, s23, v13, vcc_lo
	v_add_co_u32 v15, s0, v3, 2
	s_delay_alu instid0(VALU_DEP_1) | instskip(SKIP_3) | instid1(VALU_DEP_3)
	v_add_co_ci_u32_e64 v19, s0, 0, v5, s0
	v_sub_co_u32 v20, s0, v11, s22
	v_sub_co_ci_u32_e32 v7, vcc_lo, v7, v9, vcc_lo
	v_subrev_co_ci_u32_e64 v13, s0, 0, v13, s0
	v_cmp_le_u32_e32 vcc_lo, s22, v20
	s_delay_alu instid0(VALU_DEP_3) | instskip(SKIP_1) | instid1(VALU_DEP_4)
	v_cmp_eq_u32_e64 s0, s23, v7
	v_cndmask_b32_e64 v9, 0, -1, vcc_lo
	v_cmp_le_u32_e32 vcc_lo, s23, v13
	v_cndmask_b32_e64 v20, 0, -1, vcc_lo
	v_cmp_le_u32_e32 vcc_lo, s22, v11
	;; [unrolled: 2-line block ×3, first 2 shown]
	v_cndmask_b32_e64 v21, 0, -1, vcc_lo
	v_cmp_eq_u32_e32 vcc_lo, s23, v13
	s_delay_alu instid0(VALU_DEP_2) | instskip(SKIP_3) | instid1(VALU_DEP_3)
	v_cndmask_b32_e64 v7, v21, v11, s0
	v_cndmask_b32_e32 v9, v20, v9, vcc_lo
	v_add_co_u32 v13, vcc_lo, v3, 1
	v_add_co_ci_u32_e32 v20, vcc_lo, 0, v5, vcc_lo
	v_cmp_ne_u32_e32 vcc_lo, 0, v9
	s_delay_alu instid0(VALU_DEP_2) | instskip(NEXT) | instid1(VALU_DEP_4)
	v_cndmask_b32_e32 v9, v20, v19, vcc_lo
	v_cndmask_b32_e32 v11, v13, v15, vcc_lo
	v_cmp_ne_u32_e32 vcc_lo, 0, v7
	v_xor_b32_e32 v7, s20, v17
	s_delay_alu instid0(VALU_DEP_3) | instskip(SKIP_2) | instid1(VALU_DEP_3)
	v_cndmask_b32_e32 v3, v3, v11, vcc_lo
	v_cndmask_b32_e32 v5, v5, v9, vcc_lo
	v_xor_b32_e32 v9, s21, v17
	v_xor_b32_e32 v3, v3, v7
	s_delay_alu instid0(VALU_DEP_2) | instskip(NEXT) | instid1(VALU_DEP_2)
	v_xor_b32_e32 v5, v5, v9
	v_sub_co_u32 v20, vcc_lo, v3, v7
	s_delay_alu instid0(VALU_DEP_2)
	v_sub_co_ci_u32_e32 v21, vcc_lo, v5, v9, vcc_lo
.LBB52_50:                              ;   in Loop: Header=BB52_24 Depth=2
	s_and_not1_saveexec_b32 s0, s17
	s_cbranch_execz .LBB52_52
; %bb.51:                               ;   in Loop: Header=BB52_24 Depth=2
	v_cvt_f32_u32_e32 v3, s52
	s_sub_i32 s17, 0, s52
	v_mov_b32_e32 v21, v2
	s_delay_alu instid0(VALU_DEP_2) | instskip(SKIP_2) | instid1(VALU_DEP_1)
	v_rcp_iflag_f32_e32 v3, v3
	s_waitcnt_depctr 0xfff
	v_mul_f32_e32 v3, 0x4f7ffffe, v3
	v_cvt_u32_f32_e32 v3, v3
	s_delay_alu instid0(VALU_DEP_1) | instskip(NEXT) | instid1(VALU_DEP_1)
	v_mul_lo_u32 v5, s17, v3
	v_mul_hi_u32 v5, v3, v5
	s_delay_alu instid0(VALU_DEP_1) | instskip(NEXT) | instid1(VALU_DEP_1)
	v_add_nc_u32_e32 v3, v3, v5
	v_mul_hi_u32 v3, v18, v3
	s_delay_alu instid0(VALU_DEP_1) | instskip(SKIP_1) | instid1(VALU_DEP_2)
	v_mul_lo_u32 v5, v3, s52
	v_add_nc_u32_e32 v7, 1, v3
	v_sub_nc_u32_e32 v5, v18, v5
	s_delay_alu instid0(VALU_DEP_1) | instskip(SKIP_1) | instid1(VALU_DEP_4)
	v_cmp_le_u32_e32 vcc_lo, s52, v5
	v_subrev_nc_u32_e32 v9, s52, v5
	v_cndmask_b32_e32 v3, v3, v7, vcc_lo
	s_delay_alu instid0(VALU_DEP_1) | instskip(NEXT) | instid1(VALU_DEP_3)
	v_add_nc_u32_e32 v7, 1, v3
	v_cndmask_b32_e32 v5, v5, v9, vcc_lo
	s_delay_alu instid0(VALU_DEP_1) | instskip(NEXT) | instid1(VALU_DEP_3)
	v_cmp_le_u32_e32 vcc_lo, s52, v5
	v_cndmask_b32_e32 v20, v3, v7, vcc_lo
.LBB52_52:                              ;   in Loop: Header=BB52_24 Depth=2
	s_or_b32 exec_lo, exec_lo, s0
	s_mov_b32 s17, s15
	s_add_u32 s20, s30, s18
	s_addc_u32 s21, s1, s19
	s_lshl_b64 s[18:19], s[16:17], 2
                                        ; implicit-def: $vgpr22_vgpr23
	s_delay_alu instid0(SALU_CYCLE_1)
	s_add_u32 s22, s26, s18
	s_addc_u32 s23, s27, s19
	s_clause 0x1
	s_load_b32 s53, s[22:23], 0x0
	s_load_b32 s17, s[20:21], 0x0
	s_mov_b32 s20, exec_lo
	s_waitcnt lgkmcnt(0)
	s_ashr_i32 s0, s53, 31
	s_delay_alu instid0(SALU_CYCLE_1) | instskip(NEXT) | instid1(VALU_DEP_1)
	v_or_b32_e32 v3, s0, v21
	v_cmpx_ne_u64_e32 0, v[2:3]
	s_xor_b32 s54, exec_lo, s20
	s_cbranch_execz .LBB52_54
; %bb.53:                               ;   in Loop: Header=BB52_24 Depth=2
	s_add_u32 s22, s53, s0
	s_mov_b32 s20, s0
	s_mov_b32 s21, s0
	s_addc_u32 s23, s0, s0
	s_delay_alu instid0(SALU_CYCLE_1) | instskip(NEXT) | instid1(SALU_CYCLE_1)
	s_xor_b64 s[22:23], s[22:23], s[20:21]
	v_cvt_f32_u32_e32 v3, s22
	v_cvt_f32_u32_e32 v5, s23
	s_sub_u32 s0, 0, s22
	s_subb_u32 s55, 0, s23
	s_delay_alu instid0(VALU_DEP_1) | instskip(NEXT) | instid1(VALU_DEP_1)
	v_fmac_f32_e32 v3, 0x4f800000, v5
	v_rcp_f32_e32 v3, v3
	s_waitcnt_depctr 0xfff
	v_mul_f32_e32 v3, 0x5f7ffffc, v3
	s_delay_alu instid0(VALU_DEP_1) | instskip(NEXT) | instid1(VALU_DEP_1)
	v_mul_f32_e32 v5, 0x2f800000, v3
	v_trunc_f32_e32 v5, v5
	s_delay_alu instid0(VALU_DEP_1) | instskip(SKIP_1) | instid1(VALU_DEP_2)
	v_fmac_f32_e32 v3, 0xcf800000, v5
	v_cvt_u32_f32_e32 v5, v5
	v_cvt_u32_f32_e32 v3, v3
	s_delay_alu instid0(VALU_DEP_2) | instskip(NEXT) | instid1(VALU_DEP_2)
	v_mul_lo_u32 v7, s0, v5
	v_mul_hi_u32 v9, s0, v3
	v_mul_lo_u32 v11, s55, v3
	s_delay_alu instid0(VALU_DEP_2) | instskip(SKIP_1) | instid1(VALU_DEP_2)
	v_add_nc_u32_e32 v7, v9, v7
	v_mul_lo_u32 v9, s0, v3
	v_add_nc_u32_e32 v7, v7, v11
	s_delay_alu instid0(VALU_DEP_2) | instskip(NEXT) | instid1(VALU_DEP_2)
	v_mul_hi_u32 v11, v3, v9
	v_mul_lo_u32 v13, v3, v7
	v_mul_hi_u32 v15, v3, v7
	v_mul_hi_u32 v17, v5, v9
	v_mul_lo_u32 v9, v5, v9
	v_mul_hi_u32 v19, v5, v7
	v_mul_lo_u32 v7, v5, v7
	v_add_co_u32 v11, vcc_lo, v11, v13
	v_add_co_ci_u32_e32 v13, vcc_lo, 0, v15, vcc_lo
	s_delay_alu instid0(VALU_DEP_2) | instskip(NEXT) | instid1(VALU_DEP_2)
	v_add_co_u32 v9, vcc_lo, v11, v9
	v_add_co_ci_u32_e32 v9, vcc_lo, v13, v17, vcc_lo
	v_add_co_ci_u32_e32 v11, vcc_lo, 0, v19, vcc_lo
	v_ashrrev_i32_e32 v17, 31, v21
	s_delay_alu instid0(VALU_DEP_3) | instskip(NEXT) | instid1(VALU_DEP_3)
	v_add_co_u32 v7, vcc_lo, v9, v7
	v_add_co_ci_u32_e32 v9, vcc_lo, 0, v11, vcc_lo
	s_delay_alu instid0(VALU_DEP_2) | instskip(NEXT) | instid1(VALU_DEP_2)
	v_add_co_u32 v3, vcc_lo, v3, v7
	v_add_co_ci_u32_e32 v5, vcc_lo, v5, v9, vcc_lo
	s_delay_alu instid0(VALU_DEP_2) | instskip(SKIP_1) | instid1(VALU_DEP_3)
	v_mul_hi_u32 v7, s0, v3
	v_mul_lo_u32 v11, s55, v3
	v_mul_lo_u32 v9, s0, v5
	s_delay_alu instid0(VALU_DEP_1) | instskip(SKIP_1) | instid1(VALU_DEP_2)
	v_add_nc_u32_e32 v7, v7, v9
	v_mul_lo_u32 v9, s0, v3
	v_add_nc_u32_e32 v7, v7, v11
	s_delay_alu instid0(VALU_DEP_2) | instskip(NEXT) | instid1(VALU_DEP_2)
	v_mul_hi_u32 v11, v3, v9
	v_mul_lo_u32 v13, v3, v7
	v_mul_hi_u32 v15, v3, v7
	v_mul_hi_u32 v19, v5, v9
	v_mul_lo_u32 v9, v5, v9
	v_mul_hi_u32 v22, v5, v7
	v_mul_lo_u32 v7, v5, v7
	v_add_co_u32 v11, vcc_lo, v11, v13
	v_add_co_ci_u32_e32 v13, vcc_lo, 0, v15, vcc_lo
	s_delay_alu instid0(VALU_DEP_2) | instskip(NEXT) | instid1(VALU_DEP_2)
	v_add_co_u32 v9, vcc_lo, v11, v9
	v_add_co_ci_u32_e32 v9, vcc_lo, v13, v19, vcc_lo
	v_add_co_ci_u32_e32 v11, vcc_lo, 0, v22, vcc_lo
	v_add_co_u32 v13, vcc_lo, v20, v17
	v_add_co_ci_u32_e32 v15, vcc_lo, v21, v17, vcc_lo
	s_delay_alu instid0(VALU_DEP_4) | instskip(NEXT) | instid1(VALU_DEP_4)
	v_add_co_u32 v7, vcc_lo, v9, v7
	v_add_co_ci_u32_e32 v9, vcc_lo, 0, v11, vcc_lo
	s_delay_alu instid0(VALU_DEP_4) | instskip(NEXT) | instid1(VALU_DEP_3)
	v_xor_b32_e32 v11, v13, v17
	v_add_co_u32 v3, vcc_lo, v3, v7
	s_delay_alu instid0(VALU_DEP_3) | instskip(SKIP_1) | instid1(VALU_DEP_3)
	v_add_co_ci_u32_e32 v5, vcc_lo, v5, v9, vcc_lo
	v_xor_b32_e32 v7, v15, v17
	v_mul_hi_u32 v9, v11, v3
	s_delay_alu instid0(VALU_DEP_3) | instskip(NEXT) | instid1(VALU_DEP_3)
	v_mad_u64_u32 v[21:22], null, v11, v5, 0
	v_mad_u64_u32 v[27:28], null, v7, v3, 0
	;; [unrolled: 1-line block ×3, first 2 shown]
	s_delay_alu instid0(VALU_DEP_3) | instskip(NEXT) | instid1(VALU_DEP_4)
	v_add_co_u32 v3, vcc_lo, v9, v21
	v_add_co_ci_u32_e32 v5, vcc_lo, 0, v22, vcc_lo
	s_delay_alu instid0(VALU_DEP_2) | instskip(NEXT) | instid1(VALU_DEP_2)
	v_add_co_u32 v3, vcc_lo, v3, v27
	v_add_co_ci_u32_e32 v3, vcc_lo, v5, v28, vcc_lo
	v_add_co_ci_u32_e32 v5, vcc_lo, 0, v30, vcc_lo
	s_delay_alu instid0(VALU_DEP_2) | instskip(NEXT) | instid1(VALU_DEP_2)
	v_add_co_u32 v3, vcc_lo, v3, v29
	v_add_co_ci_u32_e32 v5, vcc_lo, 0, v5, vcc_lo
	s_delay_alu instid0(VALU_DEP_2) | instskip(SKIP_1) | instid1(VALU_DEP_3)
	v_mul_lo_u32 v9, s23, v3
	v_mad_u64_u32 v[21:22], null, s22, v3, 0
	v_mul_lo_u32 v13, s22, v5
	s_delay_alu instid0(VALU_DEP_2) | instskip(NEXT) | instid1(VALU_DEP_2)
	v_sub_co_u32 v11, vcc_lo, v11, v21
	v_add3_u32 v9, v22, v13, v9
	s_delay_alu instid0(VALU_DEP_1) | instskip(NEXT) | instid1(VALU_DEP_1)
	v_sub_nc_u32_e32 v13, v7, v9
	v_subrev_co_ci_u32_e64 v13, s0, s23, v13, vcc_lo
	v_add_co_u32 v15, s0, v3, 2
	s_delay_alu instid0(VALU_DEP_1) | instskip(SKIP_3) | instid1(VALU_DEP_3)
	v_add_co_ci_u32_e64 v19, s0, 0, v5, s0
	v_sub_co_u32 v21, s0, v11, s22
	v_sub_co_ci_u32_e32 v7, vcc_lo, v7, v9, vcc_lo
	v_subrev_co_ci_u32_e64 v13, s0, 0, v13, s0
	v_cmp_le_u32_e32 vcc_lo, s22, v21
	s_delay_alu instid0(VALU_DEP_3) | instskip(SKIP_1) | instid1(VALU_DEP_4)
	v_cmp_eq_u32_e64 s0, s23, v7
	v_cndmask_b32_e64 v9, 0, -1, vcc_lo
	v_cmp_le_u32_e32 vcc_lo, s23, v13
	v_cndmask_b32_e64 v21, 0, -1, vcc_lo
	v_cmp_le_u32_e32 vcc_lo, s22, v11
	;; [unrolled: 2-line block ×3, first 2 shown]
	v_cndmask_b32_e64 v22, 0, -1, vcc_lo
	v_cmp_eq_u32_e32 vcc_lo, s23, v13
	s_delay_alu instid0(VALU_DEP_2) | instskip(SKIP_3) | instid1(VALU_DEP_3)
	v_cndmask_b32_e64 v7, v22, v11, s0
	v_cndmask_b32_e32 v9, v21, v9, vcc_lo
	v_add_co_u32 v13, vcc_lo, v3, 1
	v_add_co_ci_u32_e32 v21, vcc_lo, 0, v5, vcc_lo
	v_cmp_ne_u32_e32 vcc_lo, 0, v9
	s_delay_alu instid0(VALU_DEP_2) | instskip(NEXT) | instid1(VALU_DEP_4)
	v_cndmask_b32_e32 v9, v21, v19, vcc_lo
	v_cndmask_b32_e32 v11, v13, v15, vcc_lo
	v_cmp_ne_u32_e32 vcc_lo, 0, v7
	v_xor_b32_e32 v7, s20, v17
	s_delay_alu instid0(VALU_DEP_3) | instskip(SKIP_2) | instid1(VALU_DEP_3)
	v_cndmask_b32_e32 v3, v3, v11, vcc_lo
	v_cndmask_b32_e32 v5, v5, v9, vcc_lo
	v_xor_b32_e32 v9, s21, v17
	v_xor_b32_e32 v3, v3, v7
	s_delay_alu instid0(VALU_DEP_2) | instskip(NEXT) | instid1(VALU_DEP_2)
	v_xor_b32_e32 v5, v5, v9
	v_sub_co_u32 v22, vcc_lo, v3, v7
	s_delay_alu instid0(VALU_DEP_2)
	v_sub_co_ci_u32_e32 v23, vcc_lo, v5, v9, vcc_lo
.LBB52_54:                              ;   in Loop: Header=BB52_24 Depth=2
	s_and_not1_saveexec_b32 s0, s54
	s_cbranch_execz .LBB52_56
; %bb.55:                               ;   in Loop: Header=BB52_24 Depth=2
	v_cvt_f32_u32_e32 v3, s53
	s_sub_i32 s20, 0, s53
	v_mov_b32_e32 v23, v2
	s_delay_alu instid0(VALU_DEP_2) | instskip(SKIP_2) | instid1(VALU_DEP_1)
	v_rcp_iflag_f32_e32 v3, v3
	s_waitcnt_depctr 0xfff
	v_mul_f32_e32 v3, 0x4f7ffffe, v3
	v_cvt_u32_f32_e32 v3, v3
	s_delay_alu instid0(VALU_DEP_1) | instskip(NEXT) | instid1(VALU_DEP_1)
	v_mul_lo_u32 v5, s20, v3
	v_mul_hi_u32 v5, v3, v5
	s_delay_alu instid0(VALU_DEP_1) | instskip(NEXT) | instid1(VALU_DEP_1)
	v_add_nc_u32_e32 v3, v3, v5
	v_mul_hi_u32 v3, v20, v3
	s_delay_alu instid0(VALU_DEP_1) | instskip(SKIP_1) | instid1(VALU_DEP_2)
	v_mul_lo_u32 v5, v3, s53
	v_add_nc_u32_e32 v7, 1, v3
	v_sub_nc_u32_e32 v5, v20, v5
	s_delay_alu instid0(VALU_DEP_1) | instskip(SKIP_1) | instid1(VALU_DEP_4)
	v_cmp_le_u32_e32 vcc_lo, s53, v5
	v_subrev_nc_u32_e32 v9, s53, v5
	v_cndmask_b32_e32 v3, v3, v7, vcc_lo
	s_delay_alu instid0(VALU_DEP_1) | instskip(NEXT) | instid1(VALU_DEP_3)
	v_add_nc_u32_e32 v7, 1, v3
	v_cndmask_b32_e32 v5, v5, v9, vcc_lo
	s_delay_alu instid0(VALU_DEP_1) | instskip(NEXT) | instid1(VALU_DEP_3)
	v_cmp_le_u32_e32 vcc_lo, s53, v5
	v_cndmask_b32_e32 v22, v3, v7, vcc_lo
.LBB52_56:                              ;   in Loop: Header=BB52_24 Depth=2
	s_or_b32 exec_lo, exec_lo, s0
	v_mul_lo_u32 v3, v8, s41
	v_mul_lo_u32 v5, v10, s43
	;; [unrolled: 1-line block ×4, first 2 shown]
	s_add_u32 s18, s30, s18
	s_addc_u32 s19, s1, s19
	v_mul_lo_u32 v11, v16, s49
	s_load_b32 s0, s[18:19], 0x0
	v_sub_nc_u32_e32 v3, v6, v3
	v_sub_nc_u32_e32 v5, v8, v5
	v_mul_lo_u32 v6, v18, s51
	v_sub_nc_u32_e32 v7, v10, v7
	v_sub_nc_u32_e32 v9, v12, v9
	v_mul_lo_u32 v3, s42, v3
	v_mul_lo_u32 v5, s44, v5
	;; [unrolled: 1-line block ×4, first 2 shown]
	v_sub_nc_u32_e32 v11, v14, v11
	v_sub_nc_u32_e32 v6, v16, v6
	v_mul_lo_u32 v7, s46, v7
	v_mul_lo_u32 v9, s48, v9
	s_add_i32 s16, s16, -8
	v_add3_u32 v3, v3, v4, v5
	v_mul_lo_u32 v4, s50, v11
	v_sub_nc_u32_e32 v5, v18, v8
	v_sub_nc_u32_e32 v8, v20, v10
	v_mul_lo_u32 v6, s14, v6
	s_cmp_eq_u32 s16, -8
	v_add3_u32 v3, v7, v3, v9
	v_mul_lo_u32 v5, s17, v5
	s_waitcnt lgkmcnt(0)
	v_mul_lo_u32 v7, s0, v8
	s_delay_alu instid0(VALU_DEP_3) | instskip(NEXT) | instid1(VALU_DEP_1)
	v_add3_u32 v3, v4, v3, v6
	v_add3_u32 v4, v5, v3, v7
	s_cbranch_scc1 .LBB52_58
; %bb.57:                               ;   in Loop: Header=BB52_24 Depth=2
	v_dual_mov_b32 v6, v22 :: v_dual_mov_b32 v7, v23
	s_branch .LBB52_24
.LBB52_58:                              ;   in Loop: Header=BB52_3 Depth=1
	s_load_b32 s0, s[12:13], 0x0
	s_waitcnt lgkmcnt(0)
	v_cmp_gt_i32_e32 vcc_lo, s0, v26
	s_and_b32 exec_lo, exec_lo, vcc_lo
	s_cbranch_execz .LBB52_2
; %bb.59:                               ;   in Loop: Header=BB52_3 Depth=1
	s_delay_alu instid0(VALU_DEP_2) | instskip(SKIP_2) | instid1(VALU_DEP_3)
	v_ashrrev_i32_e32 v6, 31, v4
	v_add_nc_u32_e32 v3, 1, v26
	v_add_co_u32 v5, vcc_lo, s2, v4
	v_add_co_ci_u32_e32 v6, vcc_lo, s3, v6, vcc_lo
	s_delay_alu instid0(VALU_DEP_3)
	v_cmp_gt_i32_e32 vcc_lo, s0, v3
	global_store_b8 v[5:6], v2, off
	s_and_b32 exec_lo, exec_lo, vcc_lo
	s_cbranch_execz .LBB52_2
; %bb.60:                               ;   in Loop: Header=BB52_3 Depth=1
	v_sub_nc_u32_e32 v5, v3, v25
	s_mov_b32 s14, exec_lo
	s_delay_alu instid0(VALU_DEP_1) | instskip(NEXT) | instid1(VALU_DEP_1)
	v_ashrrev_i32_e32 v6, 31, v5
	v_cmpx_gt_i64_e64 s[4:5], v[5:6]
	s_cbranch_execz .LBB52_62
; %bb.61:                               ;   in Loop: Header=BB52_3 Depth=1
	v_add_nc_u32_e32 v3, s40, v4
	s_delay_alu instid0(VALU_DEP_1) | instskip(SKIP_1) | instid1(VALU_DEP_2)
	v_ashrrev_i32_e32 v6, 31, v3
	v_add_co_u32 v5, vcc_lo, s2, v3
	v_add_co_ci_u32_e32 v6, vcc_lo, s3, v6, vcc_lo
	global_store_b8 v[5:6], v2, off
.LBB52_62:                              ;   in Loop: Header=BB52_3 Depth=1
	s_or_b32 exec_lo, exec_lo, s14
	v_add_nc_u32_e32 v3, 2, v26
	s_delay_alu instid0(VALU_DEP_1)
	v_cmp_gt_i32_e32 vcc_lo, s0, v3
	s_and_b32 exec_lo, exec_lo, vcc_lo
	s_cbranch_execz .LBB52_2
; %bb.63:                               ;   in Loop: Header=BB52_3 Depth=1
	v_sub_nc_u32_e32 v5, v3, v25
	s_mov_b32 s14, exec_lo
	s_delay_alu instid0(VALU_DEP_1) | instskip(NEXT) | instid1(VALU_DEP_1)
	v_ashrrev_i32_e32 v6, 31, v5
	v_cmpx_gt_i64_e64 s[4:5], v[5:6]
	s_cbranch_execz .LBB52_65
; %bb.64:                               ;   in Loop: Header=BB52_3 Depth=1
	v_lshl_add_u32 v3, s40, 1, v4
	s_delay_alu instid0(VALU_DEP_1) | instskip(SKIP_1) | instid1(VALU_DEP_2)
	v_ashrrev_i32_e32 v6, 31, v3
	v_add_co_u32 v5, vcc_lo, s2, v3
	v_add_co_ci_u32_e32 v6, vcc_lo, s3, v6, vcc_lo
	global_store_b8 v[5:6], v2, off
.LBB52_65:                              ;   in Loop: Header=BB52_3 Depth=1
	s_or_b32 exec_lo, exec_lo, s14
	v_add_nc_u32_e32 v3, 3, v26
	s_delay_alu instid0(VALU_DEP_1)
	v_cmp_gt_i32_e32 vcc_lo, s0, v3
	s_and_b32 exec_lo, exec_lo, vcc_lo
	s_cbranch_execz .LBB52_2
; %bb.66:                               ;   in Loop: Header=BB52_3 Depth=1
	v_sub_nc_u32_e32 v5, v3, v25
	s_delay_alu instid0(VALU_DEP_1) | instskip(NEXT) | instid1(VALU_DEP_1)
	v_ashrrev_i32_e32 v6, 31, v5
	v_cmp_gt_i64_e32 vcc_lo, s[4:5], v[5:6]
	s_and_b32 exec_lo, exec_lo, vcc_lo
	s_cbranch_execz .LBB52_2
; %bb.67:                               ;   in Loop: Header=BB52_3 Depth=1
	v_mad_u64_u32 v[5:6], null, s40, 3, v[4:5]
	s_delay_alu instid0(VALU_DEP_1) | instskip(SKIP_1) | instid1(VALU_DEP_2)
	v_ashrrev_i32_e32 v4, 31, v5
	v_add_co_u32 v3, vcc_lo, s2, v5
	v_add_co_ci_u32_e32 v4, vcc_lo, s3, v4, vcc_lo
	global_store_b8 v[3:4], v2, off
	s_branch .LBB52_2
.LBB52_68:
	s_nop 0
	s_sendmsg sendmsg(MSG_DEALLOC_VGPRS)
	s_endpgm
	.section	.rodata,"a",@progbits
	.p2align	6, 0x0
	.amdhsa_kernel _ZN2at6native16triu_tril_kernelIhiLb1ELi4ELb1EEEvNS_4cuda6detail10TensorInfoIT_T0_EENS4_IKS5_S6_EEllS6_
		.amdhsa_group_segment_fixed_size 0
		.amdhsa_private_segment_fixed_size 0
		.amdhsa_kernarg_size 712
		.amdhsa_user_sgpr_count 15
		.amdhsa_user_sgpr_dispatch_ptr 0
		.amdhsa_user_sgpr_queue_ptr 0
		.amdhsa_user_sgpr_kernarg_segment_ptr 1
		.amdhsa_user_sgpr_dispatch_id 0
		.amdhsa_user_sgpr_private_segment_size 0
		.amdhsa_wavefront_size32 1
		.amdhsa_uses_dynamic_stack 0
		.amdhsa_enable_private_segment 0
		.amdhsa_system_sgpr_workgroup_id_x 1
		.amdhsa_system_sgpr_workgroup_id_y 0
		.amdhsa_system_sgpr_workgroup_id_z 0
		.amdhsa_system_sgpr_workgroup_info 0
		.amdhsa_system_vgpr_workitem_id 0
		.amdhsa_next_free_vgpr 31
		.amdhsa_next_free_sgpr 56
		.amdhsa_reserve_vcc 1
		.amdhsa_float_round_mode_32 0
		.amdhsa_float_round_mode_16_64 0
		.amdhsa_float_denorm_mode_32 3
		.amdhsa_float_denorm_mode_16_64 3
		.amdhsa_dx10_clamp 1
		.amdhsa_ieee_mode 1
		.amdhsa_fp16_overflow 0
		.amdhsa_workgroup_processor_mode 1
		.amdhsa_memory_ordered 1
		.amdhsa_forward_progress 0
		.amdhsa_shared_vgpr_count 0
		.amdhsa_exception_fp_ieee_invalid_op 0
		.amdhsa_exception_fp_denorm_src 0
		.amdhsa_exception_fp_ieee_div_zero 0
		.amdhsa_exception_fp_ieee_overflow 0
		.amdhsa_exception_fp_ieee_underflow 0
		.amdhsa_exception_fp_ieee_inexact 0
		.amdhsa_exception_int_div_zero 0
	.end_amdhsa_kernel
	.section	.text._ZN2at6native16triu_tril_kernelIhiLb1ELi4ELb1EEEvNS_4cuda6detail10TensorInfoIT_T0_EENS4_IKS5_S6_EEllS6_,"axG",@progbits,_ZN2at6native16triu_tril_kernelIhiLb1ELi4ELb1EEEvNS_4cuda6detail10TensorInfoIT_T0_EENS4_IKS5_S6_EEllS6_,comdat
.Lfunc_end52:
	.size	_ZN2at6native16triu_tril_kernelIhiLb1ELi4ELb1EEEvNS_4cuda6detail10TensorInfoIT_T0_EENS4_IKS5_S6_EEllS6_, .Lfunc_end52-_ZN2at6native16triu_tril_kernelIhiLb1ELi4ELb1EEEvNS_4cuda6detail10TensorInfoIT_T0_EENS4_IKS5_S6_EEllS6_
                                        ; -- End function
	.section	.AMDGPU.csdata,"",@progbits
; Kernel info:
; codeLenInByte = 12532
; NumSgprs: 58
; NumVgprs: 31
; ScratchSize: 0
; MemoryBound: 0
; FloatMode: 240
; IeeeMode: 1
; LDSByteSize: 0 bytes/workgroup (compile time only)
; SGPRBlocks: 7
; VGPRBlocks: 3
; NumSGPRsForWavesPerEU: 58
; NumVGPRsForWavesPerEU: 31
; Occupancy: 16
; WaveLimiterHint : 0
; COMPUTE_PGM_RSRC2:SCRATCH_EN: 0
; COMPUTE_PGM_RSRC2:USER_SGPR: 15
; COMPUTE_PGM_RSRC2:TRAP_HANDLER: 0
; COMPUTE_PGM_RSRC2:TGID_X_EN: 1
; COMPUTE_PGM_RSRC2:TGID_Y_EN: 0
; COMPUTE_PGM_RSRC2:TGID_Z_EN: 0
; COMPUTE_PGM_RSRC2:TIDIG_COMP_CNT: 0
	.section	.text._ZN2at6native16triu_tril_kernelIhiLb1ELi4ELb0EEEvNS_4cuda6detail10TensorInfoIT_T0_EENS4_IKS5_S6_EEllS6_,"axG",@progbits,_ZN2at6native16triu_tril_kernelIhiLb1ELi4ELb0EEEvNS_4cuda6detail10TensorInfoIT_T0_EENS4_IKS5_S6_EEllS6_,comdat
	.protected	_ZN2at6native16triu_tril_kernelIhiLb1ELi4ELb0EEEvNS_4cuda6detail10TensorInfoIT_T0_EENS4_IKS5_S6_EEllS6_ ; -- Begin function _ZN2at6native16triu_tril_kernelIhiLb1ELi4ELb0EEEvNS_4cuda6detail10TensorInfoIT_T0_EENS4_IKS5_S6_EEllS6_
	.globl	_ZN2at6native16triu_tril_kernelIhiLb1ELi4ELb0EEEvNS_4cuda6detail10TensorInfoIT_T0_EENS4_IKS5_S6_EEllS6_
	.p2align	8
	.type	_ZN2at6native16triu_tril_kernelIhiLb1ELi4ELb0EEEvNS_4cuda6detail10TensorInfoIT_T0_EENS4_IKS5_S6_EEllS6_,@function
_ZN2at6native16triu_tril_kernelIhiLb1ELi4ELb0EEEvNS_4cuda6detail10TensorInfoIT_T0_EENS4_IKS5_S6_EEllS6_: ; @_ZN2at6native16triu_tril_kernelIhiLb1ELi4ELb0EEEvNS_4cuda6detail10TensorInfoIT_T0_EENS4_IKS5_S6_EEllS6_
; %bb.0:
	s_clause 0x1
	s_load_b32 s2, s[0:1], 0x1d4
	s_load_b128 s[4:7], s[0:1], 0x1b0
	v_mov_b32_e32 v2, 0
	s_add_u32 s8, s0, 0x1c8
	s_addc_u32 s9, s1, 0
	s_delay_alu instid0(VALU_DEP_1) | instskip(SKIP_3) | instid1(VALU_DEP_1)
	v_mov_b32_e32 v1, v2
	s_waitcnt lgkmcnt(0)
	s_and_b32 s10, s2, 0xffff
	s_mov_b32 s2, exec_lo
	v_mad_u64_u32 v[3:4], null, s10, s15, v[0:1]
	s_delay_alu instid0(VALU_DEP_1) | instskip(NEXT) | instid1(VALU_DEP_1)
	v_lshlrev_b64 v[0:1], 2, v[3:4]
	v_cmpx_gt_i64_e64 s[6:7], v[0:1]
	s_cbranch_execz .LBB53_55
; %bb.1:
	s_clause 0x1
	s_load_b32 s16, s[0:1], 0x1a8
	s_load_b32 s26, s[0:1], 0x1c0
	s_add_u32 s27, s0, 0xd8
	s_addc_u32 s28, s1, 0
	s_load_b32 s11, s[8:9], 0x0
	s_load_b64 s[2:3], s[0:1], 0xd8
	s_mov_b32 s41, 0
	s_waitcnt lgkmcnt(0)
	s_ashr_i32 s17, s16, 31
	s_ashr_i32 s29, s26, 31
	s_lshl_b64 s[8:9], s[16:17], 2
	v_cvt_f32_u32_e32 v3, s26
	s_add_u32 s14, s8, -8
	s_addc_u32 s15, s9, -1
	s_add_u32 s12, s27, s14
	s_addc_u32 s13, s28, s15
	v_rcp_iflag_f32_e32 v3, v3
	s_load_b64 s[8:9], s[12:13], 0x8
	s_mul_i32 s18, s11, s10
	s_load_b64 s[10:11], s[12:13], 0x6c
	s_waitcnt_depctr 0xfff
	v_mul_f32_e32 v3, 0x4f7ffffe, v3
	s_delay_alu instid0(VALU_DEP_1)
	v_cvt_u32_f32_e32 v3, v3
	s_waitcnt lgkmcnt(0)
	s_ashr_i32 s30, s8, 31
	s_add_u32 s31, s0, 0x6c
	s_addc_u32 s33, s1, 0
	s_add_u32 s12, s31, s14
	s_addc_u32 s13, s33, s15
	s_and_b32 s35, s16, 3
	s_add_i32 s34, s16, -3
	s_lshl_b32 s36, s18, 2
	s_cmp_lg_u32 s35, 2
	s_load_b64 s[12:13], s[12:13], 0x0
	s_cselect_b32 s37, -1, 0
	s_cmp_gt_u32 s34, 2
	s_cselect_b32 s38, -1, 0
	s_sub_i32 s14, 0, s26
	s_ashr_i32 s39, s11, 31
	v_mul_lo_u32 v4, s14, v3
	s_load_b64 s[14:15], s[0:1], 0x0
	v_cmp_gt_i64_e64 s1, s[16:17], 2
	s_mov_b32 s17, 0
	s_delay_alu instid0(VALU_DEP_2) | instskip(SKIP_2) | instid1(VALU_DEP_1)
	v_mul_hi_u32 v4, v3, v4
	s_waitcnt lgkmcnt(0)
	s_ashr_i32 s40, s13, 31
	v_add_nc_u32_e32 v18, v3, v4
	s_branch .LBB53_3
.LBB53_2:                               ;   in Loop: Header=BB53_3 Depth=1
	s_or_b32 exec_lo, exec_lo, s0
	v_add_co_u32 v0, vcc_lo, v0, s36
	v_add_co_ci_u32_e32 v1, vcc_lo, 0, v1, vcc_lo
	s_delay_alu instid0(VALU_DEP_1) | instskip(SKIP_1) | instid1(SALU_CYCLE_1)
	v_cmp_le_i64_e32 vcc_lo, s[6:7], v[0:1]
	s_or_b32 s41, vcc_lo, s41
	s_and_not1_b32 exec_lo, exec_lo, s41
	s_cbranch_execz .LBB53_55
.LBB53_3:                               ; =>This Loop Header: Depth=1
                                        ;     Child Loop BB53_14 Depth 2
                                        ;     Child Loop BB53_22 Depth 2
	v_or_b32_e32 v3, s29, v1
                                        ; implicit-def: $vgpr4_vgpr5
	s_mov_b32 s0, exec_lo
	s_delay_alu instid0(VALU_DEP_1)
	v_cmpx_ne_u64_e32 0, v[2:3]
	s_xor_b32 s16, exec_lo, s0
	s_cbranch_execz .LBB53_5
; %bb.4:                                ;   in Loop: Header=BB53_3 Depth=1
	s_add_u32 s20, s26, s29
	s_mov_b32 s18, s29
	s_mov_b32 s19, s29
	s_addc_u32 s21, s29, s29
	s_delay_alu instid0(SALU_CYCLE_1) | instskip(NEXT) | instid1(SALU_CYCLE_1)
	s_xor_b64 s[20:21], s[20:21], s[18:19]
	v_cvt_f32_u32_e32 v3, s20
	v_cvt_f32_u32_e32 v4, s21
	s_sub_u32 s0, 0, s20
	s_subb_u32 s22, 0, s21
	s_delay_alu instid0(VALU_DEP_1) | instskip(NEXT) | instid1(VALU_DEP_1)
	v_fmac_f32_e32 v3, 0x4f800000, v4
	v_rcp_f32_e32 v3, v3
	s_waitcnt_depctr 0xfff
	v_mul_f32_e32 v3, 0x5f7ffffc, v3
	s_delay_alu instid0(VALU_DEP_1) | instskip(NEXT) | instid1(VALU_DEP_1)
	v_mul_f32_e32 v4, 0x2f800000, v3
	v_trunc_f32_e32 v4, v4
	s_delay_alu instid0(VALU_DEP_1) | instskip(SKIP_1) | instid1(VALU_DEP_2)
	v_fmac_f32_e32 v3, 0xcf800000, v4
	v_cvt_u32_f32_e32 v4, v4
	v_cvt_u32_f32_e32 v3, v3
	s_delay_alu instid0(VALU_DEP_2) | instskip(NEXT) | instid1(VALU_DEP_2)
	v_mul_lo_u32 v5, s0, v4
	v_mul_hi_u32 v6, s0, v3
	v_mul_lo_u32 v7, s22, v3
	s_delay_alu instid0(VALU_DEP_2) | instskip(SKIP_1) | instid1(VALU_DEP_2)
	v_add_nc_u32_e32 v5, v6, v5
	v_mul_lo_u32 v6, s0, v3
	v_add_nc_u32_e32 v5, v5, v7
	s_delay_alu instid0(VALU_DEP_2) | instskip(NEXT) | instid1(VALU_DEP_2)
	v_mul_hi_u32 v7, v3, v6
	v_mul_lo_u32 v8, v3, v5
	v_mul_hi_u32 v9, v3, v5
	v_mul_hi_u32 v10, v4, v6
	v_mul_lo_u32 v6, v4, v6
	v_mul_hi_u32 v11, v4, v5
	v_mul_lo_u32 v5, v4, v5
	v_add_co_u32 v7, vcc_lo, v7, v8
	v_add_co_ci_u32_e32 v8, vcc_lo, 0, v9, vcc_lo
	s_delay_alu instid0(VALU_DEP_2) | instskip(NEXT) | instid1(VALU_DEP_2)
	v_add_co_u32 v6, vcc_lo, v7, v6
	v_add_co_ci_u32_e32 v6, vcc_lo, v8, v10, vcc_lo
	v_add_co_ci_u32_e32 v7, vcc_lo, 0, v11, vcc_lo
	v_ashrrev_i32_e32 v10, 31, v1
	s_delay_alu instid0(VALU_DEP_3) | instskip(NEXT) | instid1(VALU_DEP_3)
	v_add_co_u32 v5, vcc_lo, v6, v5
	v_add_co_ci_u32_e32 v6, vcc_lo, 0, v7, vcc_lo
	s_delay_alu instid0(VALU_DEP_2) | instskip(NEXT) | instid1(VALU_DEP_2)
	v_add_co_u32 v3, vcc_lo, v3, v5
	v_add_co_ci_u32_e32 v4, vcc_lo, v4, v6, vcc_lo
	s_delay_alu instid0(VALU_DEP_2) | instskip(SKIP_1) | instid1(VALU_DEP_3)
	v_mul_hi_u32 v5, s0, v3
	v_mul_lo_u32 v7, s22, v3
	v_mul_lo_u32 v6, s0, v4
	s_delay_alu instid0(VALU_DEP_1) | instskip(SKIP_1) | instid1(VALU_DEP_2)
	v_add_nc_u32_e32 v5, v5, v6
	v_mul_lo_u32 v6, s0, v3
	v_add_nc_u32_e32 v5, v5, v7
	s_delay_alu instid0(VALU_DEP_2) | instskip(NEXT) | instid1(VALU_DEP_2)
	v_mul_hi_u32 v7, v3, v6
	v_mul_lo_u32 v8, v3, v5
	v_mul_hi_u32 v9, v3, v5
	v_mul_hi_u32 v11, v4, v6
	v_mul_lo_u32 v6, v4, v6
	v_mul_hi_u32 v12, v4, v5
	v_mul_lo_u32 v5, v4, v5
	v_add_co_u32 v7, vcc_lo, v7, v8
	v_add_co_ci_u32_e32 v8, vcc_lo, 0, v9, vcc_lo
	s_delay_alu instid0(VALU_DEP_2) | instskip(NEXT) | instid1(VALU_DEP_2)
	v_add_co_u32 v6, vcc_lo, v7, v6
	v_add_co_ci_u32_e32 v6, vcc_lo, v8, v11, vcc_lo
	v_add_co_ci_u32_e32 v7, vcc_lo, 0, v12, vcc_lo
	v_add_co_u32 v8, vcc_lo, v0, v10
	v_add_co_ci_u32_e32 v9, vcc_lo, v1, v10, vcc_lo
	s_delay_alu instid0(VALU_DEP_4) | instskip(NEXT) | instid1(VALU_DEP_4)
	v_add_co_u32 v5, vcc_lo, v6, v5
	v_add_co_ci_u32_e32 v6, vcc_lo, 0, v7, vcc_lo
	s_delay_alu instid0(VALU_DEP_4) | instskip(NEXT) | instid1(VALU_DEP_3)
	v_xor_b32_e32 v11, v8, v10
	v_add_co_u32 v7, vcc_lo, v3, v5
	s_delay_alu instid0(VALU_DEP_3) | instskip(SKIP_1) | instid1(VALU_DEP_3)
	v_add_co_ci_u32_e32 v12, vcc_lo, v4, v6, vcc_lo
	v_xor_b32_e32 v9, v9, v10
	v_mul_hi_u32 v13, v11, v7
	s_delay_alu instid0(VALU_DEP_3) | instskip(NEXT) | instid1(VALU_DEP_3)
	v_mad_u64_u32 v[3:4], null, v11, v12, 0
	v_mad_u64_u32 v[5:6], null, v9, v7, 0
	;; [unrolled: 1-line block ×3, first 2 shown]
	s_delay_alu instid0(VALU_DEP_3) | instskip(NEXT) | instid1(VALU_DEP_4)
	v_add_co_u32 v3, vcc_lo, v13, v3
	v_add_co_ci_u32_e32 v4, vcc_lo, 0, v4, vcc_lo
	s_delay_alu instid0(VALU_DEP_2) | instskip(NEXT) | instid1(VALU_DEP_2)
	v_add_co_u32 v3, vcc_lo, v3, v5
	v_add_co_ci_u32_e32 v3, vcc_lo, v4, v6, vcc_lo
	v_add_co_ci_u32_e32 v4, vcc_lo, 0, v8, vcc_lo
	s_delay_alu instid0(VALU_DEP_2) | instskip(NEXT) | instid1(VALU_DEP_2)
	v_add_co_u32 v5, vcc_lo, v3, v7
	v_add_co_ci_u32_e32 v6, vcc_lo, 0, v4, vcc_lo
	s_delay_alu instid0(VALU_DEP_2) | instskip(SKIP_1) | instid1(VALU_DEP_3)
	v_mul_lo_u32 v7, s21, v5
	v_mad_u64_u32 v[3:4], null, s20, v5, 0
	v_mul_lo_u32 v8, s20, v6
	s_delay_alu instid0(VALU_DEP_2) | instskip(NEXT) | instid1(VALU_DEP_2)
	v_sub_co_u32 v3, vcc_lo, v11, v3
	v_add3_u32 v4, v4, v8, v7
	s_delay_alu instid0(VALU_DEP_1) | instskip(NEXT) | instid1(VALU_DEP_1)
	v_sub_nc_u32_e32 v7, v9, v4
	v_subrev_co_ci_u32_e64 v7, s0, s21, v7, vcc_lo
	v_add_co_u32 v8, s0, v5, 2
	s_delay_alu instid0(VALU_DEP_1) | instskip(SKIP_3) | instid1(VALU_DEP_3)
	v_add_co_ci_u32_e64 v11, s0, 0, v6, s0
	v_sub_co_u32 v12, s0, v3, s20
	v_sub_co_ci_u32_e32 v4, vcc_lo, v9, v4, vcc_lo
	v_subrev_co_ci_u32_e64 v7, s0, 0, v7, s0
	v_cmp_le_u32_e32 vcc_lo, s20, v12
	s_delay_alu instid0(VALU_DEP_3) | instskip(SKIP_1) | instid1(VALU_DEP_4)
	v_cmp_eq_u32_e64 s0, s21, v4
	v_cndmask_b32_e64 v9, 0, -1, vcc_lo
	v_cmp_le_u32_e32 vcc_lo, s21, v7
	v_cndmask_b32_e64 v12, 0, -1, vcc_lo
	v_cmp_le_u32_e32 vcc_lo, s20, v3
	;; [unrolled: 2-line block ×3, first 2 shown]
	v_cndmask_b32_e64 v13, 0, -1, vcc_lo
	v_cmp_eq_u32_e32 vcc_lo, s21, v7
	s_delay_alu instid0(VALU_DEP_2) | instskip(SKIP_3) | instid1(VALU_DEP_3)
	v_cndmask_b32_e64 v3, v13, v3, s0
	v_cndmask_b32_e32 v7, v12, v9, vcc_lo
	v_add_co_u32 v9, vcc_lo, v5, 1
	v_add_co_ci_u32_e32 v12, vcc_lo, 0, v6, vcc_lo
	v_cmp_ne_u32_e32 vcc_lo, 0, v7
	s_delay_alu instid0(VALU_DEP_2) | instskip(SKIP_2) | instid1(VALU_DEP_3)
	v_dual_cndmask_b32 v4, v12, v11 :: v_dual_cndmask_b32 v7, v9, v8
	v_cmp_ne_u32_e32 vcc_lo, 0, v3
	v_xor_b32_e32 v3, s18, v10
	v_dual_cndmask_b32 v5, v5, v7 :: v_dual_cndmask_b32 v4, v6, v4
	v_xor_b32_e32 v6, s19, v10
	s_delay_alu instid0(VALU_DEP_2) | instskip(NEXT) | instid1(VALU_DEP_2)
	v_xor_b32_e32 v5, v5, v3
	v_xor_b32_e32 v7, v4, v6
	s_delay_alu instid0(VALU_DEP_2) | instskip(NEXT) | instid1(VALU_DEP_2)
	v_sub_co_u32 v4, vcc_lo, v5, v3
	v_sub_co_ci_u32_e32 v5, vcc_lo, v7, v6, vcc_lo
.LBB53_5:                               ;   in Loop: Header=BB53_3 Depth=1
	s_and_not1_saveexec_b32 s0, s16
; %bb.6:                                ;   in Loop: Header=BB53_3 Depth=1
	v_mul_hi_u32 v3, v0, v18
	s_delay_alu instid0(VALU_DEP_1) | instskip(NEXT) | instid1(VALU_DEP_1)
	v_mul_lo_u32 v4, v3, s26
	v_sub_nc_u32_e32 v4, v0, v4
	s_delay_alu instid0(VALU_DEP_1) | instskip(SKIP_1) | instid1(VALU_DEP_2)
	v_subrev_nc_u32_e32 v6, s26, v4
	v_cmp_le_u32_e32 vcc_lo, s26, v4
	v_dual_cndmask_b32 v4, v4, v6 :: v_dual_add_nc_u32 v5, 1, v3
	s_delay_alu instid0(VALU_DEP_1) | instskip(NEXT) | instid1(VALU_DEP_2)
	v_cndmask_b32_e32 v3, v3, v5, vcc_lo
	v_cmp_le_u32_e32 vcc_lo, s26, v4
	s_delay_alu instid0(VALU_DEP_2) | instskip(NEXT) | instid1(VALU_DEP_1)
	v_add_nc_u32_e32 v5, 1, v3
	v_dual_cndmask_b32 v4, v3, v5 :: v_dual_mov_b32 v5, v2
; %bb.7:                                ;   in Loop: Header=BB53_3 Depth=1
	s_or_b32 exec_lo, exec_lo, s0
	s_delay_alu instid0(VALU_DEP_1) | instskip(SKIP_1) | instid1(VALU_DEP_1)
	v_or_b32_e32 v3, s30, v5
                                        ; implicit-def: $vgpr8_vgpr9
	s_mov_b32 s0, exec_lo
	v_cmpx_ne_u64_e32 0, v[2:3]
	s_xor_b32 s16, exec_lo, s0
	s_cbranch_execz .LBB53_9
; %bb.8:                                ;   in Loop: Header=BB53_3 Depth=1
	s_add_u32 s20, s8, s30
	s_mov_b32 s18, s30
	s_mov_b32 s19, s30
	s_addc_u32 s21, s30, s30
	s_delay_alu instid0(SALU_CYCLE_1) | instskip(NEXT) | instid1(SALU_CYCLE_1)
	s_xor_b64 s[20:21], s[20:21], s[18:19]
	v_cvt_f32_u32_e32 v3, s20
	v_cvt_f32_u32_e32 v6, s21
	s_sub_u32 s0, 0, s20
	s_subb_u32 s22, 0, s21
	s_delay_alu instid0(VALU_DEP_1) | instskip(NEXT) | instid1(VALU_DEP_1)
	v_fmac_f32_e32 v3, 0x4f800000, v6
	v_rcp_f32_e32 v3, v3
	s_waitcnt_depctr 0xfff
	v_mul_f32_e32 v3, 0x5f7ffffc, v3
	s_delay_alu instid0(VALU_DEP_1) | instskip(NEXT) | instid1(VALU_DEP_1)
	v_mul_f32_e32 v6, 0x2f800000, v3
	v_trunc_f32_e32 v6, v6
	s_delay_alu instid0(VALU_DEP_1) | instskip(SKIP_1) | instid1(VALU_DEP_2)
	v_fmac_f32_e32 v3, 0xcf800000, v6
	v_cvt_u32_f32_e32 v6, v6
	v_cvt_u32_f32_e32 v3, v3
	s_delay_alu instid0(VALU_DEP_2) | instskip(NEXT) | instid1(VALU_DEP_2)
	v_mul_lo_u32 v7, s0, v6
	v_mul_hi_u32 v8, s0, v3
	v_mul_lo_u32 v9, s22, v3
	s_delay_alu instid0(VALU_DEP_2) | instskip(SKIP_1) | instid1(VALU_DEP_2)
	v_add_nc_u32_e32 v7, v8, v7
	v_mul_lo_u32 v8, s0, v3
	v_add_nc_u32_e32 v7, v7, v9
	s_delay_alu instid0(VALU_DEP_2) | instskip(NEXT) | instid1(VALU_DEP_2)
	v_mul_hi_u32 v9, v3, v8
	v_mul_lo_u32 v10, v3, v7
	v_mul_hi_u32 v11, v3, v7
	v_mul_hi_u32 v12, v6, v8
	v_mul_lo_u32 v8, v6, v8
	v_mul_hi_u32 v13, v6, v7
	v_mul_lo_u32 v7, v6, v7
	v_add_co_u32 v9, vcc_lo, v9, v10
	v_add_co_ci_u32_e32 v10, vcc_lo, 0, v11, vcc_lo
	s_delay_alu instid0(VALU_DEP_2) | instskip(NEXT) | instid1(VALU_DEP_2)
	v_add_co_u32 v8, vcc_lo, v9, v8
	v_add_co_ci_u32_e32 v8, vcc_lo, v10, v12, vcc_lo
	v_add_co_ci_u32_e32 v9, vcc_lo, 0, v13, vcc_lo
	v_ashrrev_i32_e32 v12, 31, v5
	s_delay_alu instid0(VALU_DEP_3) | instskip(NEXT) | instid1(VALU_DEP_3)
	v_add_co_u32 v7, vcc_lo, v8, v7
	v_add_co_ci_u32_e32 v8, vcc_lo, 0, v9, vcc_lo
	s_delay_alu instid0(VALU_DEP_2) | instskip(NEXT) | instid1(VALU_DEP_2)
	v_add_co_u32 v3, vcc_lo, v3, v7
	v_add_co_ci_u32_e32 v6, vcc_lo, v6, v8, vcc_lo
	s_delay_alu instid0(VALU_DEP_2) | instskip(SKIP_1) | instid1(VALU_DEP_3)
	v_mul_hi_u32 v7, s0, v3
	v_mul_lo_u32 v9, s22, v3
	v_mul_lo_u32 v8, s0, v6
	s_delay_alu instid0(VALU_DEP_1) | instskip(SKIP_1) | instid1(VALU_DEP_2)
	v_add_nc_u32_e32 v7, v7, v8
	v_mul_lo_u32 v8, s0, v3
	v_add_nc_u32_e32 v7, v7, v9
	s_delay_alu instid0(VALU_DEP_2) | instskip(NEXT) | instid1(VALU_DEP_2)
	v_mul_hi_u32 v9, v3, v8
	v_mul_lo_u32 v10, v3, v7
	v_mul_hi_u32 v11, v3, v7
	v_mul_hi_u32 v13, v6, v8
	v_mul_lo_u32 v8, v6, v8
	v_mul_hi_u32 v14, v6, v7
	v_mul_lo_u32 v7, v6, v7
	v_add_co_u32 v9, vcc_lo, v9, v10
	v_add_co_ci_u32_e32 v10, vcc_lo, 0, v11, vcc_lo
	s_delay_alu instid0(VALU_DEP_2) | instskip(NEXT) | instid1(VALU_DEP_2)
	v_add_co_u32 v8, vcc_lo, v9, v8
	v_add_co_ci_u32_e32 v8, vcc_lo, v10, v13, vcc_lo
	v_add_co_ci_u32_e32 v9, vcc_lo, 0, v14, vcc_lo
	v_add_co_u32 v10, vcc_lo, v4, v12
	v_add_co_ci_u32_e32 v5, vcc_lo, v5, v12, vcc_lo
	s_delay_alu instid0(VALU_DEP_4) | instskip(NEXT) | instid1(VALU_DEP_4)
	v_add_co_u32 v7, vcc_lo, v8, v7
	v_add_co_ci_u32_e32 v8, vcc_lo, 0, v9, vcc_lo
	s_delay_alu instid0(VALU_DEP_4) | instskip(NEXT) | instid1(VALU_DEP_3)
	v_xor_b32_e32 v11, v10, v12
	v_add_co_u32 v3, vcc_lo, v3, v7
	s_delay_alu instid0(VALU_DEP_3) | instskip(SKIP_1) | instid1(VALU_DEP_3)
	v_add_co_ci_u32_e32 v13, vcc_lo, v6, v8, vcc_lo
	v_xor_b32_e32 v14, v5, v12
	v_mul_hi_u32 v15, v11, v3
	s_delay_alu instid0(VALU_DEP_3) | instskip(NEXT) | instid1(VALU_DEP_3)
	v_mad_u64_u32 v[5:6], null, v11, v13, 0
	v_mad_u64_u32 v[7:8], null, v14, v3, 0
	;; [unrolled: 1-line block ×3, first 2 shown]
	s_delay_alu instid0(VALU_DEP_3) | instskip(NEXT) | instid1(VALU_DEP_4)
	v_add_co_u32 v3, vcc_lo, v15, v5
	v_add_co_ci_u32_e32 v5, vcc_lo, 0, v6, vcc_lo
	s_delay_alu instid0(VALU_DEP_2) | instskip(NEXT) | instid1(VALU_DEP_2)
	v_add_co_u32 v3, vcc_lo, v3, v7
	v_add_co_ci_u32_e32 v3, vcc_lo, v5, v8, vcc_lo
	v_add_co_ci_u32_e32 v5, vcc_lo, 0, v10, vcc_lo
	s_delay_alu instid0(VALU_DEP_2) | instskip(NEXT) | instid1(VALU_DEP_2)
	v_add_co_u32 v3, vcc_lo, v3, v9
	v_add_co_ci_u32_e32 v7, vcc_lo, 0, v5, vcc_lo
	s_delay_alu instid0(VALU_DEP_2) | instskip(SKIP_1) | instid1(VALU_DEP_3)
	v_mul_lo_u32 v8, s21, v3
	v_mad_u64_u32 v[5:6], null, s20, v3, 0
	v_mul_lo_u32 v9, s20, v7
	s_delay_alu instid0(VALU_DEP_2) | instskip(NEXT) | instid1(VALU_DEP_2)
	v_sub_co_u32 v5, vcc_lo, v11, v5
	v_add3_u32 v6, v6, v9, v8
	s_delay_alu instid0(VALU_DEP_1) | instskip(NEXT) | instid1(VALU_DEP_1)
	v_sub_nc_u32_e32 v8, v14, v6
	v_subrev_co_ci_u32_e64 v8, s0, s21, v8, vcc_lo
	v_add_co_u32 v9, s0, v3, 2
	s_delay_alu instid0(VALU_DEP_1) | instskip(SKIP_3) | instid1(VALU_DEP_3)
	v_add_co_ci_u32_e64 v10, s0, 0, v7, s0
	v_sub_co_u32 v11, s0, v5, s20
	v_sub_co_ci_u32_e32 v6, vcc_lo, v14, v6, vcc_lo
	v_subrev_co_ci_u32_e64 v8, s0, 0, v8, s0
	v_cmp_le_u32_e32 vcc_lo, s20, v11
	s_delay_alu instid0(VALU_DEP_3) | instskip(SKIP_1) | instid1(VALU_DEP_4)
	v_cmp_eq_u32_e64 s0, s21, v6
	v_cndmask_b32_e64 v11, 0, -1, vcc_lo
	v_cmp_le_u32_e32 vcc_lo, s21, v8
	v_cndmask_b32_e64 v13, 0, -1, vcc_lo
	v_cmp_le_u32_e32 vcc_lo, s20, v5
	v_cndmask_b32_e64 v5, 0, -1, vcc_lo
	v_cmp_le_u32_e32 vcc_lo, s21, v6
	v_cndmask_b32_e64 v14, 0, -1, vcc_lo
	v_cmp_eq_u32_e32 vcc_lo, s21, v8
	s_delay_alu instid0(VALU_DEP_2) | instskip(SKIP_3) | instid1(VALU_DEP_3)
	v_cndmask_b32_e64 v5, v14, v5, s0
	v_cndmask_b32_e32 v8, v13, v11, vcc_lo
	v_add_co_u32 v11, vcc_lo, v3, 1
	v_add_co_ci_u32_e32 v13, vcc_lo, 0, v7, vcc_lo
	v_cmp_ne_u32_e32 vcc_lo, 0, v8
	s_delay_alu instid0(VALU_DEP_3) | instskip(NEXT) | instid1(VALU_DEP_3)
	v_cndmask_b32_e32 v8, v11, v9, vcc_lo
	v_cndmask_b32_e32 v6, v13, v10, vcc_lo
	v_cmp_ne_u32_e32 vcc_lo, 0, v5
	v_xor_b32_e32 v5, s18, v12
	s_delay_alu instid0(VALU_DEP_4) | instskip(NEXT) | instid1(VALU_DEP_4)
	v_cndmask_b32_e32 v3, v3, v8, vcc_lo
	v_cndmask_b32_e32 v6, v7, v6, vcc_lo
	v_xor_b32_e32 v7, s19, v12
	s_delay_alu instid0(VALU_DEP_3) | instskip(NEXT) | instid1(VALU_DEP_2)
	v_xor_b32_e32 v3, v3, v5
	v_xor_b32_e32 v6, v6, v7
	s_delay_alu instid0(VALU_DEP_2) | instskip(NEXT) | instid1(VALU_DEP_2)
	v_sub_co_u32 v8, vcc_lo, v3, v5
	v_sub_co_ci_u32_e32 v9, vcc_lo, v6, v7, vcc_lo
.LBB53_9:                               ;   in Loop: Header=BB53_3 Depth=1
	s_and_not1_saveexec_b32 s0, s16
	s_cbranch_execz .LBB53_11
; %bb.10:                               ;   in Loop: Header=BB53_3 Depth=1
	v_cvt_f32_u32_e32 v3, s8
	s_sub_i32 s16, 0, s8
	v_mov_b32_e32 v9, v2
	s_delay_alu instid0(VALU_DEP_2) | instskip(SKIP_2) | instid1(VALU_DEP_1)
	v_rcp_iflag_f32_e32 v3, v3
	s_waitcnt_depctr 0xfff
	v_mul_f32_e32 v3, 0x4f7ffffe, v3
	v_cvt_u32_f32_e32 v3, v3
	s_delay_alu instid0(VALU_DEP_1) | instskip(NEXT) | instid1(VALU_DEP_1)
	v_mul_lo_u32 v5, s16, v3
	v_mul_hi_u32 v5, v3, v5
	s_delay_alu instid0(VALU_DEP_1) | instskip(NEXT) | instid1(VALU_DEP_1)
	v_add_nc_u32_e32 v3, v3, v5
	v_mul_hi_u32 v3, v4, v3
	s_delay_alu instid0(VALU_DEP_1) | instskip(SKIP_1) | instid1(VALU_DEP_2)
	v_mul_lo_u32 v5, v3, s8
	v_add_nc_u32_e32 v6, 1, v3
	v_sub_nc_u32_e32 v5, v4, v5
	s_delay_alu instid0(VALU_DEP_1) | instskip(SKIP_1) | instid1(VALU_DEP_4)
	v_cmp_le_u32_e32 vcc_lo, s8, v5
	v_subrev_nc_u32_e32 v7, s8, v5
	v_cndmask_b32_e32 v3, v3, v6, vcc_lo
	s_delay_alu instid0(VALU_DEP_1) | instskip(NEXT) | instid1(VALU_DEP_3)
	v_add_nc_u32_e32 v6, 1, v3
	v_cndmask_b32_e32 v5, v5, v7, vcc_lo
	s_delay_alu instid0(VALU_DEP_1) | instskip(NEXT) | instid1(VALU_DEP_3)
	v_cmp_le_u32_e32 vcc_lo, s8, v5
	v_cndmask_b32_e32 v8, v3, v6, vcc_lo
.LBB53_11:                              ;   in Loop: Header=BB53_3 Depth=1
	s_or_b32 exec_lo, exec_lo, s0
	v_mad_u64_u32 v[5:6], null, v4, s26, 0
	s_delay_alu instid0(VALU_DEP_2) | instskip(SKIP_1) | instid1(VALU_DEP_2)
	v_mad_u64_u32 v[6:7], null, v8, s8, 0
	s_and_not1_b32 vcc_lo, exec_lo, s1
	v_sub_co_u32 v19, null, v0, v5
	s_delay_alu instid0(VALU_DEP_2) | instskip(NEXT) | instid1(VALU_DEP_2)
	v_sub_co_u32 v20, null, v4, v6
	v_mul_lo_u32 v3, s11, v19
	v_mul_lo_u32 v10, s13, v19
	s_delay_alu instid0(VALU_DEP_2) | instskip(NEXT) | instid1(VALU_DEP_2)
	v_mad_u64_u32 v[6:7], null, s10, v20, v[3:4]
	v_mad_u64_u32 v[4:5], null, s12, v20, v[10:11]
	s_cbranch_vccnz .LBB53_40
; %bb.12:                               ;   in Loop: Header=BB53_3 Depth=1
	s_and_not1_b32 vcc_lo, exec_lo, s37
	s_mov_b32 s42, 1
	s_cbranch_vccnz .LBB53_20
; %bb.13:                               ;   in Loop: Header=BB53_3 Depth=1
	v_dual_mov_b32 v11, v9 :: v_dual_mov_b32 v10, v8
	s_mov_b32 s16, s34
.LBB53_14:                              ;   Parent Loop BB53_3 Depth=1
                                        ; =>  This Inner Loop Header: Depth=2
	s_delay_alu instid0(SALU_CYCLE_1)
	s_lshl_b64 s[20:21], s[16:17], 2
                                        ; implicit-def: $vgpr8_vgpr9
	s_mov_b32 s22, exec_lo
	s_add_u32 s18, s27, s20
	s_addc_u32 s19, s28, s21
	s_load_b32 s43, s[18:19], 0x8
	s_waitcnt lgkmcnt(0)
	s_ashr_i32 s0, s43, 31
	s_delay_alu instid0(SALU_CYCLE_1) | instskip(NEXT) | instid1(VALU_DEP_1)
	v_or_b32_e32 v3, s0, v11
	v_cmpx_ne_u64_e32 0, v[2:3]
	s_xor_b32 s44, exec_lo, s22
	s_cbranch_execz .LBB53_16
; %bb.15:                               ;   in Loop: Header=BB53_14 Depth=2
	s_add_u32 s24, s43, s0
	s_mov_b32 s22, s0
	s_mov_b32 s23, s0
	s_addc_u32 s25, s0, s0
	s_delay_alu instid0(SALU_CYCLE_1) | instskip(NEXT) | instid1(SALU_CYCLE_1)
	s_xor_b64 s[24:25], s[24:25], s[22:23]
	v_cvt_f32_u32_e32 v3, s24
	v_cvt_f32_u32_e32 v5, s25
	s_sub_u32 s0, 0, s24
	s_subb_u32 s45, 0, s25
	s_delay_alu instid0(VALU_DEP_1) | instskip(NEXT) | instid1(VALU_DEP_1)
	v_fmac_f32_e32 v3, 0x4f800000, v5
	v_rcp_f32_e32 v3, v3
	s_waitcnt_depctr 0xfff
	v_mul_f32_e32 v3, 0x5f7ffffc, v3
	s_delay_alu instid0(VALU_DEP_1) | instskip(NEXT) | instid1(VALU_DEP_1)
	v_mul_f32_e32 v5, 0x2f800000, v3
	v_trunc_f32_e32 v5, v5
	s_delay_alu instid0(VALU_DEP_1) | instskip(SKIP_1) | instid1(VALU_DEP_2)
	v_fmac_f32_e32 v3, 0xcf800000, v5
	v_cvt_u32_f32_e32 v5, v5
	v_cvt_u32_f32_e32 v3, v3
	s_delay_alu instid0(VALU_DEP_2) | instskip(NEXT) | instid1(VALU_DEP_2)
	v_mul_lo_u32 v7, s0, v5
	v_mul_hi_u32 v8, s0, v3
	v_mul_lo_u32 v9, s45, v3
	s_delay_alu instid0(VALU_DEP_2) | instskip(SKIP_1) | instid1(VALU_DEP_2)
	v_add_nc_u32_e32 v7, v8, v7
	v_mul_lo_u32 v8, s0, v3
	v_add_nc_u32_e32 v7, v7, v9
	s_delay_alu instid0(VALU_DEP_2) | instskip(NEXT) | instid1(VALU_DEP_2)
	v_mul_hi_u32 v9, v3, v8
	v_mul_lo_u32 v12, v3, v7
	v_mul_hi_u32 v13, v3, v7
	v_mul_hi_u32 v14, v5, v8
	v_mul_lo_u32 v8, v5, v8
	v_mul_hi_u32 v15, v5, v7
	v_mul_lo_u32 v7, v5, v7
	v_add_co_u32 v9, vcc_lo, v9, v12
	v_add_co_ci_u32_e32 v12, vcc_lo, 0, v13, vcc_lo
	s_delay_alu instid0(VALU_DEP_2) | instskip(NEXT) | instid1(VALU_DEP_2)
	v_add_co_u32 v8, vcc_lo, v9, v8
	v_add_co_ci_u32_e32 v8, vcc_lo, v12, v14, vcc_lo
	v_add_co_ci_u32_e32 v9, vcc_lo, 0, v15, vcc_lo
	v_ashrrev_i32_e32 v15, 31, v11
	s_delay_alu instid0(VALU_DEP_3) | instskip(NEXT) | instid1(VALU_DEP_3)
	v_add_co_u32 v7, vcc_lo, v8, v7
	v_add_co_ci_u32_e32 v8, vcc_lo, 0, v9, vcc_lo
	s_delay_alu instid0(VALU_DEP_2) | instskip(NEXT) | instid1(VALU_DEP_2)
	v_add_co_u32 v3, vcc_lo, v3, v7
	v_add_co_ci_u32_e32 v5, vcc_lo, v5, v8, vcc_lo
	s_delay_alu instid0(VALU_DEP_2) | instskip(SKIP_1) | instid1(VALU_DEP_3)
	v_mul_hi_u32 v7, s0, v3
	v_mul_lo_u32 v9, s45, v3
	v_mul_lo_u32 v8, s0, v5
	s_delay_alu instid0(VALU_DEP_1) | instskip(SKIP_1) | instid1(VALU_DEP_2)
	v_add_nc_u32_e32 v7, v7, v8
	v_mul_lo_u32 v8, s0, v3
	v_add_nc_u32_e32 v7, v7, v9
	s_delay_alu instid0(VALU_DEP_2) | instskip(NEXT) | instid1(VALU_DEP_2)
	v_mul_hi_u32 v9, v3, v8
	v_mul_lo_u32 v12, v3, v7
	v_mul_hi_u32 v13, v3, v7
	v_mul_hi_u32 v14, v5, v8
	v_mul_lo_u32 v8, v5, v8
	v_mul_hi_u32 v16, v5, v7
	v_mul_lo_u32 v7, v5, v7
	v_add_co_u32 v9, vcc_lo, v9, v12
	v_add_co_ci_u32_e32 v12, vcc_lo, 0, v13, vcc_lo
	s_delay_alu instid0(VALU_DEP_2) | instskip(NEXT) | instid1(VALU_DEP_2)
	v_add_co_u32 v8, vcc_lo, v9, v8
	v_add_co_ci_u32_e32 v8, vcc_lo, v12, v14, vcc_lo
	v_add_co_ci_u32_e32 v9, vcc_lo, 0, v16, vcc_lo
	v_add_co_u32 v12, vcc_lo, v10, v15
	v_add_co_ci_u32_e32 v11, vcc_lo, v11, v15, vcc_lo
	s_delay_alu instid0(VALU_DEP_4) | instskip(NEXT) | instid1(VALU_DEP_4)
	v_add_co_u32 v7, vcc_lo, v8, v7
	v_add_co_ci_u32_e32 v8, vcc_lo, 0, v9, vcc_lo
	s_delay_alu instid0(VALU_DEP_4) | instskip(NEXT) | instid1(VALU_DEP_3)
	v_xor_b32_e32 v9, v12, v15
	v_add_co_u32 v3, vcc_lo, v3, v7
	s_delay_alu instid0(VALU_DEP_3) | instskip(SKIP_1) | instid1(VALU_DEP_3)
	v_add_co_ci_u32_e32 v5, vcc_lo, v5, v8, vcc_lo
	v_xor_b32_e32 v16, v11, v15
	v_mul_hi_u32 v17, v9, v3
	s_delay_alu instid0(VALU_DEP_3) | instskip(NEXT) | instid1(VALU_DEP_3)
	v_mad_u64_u32 v[7:8], null, v9, v5, 0
	v_mad_u64_u32 v[11:12], null, v16, v3, 0
	;; [unrolled: 1-line block ×3, first 2 shown]
	s_delay_alu instid0(VALU_DEP_3) | instskip(NEXT) | instid1(VALU_DEP_4)
	v_add_co_u32 v3, vcc_lo, v17, v7
	v_add_co_ci_u32_e32 v5, vcc_lo, 0, v8, vcc_lo
	s_delay_alu instid0(VALU_DEP_2) | instskip(NEXT) | instid1(VALU_DEP_2)
	v_add_co_u32 v3, vcc_lo, v3, v11
	v_add_co_ci_u32_e32 v3, vcc_lo, v5, v12, vcc_lo
	v_add_co_ci_u32_e32 v5, vcc_lo, 0, v14, vcc_lo
	s_delay_alu instid0(VALU_DEP_2) | instskip(NEXT) | instid1(VALU_DEP_2)
	v_add_co_u32 v3, vcc_lo, v3, v13
	v_add_co_ci_u32_e32 v5, vcc_lo, 0, v5, vcc_lo
	s_delay_alu instid0(VALU_DEP_2) | instskip(SKIP_1) | instid1(VALU_DEP_3)
	v_mul_lo_u32 v11, s25, v3
	v_mad_u64_u32 v[7:8], null, s24, v3, 0
	v_mul_lo_u32 v12, s24, v5
	s_delay_alu instid0(VALU_DEP_2) | instskip(NEXT) | instid1(VALU_DEP_2)
	v_sub_co_u32 v7, vcc_lo, v9, v7
	v_add3_u32 v8, v8, v12, v11
	s_delay_alu instid0(VALU_DEP_1) | instskip(NEXT) | instid1(VALU_DEP_1)
	v_sub_nc_u32_e32 v11, v16, v8
	v_subrev_co_ci_u32_e64 v9, s0, s25, v11, vcc_lo
	v_add_co_u32 v11, s0, v3, 2
	s_delay_alu instid0(VALU_DEP_1) | instskip(SKIP_3) | instid1(VALU_DEP_3)
	v_add_co_ci_u32_e64 v12, s0, 0, v5, s0
	v_sub_co_u32 v13, s0, v7, s24
	v_sub_co_ci_u32_e32 v8, vcc_lo, v16, v8, vcc_lo
	v_subrev_co_ci_u32_e64 v9, s0, 0, v9, s0
	v_cmp_le_u32_e32 vcc_lo, s24, v13
	s_delay_alu instid0(VALU_DEP_3) | instskip(SKIP_1) | instid1(VALU_DEP_4)
	v_cmp_eq_u32_e64 s0, s25, v8
	v_cndmask_b32_e64 v13, 0, -1, vcc_lo
	v_cmp_le_u32_e32 vcc_lo, s25, v9
	v_cndmask_b32_e64 v14, 0, -1, vcc_lo
	v_cmp_le_u32_e32 vcc_lo, s24, v7
	;; [unrolled: 2-line block ×3, first 2 shown]
	v_cndmask_b32_e64 v16, 0, -1, vcc_lo
	v_cmp_eq_u32_e32 vcc_lo, s25, v9
	s_delay_alu instid0(VALU_DEP_2) | instskip(SKIP_3) | instid1(VALU_DEP_3)
	v_cndmask_b32_e64 v7, v16, v7, s0
	v_cndmask_b32_e32 v9, v14, v13, vcc_lo
	v_add_co_u32 v13, vcc_lo, v3, 1
	v_add_co_ci_u32_e32 v14, vcc_lo, 0, v5, vcc_lo
	v_cmp_ne_u32_e32 vcc_lo, 0, v9
	s_delay_alu instid0(VALU_DEP_2) | instskip(SKIP_2) | instid1(VALU_DEP_3)
	v_dual_cndmask_b32 v8, v14, v12 :: v_dual_cndmask_b32 v9, v13, v11
	v_cmp_ne_u32_e32 vcc_lo, 0, v7
	v_xor_b32_e32 v7, s22, v15
	v_cndmask_b32_e32 v3, v3, v9, vcc_lo
	s_delay_alu instid0(VALU_DEP_4) | instskip(SKIP_1) | instid1(VALU_DEP_3)
	v_cndmask_b32_e32 v5, v5, v8, vcc_lo
	v_xor_b32_e32 v9, s23, v15
	v_xor_b32_e32 v3, v3, v7
	s_delay_alu instid0(VALU_DEP_2) | instskip(NEXT) | instid1(VALU_DEP_2)
	v_xor_b32_e32 v5, v5, v9
	v_sub_co_u32 v8, vcc_lo, v3, v7
	s_delay_alu instid0(VALU_DEP_2)
	v_sub_co_ci_u32_e32 v9, vcc_lo, v5, v9, vcc_lo
.LBB53_16:                              ;   in Loop: Header=BB53_14 Depth=2
	s_and_not1_saveexec_b32 s0, s44
	s_cbranch_execz .LBB53_18
; %bb.17:                               ;   in Loop: Header=BB53_14 Depth=2
	v_cvt_f32_u32_e32 v3, s43
	s_sub_i32 s22, 0, s43
	v_mov_b32_e32 v9, v2
	s_delay_alu instid0(VALU_DEP_2) | instskip(SKIP_2) | instid1(VALU_DEP_1)
	v_rcp_iflag_f32_e32 v3, v3
	s_waitcnt_depctr 0xfff
	v_mul_f32_e32 v3, 0x4f7ffffe, v3
	v_cvt_u32_f32_e32 v3, v3
	s_delay_alu instid0(VALU_DEP_1) | instskip(NEXT) | instid1(VALU_DEP_1)
	v_mul_lo_u32 v5, s22, v3
	v_mul_hi_u32 v5, v3, v5
	s_delay_alu instid0(VALU_DEP_1) | instskip(NEXT) | instid1(VALU_DEP_1)
	v_add_nc_u32_e32 v3, v3, v5
	v_mul_hi_u32 v3, v10, v3
	s_delay_alu instid0(VALU_DEP_1) | instskip(SKIP_1) | instid1(VALU_DEP_2)
	v_mul_lo_u32 v5, v3, s43
	v_add_nc_u32_e32 v7, 1, v3
	v_sub_nc_u32_e32 v5, v10, v5
	s_delay_alu instid0(VALU_DEP_1) | instskip(SKIP_1) | instid1(VALU_DEP_4)
	v_cmp_le_u32_e32 vcc_lo, s43, v5
	v_subrev_nc_u32_e32 v8, s43, v5
	v_cndmask_b32_e32 v3, v3, v7, vcc_lo
	s_delay_alu instid0(VALU_DEP_1) | instskip(NEXT) | instid1(VALU_DEP_3)
	v_add_nc_u32_e32 v7, 1, v3
	v_cndmask_b32_e32 v5, v5, v8, vcc_lo
	s_delay_alu instid0(VALU_DEP_1) | instskip(NEXT) | instid1(VALU_DEP_3)
	v_cmp_le_u32_e32 vcc_lo, s43, v5
	v_cndmask_b32_e32 v8, v3, v7, vcc_lo
.LBB53_18:                              ;   in Loop: Header=BB53_14 Depth=2
	s_or_b32 exec_lo, exec_lo, s0
	s_add_u32 s20, s31, s20
	s_addc_u32 s21, s33, s21
	s_clause 0x1
	s_load_b32 s0, s[18:19], 0x6c
	s_load_b32 s18, s[20:21], 0x0
	v_mul_lo_u32 v3, v8, s43
	s_add_i32 s16, s16, -1
	s_delay_alu instid0(VALU_DEP_1) | instskip(SKIP_1) | instid1(VALU_DEP_1)
	v_sub_nc_u32_e32 v3, v10, v3
	s_waitcnt lgkmcnt(0)
	v_mad_u64_u32 v[10:11], null, s0, v3, v[6:7]
	v_mad_u64_u32 v[5:6], null, s18, v3, v[4:5]
	s_xor_b32 s0, s35, s42
	s_add_i32 s42, s42, 1
	s_cmp_lg_u32 s0, 2
	s_delay_alu instid0(VALU_DEP_2) | instskip(NEXT) | instid1(VALU_DEP_2)
	v_mov_b32_e32 v6, v10
	v_mov_b32_e32 v4, v5
	s_cbranch_scc0 .LBB53_21
; %bb.19:                               ;   in Loop: Header=BB53_14 Depth=2
	v_dual_mov_b32 v11, v9 :: v_dual_mov_b32 v10, v8
	s_branch .LBB53_14
.LBB53_20:                              ;   in Loop: Header=BB53_3 Depth=1
	s_mov_b32 s16, s34
.LBB53_21:                              ;   in Loop: Header=BB53_3 Depth=1
	s_and_b32 vcc_lo, exec_lo, s38
	s_cbranch_vccz .LBB53_40
.LBB53_22:                              ;   Parent Loop BB53_3 Depth=1
                                        ; =>  This Inner Loop Header: Depth=2
	s_lshl_b64 s[18:19], s[16:17], 2
                                        ; implicit-def: $vgpr10_vgpr11
	s_mov_b32 s22, exec_lo
	s_add_u32 s20, s27, s18
	s_addc_u32 s21, s28, s19
	s_load_b32 s42, s[20:21], 0x8
	s_waitcnt lgkmcnt(0)
	s_ashr_i32 s0, s42, 31
	s_delay_alu instid0(SALU_CYCLE_1) | instskip(NEXT) | instid1(VALU_DEP_1)
	v_or_b32_e32 v3, s0, v9
	v_cmpx_ne_u64_e32 0, v[2:3]
	s_xor_b32 s43, exec_lo, s22
	s_cbranch_execz .LBB53_24
; %bb.23:                               ;   in Loop: Header=BB53_22 Depth=2
	s_add_u32 s24, s42, s0
	s_mov_b32 s22, s0
	s_mov_b32 s23, s0
	s_addc_u32 s25, s0, s0
	s_delay_alu instid0(SALU_CYCLE_1) | instskip(NEXT) | instid1(SALU_CYCLE_1)
	s_xor_b64 s[24:25], s[24:25], s[22:23]
	v_cvt_f32_u32_e32 v3, s24
	v_cvt_f32_u32_e32 v5, s25
	s_sub_u32 s0, 0, s24
	s_subb_u32 s44, 0, s25
	s_delay_alu instid0(VALU_DEP_1) | instskip(NEXT) | instid1(VALU_DEP_1)
	v_fmac_f32_e32 v3, 0x4f800000, v5
	v_rcp_f32_e32 v3, v3
	s_waitcnt_depctr 0xfff
	v_mul_f32_e32 v3, 0x5f7ffffc, v3
	s_delay_alu instid0(VALU_DEP_1) | instskip(NEXT) | instid1(VALU_DEP_1)
	v_mul_f32_e32 v5, 0x2f800000, v3
	v_trunc_f32_e32 v5, v5
	s_delay_alu instid0(VALU_DEP_1) | instskip(SKIP_1) | instid1(VALU_DEP_2)
	v_fmac_f32_e32 v3, 0xcf800000, v5
	v_cvt_u32_f32_e32 v5, v5
	v_cvt_u32_f32_e32 v3, v3
	s_delay_alu instid0(VALU_DEP_2) | instskip(NEXT) | instid1(VALU_DEP_2)
	v_mul_lo_u32 v7, s0, v5
	v_mul_hi_u32 v10, s0, v3
	v_mul_lo_u32 v11, s44, v3
	s_delay_alu instid0(VALU_DEP_2) | instskip(SKIP_1) | instid1(VALU_DEP_2)
	v_add_nc_u32_e32 v7, v10, v7
	v_mul_lo_u32 v10, s0, v3
	v_add_nc_u32_e32 v7, v7, v11
	s_delay_alu instid0(VALU_DEP_2) | instskip(NEXT) | instid1(VALU_DEP_2)
	v_mul_hi_u32 v11, v3, v10
	v_mul_lo_u32 v12, v3, v7
	v_mul_hi_u32 v13, v3, v7
	v_mul_hi_u32 v14, v5, v10
	v_mul_lo_u32 v10, v5, v10
	v_mul_hi_u32 v15, v5, v7
	v_mul_lo_u32 v7, v5, v7
	v_add_co_u32 v11, vcc_lo, v11, v12
	v_add_co_ci_u32_e32 v12, vcc_lo, 0, v13, vcc_lo
	s_delay_alu instid0(VALU_DEP_2) | instskip(NEXT) | instid1(VALU_DEP_2)
	v_add_co_u32 v10, vcc_lo, v11, v10
	v_add_co_ci_u32_e32 v10, vcc_lo, v12, v14, vcc_lo
	v_add_co_ci_u32_e32 v11, vcc_lo, 0, v15, vcc_lo
	v_ashrrev_i32_e32 v15, 31, v9
	s_delay_alu instid0(VALU_DEP_3) | instskip(NEXT) | instid1(VALU_DEP_3)
	v_add_co_u32 v7, vcc_lo, v10, v7
	v_add_co_ci_u32_e32 v10, vcc_lo, 0, v11, vcc_lo
	s_delay_alu instid0(VALU_DEP_2) | instskip(NEXT) | instid1(VALU_DEP_2)
	v_add_co_u32 v3, vcc_lo, v3, v7
	v_add_co_ci_u32_e32 v5, vcc_lo, v5, v10, vcc_lo
	s_delay_alu instid0(VALU_DEP_2) | instskip(SKIP_1) | instid1(VALU_DEP_3)
	v_mul_hi_u32 v7, s0, v3
	v_mul_lo_u32 v11, s44, v3
	v_mul_lo_u32 v10, s0, v5
	s_delay_alu instid0(VALU_DEP_1) | instskip(SKIP_1) | instid1(VALU_DEP_2)
	v_add_nc_u32_e32 v7, v7, v10
	v_mul_lo_u32 v10, s0, v3
	v_add_nc_u32_e32 v7, v7, v11
	s_delay_alu instid0(VALU_DEP_2) | instskip(NEXT) | instid1(VALU_DEP_2)
	v_mul_hi_u32 v11, v3, v10
	v_mul_lo_u32 v12, v3, v7
	v_mul_hi_u32 v13, v3, v7
	v_mul_hi_u32 v14, v5, v10
	v_mul_lo_u32 v10, v5, v10
	v_mul_hi_u32 v16, v5, v7
	v_mul_lo_u32 v7, v5, v7
	v_add_co_u32 v11, vcc_lo, v11, v12
	v_add_co_ci_u32_e32 v12, vcc_lo, 0, v13, vcc_lo
	s_delay_alu instid0(VALU_DEP_2) | instskip(NEXT) | instid1(VALU_DEP_2)
	v_add_co_u32 v10, vcc_lo, v11, v10
	v_add_co_ci_u32_e32 v10, vcc_lo, v12, v14, vcc_lo
	v_add_co_ci_u32_e32 v11, vcc_lo, 0, v16, vcc_lo
	v_add_co_u32 v12, vcc_lo, v8, v15
	v_add_co_ci_u32_e32 v9, vcc_lo, v9, v15, vcc_lo
	s_delay_alu instid0(VALU_DEP_4) | instskip(NEXT) | instid1(VALU_DEP_4)
	v_add_co_u32 v7, vcc_lo, v10, v7
	v_add_co_ci_u32_e32 v10, vcc_lo, 0, v11, vcc_lo
	s_delay_alu instid0(VALU_DEP_4) | instskip(NEXT) | instid1(VALU_DEP_3)
	v_xor_b32_e32 v16, v12, v15
	v_add_co_u32 v3, vcc_lo, v3, v7
	s_delay_alu instid0(VALU_DEP_3) | instskip(SKIP_1) | instid1(VALU_DEP_3)
	v_add_co_ci_u32_e32 v5, vcc_lo, v5, v10, vcc_lo
	v_xor_b32_e32 v7, v9, v15
	v_mul_hi_u32 v17, v16, v3
	s_delay_alu instid0(VALU_DEP_3) | instskip(NEXT) | instid1(VALU_DEP_3)
	v_mad_u64_u32 v[9:10], null, v16, v5, 0
	v_mad_u64_u32 v[11:12], null, v7, v3, 0
	;; [unrolled: 1-line block ×3, first 2 shown]
	s_delay_alu instid0(VALU_DEP_3) | instskip(NEXT) | instid1(VALU_DEP_4)
	v_add_co_u32 v3, vcc_lo, v17, v9
	v_add_co_ci_u32_e32 v5, vcc_lo, 0, v10, vcc_lo
	s_delay_alu instid0(VALU_DEP_2) | instskip(NEXT) | instid1(VALU_DEP_2)
	v_add_co_u32 v3, vcc_lo, v3, v11
	v_add_co_ci_u32_e32 v3, vcc_lo, v5, v12, vcc_lo
	v_add_co_ci_u32_e32 v5, vcc_lo, 0, v14, vcc_lo
	s_delay_alu instid0(VALU_DEP_2) | instskip(NEXT) | instid1(VALU_DEP_2)
	v_add_co_u32 v3, vcc_lo, v3, v13
	v_add_co_ci_u32_e32 v5, vcc_lo, 0, v5, vcc_lo
	s_delay_alu instid0(VALU_DEP_2) | instskip(SKIP_1) | instid1(VALU_DEP_3)
	v_mul_lo_u32 v11, s25, v3
	v_mad_u64_u32 v[9:10], null, s24, v3, 0
	v_mul_lo_u32 v12, s24, v5
	s_delay_alu instid0(VALU_DEP_2) | instskip(NEXT) | instid1(VALU_DEP_2)
	v_sub_co_u32 v9, vcc_lo, v16, v9
	v_add3_u32 v10, v10, v12, v11
	s_delay_alu instid0(VALU_DEP_1) | instskip(NEXT) | instid1(VALU_DEP_1)
	v_sub_nc_u32_e32 v11, v7, v10
	v_subrev_co_ci_u32_e64 v11, s0, s25, v11, vcc_lo
	v_add_co_u32 v12, s0, v3, 2
	s_delay_alu instid0(VALU_DEP_1) | instskip(SKIP_3) | instid1(VALU_DEP_3)
	v_add_co_ci_u32_e64 v13, s0, 0, v5, s0
	v_sub_co_u32 v14, s0, v9, s24
	v_sub_co_ci_u32_e32 v7, vcc_lo, v7, v10, vcc_lo
	v_subrev_co_ci_u32_e64 v11, s0, 0, v11, s0
	v_cmp_le_u32_e32 vcc_lo, s24, v14
	s_delay_alu instid0(VALU_DEP_3) | instskip(SKIP_1) | instid1(VALU_DEP_4)
	v_cmp_eq_u32_e64 s0, s25, v7
	v_cndmask_b32_e64 v10, 0, -1, vcc_lo
	v_cmp_le_u32_e32 vcc_lo, s25, v11
	v_cndmask_b32_e64 v14, 0, -1, vcc_lo
	v_cmp_le_u32_e32 vcc_lo, s24, v9
	;; [unrolled: 2-line block ×3, first 2 shown]
	v_cndmask_b32_e64 v16, 0, -1, vcc_lo
	v_cmp_eq_u32_e32 vcc_lo, s25, v11
	s_delay_alu instid0(VALU_DEP_2) | instskip(SKIP_3) | instid1(VALU_DEP_3)
	v_cndmask_b32_e64 v7, v16, v9, s0
	v_cndmask_b32_e32 v10, v14, v10, vcc_lo
	v_add_co_u32 v11, vcc_lo, v3, 1
	v_add_co_ci_u32_e32 v14, vcc_lo, 0, v5, vcc_lo
	v_cmp_ne_u32_e32 vcc_lo, 0, v10
	s_delay_alu instid0(VALU_DEP_2) | instskip(SKIP_2) | instid1(VALU_DEP_3)
	v_dual_cndmask_b32 v10, v11, v12 :: v_dual_cndmask_b32 v9, v14, v13
	v_cmp_ne_u32_e32 vcc_lo, 0, v7
	v_xor_b32_e32 v7, s22, v15
	v_cndmask_b32_e32 v3, v3, v10, vcc_lo
	s_delay_alu instid0(VALU_DEP_4) | instskip(SKIP_1) | instid1(VALU_DEP_3)
	v_cndmask_b32_e32 v5, v5, v9, vcc_lo
	v_xor_b32_e32 v9, s23, v15
	v_xor_b32_e32 v3, v3, v7
	s_delay_alu instid0(VALU_DEP_2) | instskip(NEXT) | instid1(VALU_DEP_2)
	v_xor_b32_e32 v5, v5, v9
	v_sub_co_u32 v10, vcc_lo, v3, v7
	s_delay_alu instid0(VALU_DEP_2)
	v_sub_co_ci_u32_e32 v11, vcc_lo, v5, v9, vcc_lo
.LBB53_24:                              ;   in Loop: Header=BB53_22 Depth=2
	s_and_not1_saveexec_b32 s0, s43
	s_cbranch_execz .LBB53_26
; %bb.25:                               ;   in Loop: Header=BB53_22 Depth=2
	v_cvt_f32_u32_e32 v3, s42
	s_sub_i32 s22, 0, s42
	v_mov_b32_e32 v11, v2
	s_delay_alu instid0(VALU_DEP_2) | instskip(SKIP_2) | instid1(VALU_DEP_1)
	v_rcp_iflag_f32_e32 v3, v3
	s_waitcnt_depctr 0xfff
	v_mul_f32_e32 v3, 0x4f7ffffe, v3
	v_cvt_u32_f32_e32 v3, v3
	s_delay_alu instid0(VALU_DEP_1) | instskip(NEXT) | instid1(VALU_DEP_1)
	v_mul_lo_u32 v5, s22, v3
	v_mul_hi_u32 v5, v3, v5
	s_delay_alu instid0(VALU_DEP_1) | instskip(NEXT) | instid1(VALU_DEP_1)
	v_add_nc_u32_e32 v3, v3, v5
	v_mul_hi_u32 v3, v8, v3
	s_delay_alu instid0(VALU_DEP_1) | instskip(SKIP_1) | instid1(VALU_DEP_2)
	v_mul_lo_u32 v5, v3, s42
	v_add_nc_u32_e32 v7, 1, v3
	v_sub_nc_u32_e32 v5, v8, v5
	s_delay_alu instid0(VALU_DEP_1) | instskip(SKIP_1) | instid1(VALU_DEP_4)
	v_cmp_le_u32_e32 vcc_lo, s42, v5
	v_subrev_nc_u32_e32 v9, s42, v5
	v_cndmask_b32_e32 v3, v3, v7, vcc_lo
	s_delay_alu instid0(VALU_DEP_1) | instskip(NEXT) | instid1(VALU_DEP_3)
	v_add_nc_u32_e32 v7, 1, v3
	v_cndmask_b32_e32 v5, v5, v9, vcc_lo
	s_delay_alu instid0(VALU_DEP_1) | instskip(NEXT) | instid1(VALU_DEP_3)
	v_cmp_le_u32_e32 vcc_lo, s42, v5
	v_cndmask_b32_e32 v10, v3, v7, vcc_lo
.LBB53_26:                              ;   in Loop: Header=BB53_22 Depth=2
	s_or_b32 exec_lo, exec_lo, s0
	s_add_u32 s24, s31, s18
	s_addc_u32 s25, s33, s19
	s_add_i32 s18, s16, -1
	s_mov_b32 s19, s17
                                        ; implicit-def: $vgpr12_vgpr13
	s_delay_alu instid0(SALU_CYCLE_1) | instskip(NEXT) | instid1(SALU_CYCLE_1)
	s_lshl_b64 s[22:23], s[18:19], 2
	s_add_u32 s18, s27, s22
	s_addc_u32 s19, s28, s23
	s_clause 0x2
	s_load_b32 s45, s[18:19], 0x8
	s_load_b32 s43, s[20:21], 0x6c
	;; [unrolled: 1-line block ×3, first 2 shown]
	s_mov_b32 s20, exec_lo
	s_waitcnt lgkmcnt(0)
	s_ashr_i32 s0, s45, 31
	s_delay_alu instid0(SALU_CYCLE_1) | instskip(NEXT) | instid1(VALU_DEP_1)
	v_or_b32_e32 v3, s0, v11
	v_cmpx_ne_u64_e32 0, v[2:3]
	s_xor_b32 s46, exec_lo, s20
	s_cbranch_execz .LBB53_28
; %bb.27:                               ;   in Loop: Header=BB53_22 Depth=2
	s_add_u32 s24, s45, s0
	s_mov_b32 s20, s0
	s_mov_b32 s21, s0
	s_addc_u32 s25, s0, s0
	v_ashrrev_i32_e32 v17, 31, v11
	s_xor_b64 s[24:25], s[24:25], s[20:21]
	s_delay_alu instid0(SALU_CYCLE_1) | instskip(SKIP_3) | instid1(VALU_DEP_1)
	v_cvt_f32_u32_e32 v3, s24
	v_cvt_f32_u32_e32 v5, s25
	s_sub_u32 s0, 0, s24
	s_subb_u32 s47, 0, s25
	v_fmac_f32_e32 v3, 0x4f800000, v5
	s_delay_alu instid0(VALU_DEP_1) | instskip(SKIP_2) | instid1(VALU_DEP_1)
	v_rcp_f32_e32 v3, v3
	s_waitcnt_depctr 0xfff
	v_mul_f32_e32 v3, 0x5f7ffffc, v3
	v_mul_f32_e32 v5, 0x2f800000, v3
	s_delay_alu instid0(VALU_DEP_1) | instskip(NEXT) | instid1(VALU_DEP_1)
	v_trunc_f32_e32 v5, v5
	v_fmac_f32_e32 v3, 0xcf800000, v5
	v_cvt_u32_f32_e32 v5, v5
	s_delay_alu instid0(VALU_DEP_2) | instskip(NEXT) | instid1(VALU_DEP_2)
	v_cvt_u32_f32_e32 v3, v3
	v_mul_lo_u32 v7, s0, v5
	s_delay_alu instid0(VALU_DEP_2) | instskip(SKIP_1) | instid1(VALU_DEP_2)
	v_mul_hi_u32 v9, s0, v3
	v_mul_lo_u32 v12, s47, v3
	v_add_nc_u32_e32 v7, v9, v7
	v_mul_lo_u32 v9, s0, v3
	s_delay_alu instid0(VALU_DEP_2) | instskip(NEXT) | instid1(VALU_DEP_2)
	v_add_nc_u32_e32 v7, v7, v12
	v_mul_hi_u32 v12, v3, v9
	s_delay_alu instid0(VALU_DEP_2)
	v_mul_lo_u32 v13, v3, v7
	v_mul_hi_u32 v14, v3, v7
	v_mul_hi_u32 v15, v5, v9
	v_mul_lo_u32 v9, v5, v9
	v_mul_hi_u32 v16, v5, v7
	v_mul_lo_u32 v7, v5, v7
	v_add_co_u32 v12, vcc_lo, v12, v13
	v_add_co_ci_u32_e32 v13, vcc_lo, 0, v14, vcc_lo
	s_delay_alu instid0(VALU_DEP_2) | instskip(NEXT) | instid1(VALU_DEP_2)
	v_add_co_u32 v9, vcc_lo, v12, v9
	v_add_co_ci_u32_e32 v9, vcc_lo, v13, v15, vcc_lo
	v_add_co_ci_u32_e32 v12, vcc_lo, 0, v16, vcc_lo
	s_delay_alu instid0(VALU_DEP_2) | instskip(NEXT) | instid1(VALU_DEP_2)
	v_add_co_u32 v7, vcc_lo, v9, v7
	v_add_co_ci_u32_e32 v9, vcc_lo, 0, v12, vcc_lo
	s_delay_alu instid0(VALU_DEP_2) | instskip(NEXT) | instid1(VALU_DEP_2)
	v_add_co_u32 v3, vcc_lo, v3, v7
	v_add_co_ci_u32_e32 v5, vcc_lo, v5, v9, vcc_lo
	s_delay_alu instid0(VALU_DEP_2) | instskip(SKIP_1) | instid1(VALU_DEP_3)
	v_mul_hi_u32 v7, s0, v3
	v_mul_lo_u32 v12, s47, v3
	v_mul_lo_u32 v9, s0, v5
	s_delay_alu instid0(VALU_DEP_1) | instskip(SKIP_1) | instid1(VALU_DEP_2)
	v_add_nc_u32_e32 v7, v7, v9
	v_mul_lo_u32 v9, s0, v3
	v_add_nc_u32_e32 v7, v7, v12
	s_delay_alu instid0(VALU_DEP_2) | instskip(NEXT) | instid1(VALU_DEP_2)
	v_mul_hi_u32 v12, v3, v9
	v_mul_lo_u32 v13, v3, v7
	v_mul_hi_u32 v14, v3, v7
	v_mul_hi_u32 v15, v5, v9
	v_mul_lo_u32 v9, v5, v9
	v_mul_hi_u32 v16, v5, v7
	v_mul_lo_u32 v7, v5, v7
	v_add_co_u32 v12, vcc_lo, v12, v13
	v_add_co_ci_u32_e32 v13, vcc_lo, 0, v14, vcc_lo
	s_delay_alu instid0(VALU_DEP_2) | instskip(NEXT) | instid1(VALU_DEP_2)
	v_add_co_u32 v9, vcc_lo, v12, v9
	v_add_co_ci_u32_e32 v9, vcc_lo, v13, v15, vcc_lo
	v_add_co_ci_u32_e32 v12, vcc_lo, 0, v16, vcc_lo
	v_add_co_u32 v13, vcc_lo, v10, v17
	v_add_co_ci_u32_e32 v11, vcc_lo, v11, v17, vcc_lo
	s_delay_alu instid0(VALU_DEP_4) | instskip(NEXT) | instid1(VALU_DEP_4)
	v_add_co_u32 v7, vcc_lo, v9, v7
	v_add_co_ci_u32_e32 v9, vcc_lo, 0, v12, vcc_lo
	s_delay_alu instid0(VALU_DEP_4) | instskip(NEXT) | instid1(VALU_DEP_3)
	v_xor_b32_e32 v21, v13, v17
	v_add_co_u32 v3, vcc_lo, v3, v7
	s_delay_alu instid0(VALU_DEP_3) | instskip(SKIP_1) | instid1(VALU_DEP_3)
	v_add_co_ci_u32_e32 v5, vcc_lo, v5, v9, vcc_lo
	v_xor_b32_e32 v7, v11, v17
	v_mul_hi_u32 v9, v21, v3
	s_delay_alu instid0(VALU_DEP_3) | instskip(NEXT) | instid1(VALU_DEP_3)
	v_mad_u64_u32 v[11:12], null, v21, v5, 0
	v_mad_u64_u32 v[13:14], null, v7, v3, 0
	;; [unrolled: 1-line block ×3, first 2 shown]
	s_delay_alu instid0(VALU_DEP_3) | instskip(NEXT) | instid1(VALU_DEP_4)
	v_add_co_u32 v3, vcc_lo, v9, v11
	v_add_co_ci_u32_e32 v5, vcc_lo, 0, v12, vcc_lo
	s_delay_alu instid0(VALU_DEP_2) | instskip(NEXT) | instid1(VALU_DEP_2)
	v_add_co_u32 v3, vcc_lo, v3, v13
	v_add_co_ci_u32_e32 v3, vcc_lo, v5, v14, vcc_lo
	v_add_co_ci_u32_e32 v5, vcc_lo, 0, v16, vcc_lo
	s_delay_alu instid0(VALU_DEP_2) | instskip(NEXT) | instid1(VALU_DEP_2)
	v_add_co_u32 v3, vcc_lo, v3, v15
	v_add_co_ci_u32_e32 v5, vcc_lo, 0, v5, vcc_lo
	s_delay_alu instid0(VALU_DEP_2) | instskip(SKIP_1) | instid1(VALU_DEP_3)
	v_mul_lo_u32 v9, s25, v3
	v_mad_u64_u32 v[11:12], null, s24, v3, 0
	v_mul_lo_u32 v13, s24, v5
	s_delay_alu instid0(VALU_DEP_2) | instskip(NEXT) | instid1(VALU_DEP_2)
	v_sub_co_u32 v11, vcc_lo, v21, v11
	v_add3_u32 v9, v12, v13, v9
	s_delay_alu instid0(VALU_DEP_1) | instskip(NEXT) | instid1(VALU_DEP_1)
	v_sub_nc_u32_e32 v12, v7, v9
	v_subrev_co_ci_u32_e64 v12, s0, s25, v12, vcc_lo
	v_add_co_u32 v13, s0, v3, 2
	s_delay_alu instid0(VALU_DEP_1) | instskip(SKIP_3) | instid1(VALU_DEP_3)
	v_add_co_ci_u32_e64 v14, s0, 0, v5, s0
	v_sub_co_u32 v15, s0, v11, s24
	v_sub_co_ci_u32_e32 v7, vcc_lo, v7, v9, vcc_lo
	v_subrev_co_ci_u32_e64 v12, s0, 0, v12, s0
	v_cmp_le_u32_e32 vcc_lo, s24, v15
	s_delay_alu instid0(VALU_DEP_3) | instskip(SKIP_1) | instid1(VALU_DEP_4)
	v_cmp_eq_u32_e64 s0, s25, v7
	v_cndmask_b32_e64 v9, 0, -1, vcc_lo
	v_cmp_le_u32_e32 vcc_lo, s25, v12
	v_cndmask_b32_e64 v15, 0, -1, vcc_lo
	v_cmp_le_u32_e32 vcc_lo, s24, v11
	;; [unrolled: 2-line block ×3, first 2 shown]
	v_cndmask_b32_e64 v16, 0, -1, vcc_lo
	v_cmp_eq_u32_e32 vcc_lo, s25, v12
	s_delay_alu instid0(VALU_DEP_2) | instskip(SKIP_3) | instid1(VALU_DEP_3)
	v_cndmask_b32_e64 v7, v16, v11, s0
	v_cndmask_b32_e32 v9, v15, v9, vcc_lo
	v_add_co_u32 v12, vcc_lo, v3, 1
	v_add_co_ci_u32_e32 v15, vcc_lo, 0, v5, vcc_lo
	v_cmp_ne_u32_e32 vcc_lo, 0, v9
	s_delay_alu instid0(VALU_DEP_2) | instskip(NEXT) | instid1(VALU_DEP_4)
	v_cndmask_b32_e32 v9, v15, v14, vcc_lo
	v_cndmask_b32_e32 v11, v12, v13, vcc_lo
	v_cmp_ne_u32_e32 vcc_lo, 0, v7
	v_xor_b32_e32 v7, s20, v17
	s_delay_alu instid0(VALU_DEP_3) | instskip(SKIP_2) | instid1(VALU_DEP_3)
	v_cndmask_b32_e32 v3, v3, v11, vcc_lo
	v_cndmask_b32_e32 v5, v5, v9, vcc_lo
	v_xor_b32_e32 v9, s21, v17
	v_xor_b32_e32 v3, v3, v7
	s_delay_alu instid0(VALU_DEP_2) | instskip(NEXT) | instid1(VALU_DEP_2)
	v_xor_b32_e32 v5, v5, v9
	v_sub_co_u32 v12, vcc_lo, v3, v7
	s_delay_alu instid0(VALU_DEP_2)
	v_sub_co_ci_u32_e32 v13, vcc_lo, v5, v9, vcc_lo
.LBB53_28:                              ;   in Loop: Header=BB53_22 Depth=2
	s_and_not1_saveexec_b32 s0, s46
	s_cbranch_execz .LBB53_30
; %bb.29:                               ;   in Loop: Header=BB53_22 Depth=2
	v_cvt_f32_u32_e32 v3, s45
	s_sub_i32 s20, 0, s45
	v_mov_b32_e32 v13, v2
	s_delay_alu instid0(VALU_DEP_2) | instskip(SKIP_2) | instid1(VALU_DEP_1)
	v_rcp_iflag_f32_e32 v3, v3
	s_waitcnt_depctr 0xfff
	v_mul_f32_e32 v3, 0x4f7ffffe, v3
	v_cvt_u32_f32_e32 v3, v3
	s_delay_alu instid0(VALU_DEP_1) | instskip(NEXT) | instid1(VALU_DEP_1)
	v_mul_lo_u32 v5, s20, v3
	v_mul_hi_u32 v5, v3, v5
	s_delay_alu instid0(VALU_DEP_1) | instskip(NEXT) | instid1(VALU_DEP_1)
	v_add_nc_u32_e32 v3, v3, v5
	v_mul_hi_u32 v3, v10, v3
	s_delay_alu instid0(VALU_DEP_1) | instskip(SKIP_1) | instid1(VALU_DEP_2)
	v_mul_lo_u32 v5, v3, s45
	v_add_nc_u32_e32 v7, 1, v3
	v_sub_nc_u32_e32 v5, v10, v5
	s_delay_alu instid0(VALU_DEP_1) | instskip(SKIP_1) | instid1(VALU_DEP_4)
	v_cmp_le_u32_e32 vcc_lo, s45, v5
	v_subrev_nc_u32_e32 v9, s45, v5
	v_cndmask_b32_e32 v3, v3, v7, vcc_lo
	s_delay_alu instid0(VALU_DEP_1) | instskip(NEXT) | instid1(VALU_DEP_3)
	v_add_nc_u32_e32 v7, 1, v3
	v_cndmask_b32_e32 v5, v5, v9, vcc_lo
	s_delay_alu instid0(VALU_DEP_1) | instskip(NEXT) | instid1(VALU_DEP_3)
	v_cmp_le_u32_e32 vcc_lo, s45, v5
	v_cndmask_b32_e32 v12, v3, v7, vcc_lo
.LBB53_30:                              ;   in Loop: Header=BB53_22 Depth=2
	s_or_b32 exec_lo, exec_lo, s0
	s_add_u32 s24, s31, s22
	s_addc_u32 s25, s33, s23
	s_add_i32 s20, s16, -2
	s_mov_b32 s21, s17
                                        ; implicit-def: $vgpr14_vgpr15
	s_delay_alu instid0(SALU_CYCLE_1) | instskip(NEXT) | instid1(SALU_CYCLE_1)
	s_lshl_b64 s[20:21], s[20:21], 2
	s_add_u32 s22, s27, s20
	s_addc_u32 s23, s28, s21
	s_clause 0x2
	s_load_b32 s48, s[22:23], 0x8
	s_load_b32 s46, s[18:19], 0x6c
	;; [unrolled: 1-line block ×3, first 2 shown]
	s_mov_b32 s18, exec_lo
	s_waitcnt lgkmcnt(0)
	s_ashr_i32 s0, s48, 31
	s_delay_alu instid0(SALU_CYCLE_1) | instskip(NEXT) | instid1(VALU_DEP_1)
	v_or_b32_e32 v3, s0, v13
	v_cmpx_ne_u64_e32 0, v[2:3]
	s_xor_b32 s49, exec_lo, s18
	s_cbranch_execz .LBB53_32
; %bb.31:                               ;   in Loop: Header=BB53_22 Depth=2
	s_add_u32 s24, s48, s0
	s_mov_b32 s18, s0
	s_mov_b32 s19, s0
	s_addc_u32 s25, s0, s0
	s_delay_alu instid0(SALU_CYCLE_1) | instskip(NEXT) | instid1(SALU_CYCLE_1)
	s_xor_b64 s[24:25], s[24:25], s[18:19]
	v_cvt_f32_u32_e32 v3, s24
	v_cvt_f32_u32_e32 v5, s25
	s_sub_u32 s0, 0, s24
	s_subb_u32 s50, 0, s25
	s_delay_alu instid0(VALU_DEP_1) | instskip(NEXT) | instid1(VALU_DEP_1)
	v_fmac_f32_e32 v3, 0x4f800000, v5
	v_rcp_f32_e32 v3, v3
	s_waitcnt_depctr 0xfff
	v_mul_f32_e32 v3, 0x5f7ffffc, v3
	s_delay_alu instid0(VALU_DEP_1) | instskip(NEXT) | instid1(VALU_DEP_1)
	v_mul_f32_e32 v5, 0x2f800000, v3
	v_trunc_f32_e32 v5, v5
	s_delay_alu instid0(VALU_DEP_1) | instskip(SKIP_1) | instid1(VALU_DEP_2)
	v_fmac_f32_e32 v3, 0xcf800000, v5
	v_cvt_u32_f32_e32 v5, v5
	v_cvt_u32_f32_e32 v3, v3
	s_delay_alu instid0(VALU_DEP_2) | instskip(NEXT) | instid1(VALU_DEP_2)
	v_mul_lo_u32 v7, s0, v5
	v_mul_hi_u32 v9, s0, v3
	v_mul_lo_u32 v11, s50, v3
	s_delay_alu instid0(VALU_DEP_2) | instskip(SKIP_1) | instid1(VALU_DEP_2)
	v_add_nc_u32_e32 v7, v9, v7
	v_mul_lo_u32 v9, s0, v3
	v_add_nc_u32_e32 v7, v7, v11
	s_delay_alu instid0(VALU_DEP_2) | instskip(NEXT) | instid1(VALU_DEP_2)
	v_mul_hi_u32 v11, v3, v9
	v_mul_lo_u32 v14, v3, v7
	v_mul_hi_u32 v15, v3, v7
	v_mul_hi_u32 v16, v5, v9
	v_mul_lo_u32 v9, v5, v9
	v_mul_hi_u32 v17, v5, v7
	v_mul_lo_u32 v7, v5, v7
	v_add_co_u32 v11, vcc_lo, v11, v14
	v_add_co_ci_u32_e32 v14, vcc_lo, 0, v15, vcc_lo
	s_delay_alu instid0(VALU_DEP_2) | instskip(NEXT) | instid1(VALU_DEP_2)
	v_add_co_u32 v9, vcc_lo, v11, v9
	v_add_co_ci_u32_e32 v9, vcc_lo, v14, v16, vcc_lo
	v_add_co_ci_u32_e32 v11, vcc_lo, 0, v17, vcc_lo
	v_ashrrev_i32_e32 v17, 31, v13
	s_delay_alu instid0(VALU_DEP_3) | instskip(NEXT) | instid1(VALU_DEP_3)
	v_add_co_u32 v7, vcc_lo, v9, v7
	v_add_co_ci_u32_e32 v9, vcc_lo, 0, v11, vcc_lo
	s_delay_alu instid0(VALU_DEP_2) | instskip(NEXT) | instid1(VALU_DEP_2)
	v_add_co_u32 v3, vcc_lo, v3, v7
	v_add_co_ci_u32_e32 v5, vcc_lo, v5, v9, vcc_lo
	s_delay_alu instid0(VALU_DEP_2) | instskip(SKIP_1) | instid1(VALU_DEP_3)
	v_mul_hi_u32 v7, s0, v3
	v_mul_lo_u32 v11, s50, v3
	v_mul_lo_u32 v9, s0, v5
	s_delay_alu instid0(VALU_DEP_1) | instskip(SKIP_1) | instid1(VALU_DEP_2)
	v_add_nc_u32_e32 v7, v7, v9
	v_mul_lo_u32 v9, s0, v3
	v_add_nc_u32_e32 v7, v7, v11
	s_delay_alu instid0(VALU_DEP_2) | instskip(NEXT) | instid1(VALU_DEP_2)
	v_mul_hi_u32 v11, v3, v9
	v_mul_lo_u32 v14, v3, v7
	v_mul_hi_u32 v15, v3, v7
	v_mul_hi_u32 v16, v5, v9
	v_mul_lo_u32 v9, v5, v9
	v_mul_hi_u32 v21, v5, v7
	v_mul_lo_u32 v7, v5, v7
	v_add_co_u32 v11, vcc_lo, v11, v14
	v_add_co_ci_u32_e32 v14, vcc_lo, 0, v15, vcc_lo
	s_delay_alu instid0(VALU_DEP_2) | instskip(NEXT) | instid1(VALU_DEP_2)
	v_add_co_u32 v9, vcc_lo, v11, v9
	v_add_co_ci_u32_e32 v9, vcc_lo, v14, v16, vcc_lo
	v_add_co_ci_u32_e32 v11, vcc_lo, 0, v21, vcc_lo
	v_add_co_u32 v14, vcc_lo, v12, v17
	v_add_co_ci_u32_e32 v13, vcc_lo, v13, v17, vcc_lo
	s_delay_alu instid0(VALU_DEP_4) | instskip(NEXT) | instid1(VALU_DEP_4)
	v_add_co_u32 v7, vcc_lo, v9, v7
	v_add_co_ci_u32_e32 v9, vcc_lo, 0, v11, vcc_lo
	s_delay_alu instid0(VALU_DEP_4) | instskip(NEXT) | instid1(VALU_DEP_3)
	v_xor_b32_e32 v11, v14, v17
	v_add_co_u32 v3, vcc_lo, v3, v7
	s_delay_alu instid0(VALU_DEP_3) | instskip(SKIP_1) | instid1(VALU_DEP_3)
	v_add_co_ci_u32_e32 v5, vcc_lo, v5, v9, vcc_lo
	v_xor_b32_e32 v7, v13, v17
	v_mul_hi_u32 v9, v11, v3
	s_delay_alu instid0(VALU_DEP_3) | instskip(NEXT) | instid1(VALU_DEP_3)
	v_mad_u64_u32 v[13:14], null, v11, v5, 0
	v_mad_u64_u32 v[15:16], null, v7, v3, 0
	;; [unrolled: 1-line block ×3, first 2 shown]
	s_delay_alu instid0(VALU_DEP_3) | instskip(NEXT) | instid1(VALU_DEP_4)
	v_add_co_u32 v3, vcc_lo, v9, v13
	v_add_co_ci_u32_e32 v5, vcc_lo, 0, v14, vcc_lo
	s_delay_alu instid0(VALU_DEP_2) | instskip(NEXT) | instid1(VALU_DEP_2)
	v_add_co_u32 v3, vcc_lo, v3, v15
	v_add_co_ci_u32_e32 v3, vcc_lo, v5, v16, vcc_lo
	v_add_co_ci_u32_e32 v5, vcc_lo, 0, v22, vcc_lo
	s_delay_alu instid0(VALU_DEP_2) | instskip(NEXT) | instid1(VALU_DEP_2)
	v_add_co_u32 v3, vcc_lo, v3, v21
	v_add_co_ci_u32_e32 v5, vcc_lo, 0, v5, vcc_lo
	s_delay_alu instid0(VALU_DEP_2) | instskip(SKIP_1) | instid1(VALU_DEP_3)
	v_mul_lo_u32 v9, s25, v3
	v_mad_u64_u32 v[13:14], null, s24, v3, 0
	v_mul_lo_u32 v15, s24, v5
	s_delay_alu instid0(VALU_DEP_2) | instskip(NEXT) | instid1(VALU_DEP_2)
	v_sub_co_u32 v11, vcc_lo, v11, v13
	v_add3_u32 v9, v14, v15, v9
	s_delay_alu instid0(VALU_DEP_1) | instskip(NEXT) | instid1(VALU_DEP_1)
	v_sub_nc_u32_e32 v14, v7, v9
	v_subrev_co_ci_u32_e64 v13, s0, s25, v14, vcc_lo
	v_add_co_u32 v14, s0, v3, 2
	s_delay_alu instid0(VALU_DEP_1) | instskip(SKIP_3) | instid1(VALU_DEP_3)
	v_add_co_ci_u32_e64 v15, s0, 0, v5, s0
	v_sub_co_u32 v16, s0, v11, s24
	v_sub_co_ci_u32_e32 v7, vcc_lo, v7, v9, vcc_lo
	v_subrev_co_ci_u32_e64 v13, s0, 0, v13, s0
	v_cmp_le_u32_e32 vcc_lo, s24, v16
	s_delay_alu instid0(VALU_DEP_3) | instskip(SKIP_1) | instid1(VALU_DEP_4)
	v_cmp_eq_u32_e64 s0, s25, v7
	v_cndmask_b32_e64 v9, 0, -1, vcc_lo
	v_cmp_le_u32_e32 vcc_lo, s25, v13
	v_cndmask_b32_e64 v16, 0, -1, vcc_lo
	v_cmp_le_u32_e32 vcc_lo, s24, v11
	;; [unrolled: 2-line block ×3, first 2 shown]
	v_cndmask_b32_e64 v21, 0, -1, vcc_lo
	v_cmp_eq_u32_e32 vcc_lo, s25, v13
	s_delay_alu instid0(VALU_DEP_2) | instskip(SKIP_3) | instid1(VALU_DEP_3)
	v_cndmask_b32_e64 v7, v21, v11, s0
	v_cndmask_b32_e32 v9, v16, v9, vcc_lo
	v_add_co_u32 v13, vcc_lo, v3, 1
	v_add_co_ci_u32_e32 v16, vcc_lo, 0, v5, vcc_lo
	v_cmp_ne_u32_e32 vcc_lo, 0, v9
	s_delay_alu instid0(VALU_DEP_2) | instskip(NEXT) | instid1(VALU_DEP_4)
	v_cndmask_b32_e32 v9, v16, v15, vcc_lo
	v_cndmask_b32_e32 v11, v13, v14, vcc_lo
	v_cmp_ne_u32_e32 vcc_lo, 0, v7
	v_xor_b32_e32 v7, s18, v17
	s_delay_alu instid0(VALU_DEP_3) | instskip(SKIP_2) | instid1(VALU_DEP_3)
	v_cndmask_b32_e32 v3, v3, v11, vcc_lo
	v_cndmask_b32_e32 v5, v5, v9, vcc_lo
	v_xor_b32_e32 v9, s19, v17
	v_xor_b32_e32 v3, v3, v7
	s_delay_alu instid0(VALU_DEP_2) | instskip(NEXT) | instid1(VALU_DEP_2)
	v_xor_b32_e32 v5, v5, v9
	v_sub_co_u32 v14, vcc_lo, v3, v7
	s_delay_alu instid0(VALU_DEP_2)
	v_sub_co_ci_u32_e32 v15, vcc_lo, v5, v9, vcc_lo
.LBB53_32:                              ;   in Loop: Header=BB53_22 Depth=2
	s_and_not1_saveexec_b32 s0, s49
	s_cbranch_execz .LBB53_34
; %bb.33:                               ;   in Loop: Header=BB53_22 Depth=2
	v_cvt_f32_u32_e32 v3, s48
	s_sub_i32 s18, 0, s48
	v_mov_b32_e32 v15, v2
	s_delay_alu instid0(VALU_DEP_2) | instskip(SKIP_2) | instid1(VALU_DEP_1)
	v_rcp_iflag_f32_e32 v3, v3
	s_waitcnt_depctr 0xfff
	v_mul_f32_e32 v3, 0x4f7ffffe, v3
	v_cvt_u32_f32_e32 v3, v3
	s_delay_alu instid0(VALU_DEP_1) | instskip(NEXT) | instid1(VALU_DEP_1)
	v_mul_lo_u32 v5, s18, v3
	v_mul_hi_u32 v5, v3, v5
	s_delay_alu instid0(VALU_DEP_1) | instskip(NEXT) | instid1(VALU_DEP_1)
	v_add_nc_u32_e32 v3, v3, v5
	v_mul_hi_u32 v3, v12, v3
	s_delay_alu instid0(VALU_DEP_1) | instskip(SKIP_1) | instid1(VALU_DEP_2)
	v_mul_lo_u32 v5, v3, s48
	v_add_nc_u32_e32 v7, 1, v3
	v_sub_nc_u32_e32 v5, v12, v5
	s_delay_alu instid0(VALU_DEP_1) | instskip(SKIP_1) | instid1(VALU_DEP_4)
	v_cmp_le_u32_e32 vcc_lo, s48, v5
	v_subrev_nc_u32_e32 v9, s48, v5
	v_cndmask_b32_e32 v3, v3, v7, vcc_lo
	s_delay_alu instid0(VALU_DEP_1) | instskip(NEXT) | instid1(VALU_DEP_3)
	v_add_nc_u32_e32 v7, 1, v3
	v_cndmask_b32_e32 v5, v5, v9, vcc_lo
	s_delay_alu instid0(VALU_DEP_1) | instskip(NEXT) | instid1(VALU_DEP_3)
	v_cmp_le_u32_e32 vcc_lo, s48, v5
	v_cndmask_b32_e32 v14, v3, v7, vcc_lo
.LBB53_34:                              ;   in Loop: Header=BB53_22 Depth=2
	s_or_b32 exec_lo, exec_lo, s0
	s_add_u32 s24, s31, s20
	s_addc_u32 s25, s33, s21
	s_add_i32 s18, s16, -3
	s_mov_b32 s19, s17
                                        ; implicit-def: $vgpr16_vgpr17
	s_delay_alu instid0(SALU_CYCLE_1) | instskip(NEXT) | instid1(SALU_CYCLE_1)
	s_lshl_b64 s[20:21], s[18:19], 2
	s_add_u32 s18, s27, s20
	s_addc_u32 s19, s28, s21
	s_clause 0x2
	s_load_b32 s51, s[18:19], 0x8
	s_load_b32 s49, s[22:23], 0x6c
	;; [unrolled: 1-line block ×3, first 2 shown]
	s_mov_b32 s22, exec_lo
	s_waitcnt lgkmcnt(0)
	s_ashr_i32 s0, s51, 31
	s_delay_alu instid0(SALU_CYCLE_1) | instskip(NEXT) | instid1(VALU_DEP_1)
	v_or_b32_e32 v3, s0, v15
	v_cmpx_ne_u64_e32 0, v[2:3]
	s_xor_b32 s52, exec_lo, s22
	s_cbranch_execz .LBB53_36
; %bb.35:                               ;   in Loop: Header=BB53_22 Depth=2
	s_add_u32 s24, s51, s0
	s_mov_b32 s22, s0
	s_mov_b32 s23, s0
	s_addc_u32 s25, s0, s0
	s_delay_alu instid0(SALU_CYCLE_1) | instskip(NEXT) | instid1(SALU_CYCLE_1)
	s_xor_b64 s[24:25], s[24:25], s[22:23]
	v_cvt_f32_u32_e32 v3, s24
	v_cvt_f32_u32_e32 v5, s25
	s_sub_u32 s0, 0, s24
	s_subb_u32 s53, 0, s25
	s_delay_alu instid0(VALU_DEP_1) | instskip(NEXT) | instid1(VALU_DEP_1)
	v_fmac_f32_e32 v3, 0x4f800000, v5
	v_rcp_f32_e32 v3, v3
	s_waitcnt_depctr 0xfff
	v_mul_f32_e32 v3, 0x5f7ffffc, v3
	s_delay_alu instid0(VALU_DEP_1) | instskip(NEXT) | instid1(VALU_DEP_1)
	v_mul_f32_e32 v5, 0x2f800000, v3
	v_trunc_f32_e32 v5, v5
	s_delay_alu instid0(VALU_DEP_1) | instskip(SKIP_1) | instid1(VALU_DEP_2)
	v_fmac_f32_e32 v3, 0xcf800000, v5
	v_cvt_u32_f32_e32 v5, v5
	v_cvt_u32_f32_e32 v3, v3
	s_delay_alu instid0(VALU_DEP_2) | instskip(NEXT) | instid1(VALU_DEP_2)
	v_mul_lo_u32 v7, s0, v5
	v_mul_hi_u32 v9, s0, v3
	v_mul_lo_u32 v11, s53, v3
	s_delay_alu instid0(VALU_DEP_2) | instskip(SKIP_1) | instid1(VALU_DEP_2)
	v_add_nc_u32_e32 v7, v9, v7
	v_mul_lo_u32 v9, s0, v3
	v_add_nc_u32_e32 v7, v7, v11
	s_delay_alu instid0(VALU_DEP_2) | instskip(NEXT) | instid1(VALU_DEP_2)
	v_mul_hi_u32 v11, v3, v9
	v_mul_lo_u32 v13, v3, v7
	v_mul_hi_u32 v16, v3, v7
	v_mul_hi_u32 v17, v5, v9
	v_mul_lo_u32 v9, v5, v9
	v_mul_hi_u32 v21, v5, v7
	v_mul_lo_u32 v7, v5, v7
	v_add_co_u32 v11, vcc_lo, v11, v13
	v_add_co_ci_u32_e32 v13, vcc_lo, 0, v16, vcc_lo
	s_delay_alu instid0(VALU_DEP_2) | instskip(NEXT) | instid1(VALU_DEP_2)
	v_add_co_u32 v9, vcc_lo, v11, v9
	v_add_co_ci_u32_e32 v9, vcc_lo, v13, v17, vcc_lo
	v_add_co_ci_u32_e32 v11, vcc_lo, 0, v21, vcc_lo
	v_ashrrev_i32_e32 v17, 31, v15
	s_delay_alu instid0(VALU_DEP_3) | instskip(NEXT) | instid1(VALU_DEP_3)
	v_add_co_u32 v7, vcc_lo, v9, v7
	v_add_co_ci_u32_e32 v9, vcc_lo, 0, v11, vcc_lo
	s_delay_alu instid0(VALU_DEP_2) | instskip(NEXT) | instid1(VALU_DEP_2)
	v_add_co_u32 v3, vcc_lo, v3, v7
	v_add_co_ci_u32_e32 v5, vcc_lo, v5, v9, vcc_lo
	s_delay_alu instid0(VALU_DEP_2) | instskip(SKIP_1) | instid1(VALU_DEP_3)
	v_mul_hi_u32 v7, s0, v3
	v_mul_lo_u32 v11, s53, v3
	v_mul_lo_u32 v9, s0, v5
	s_delay_alu instid0(VALU_DEP_1) | instskip(SKIP_1) | instid1(VALU_DEP_2)
	v_add_nc_u32_e32 v7, v7, v9
	v_mul_lo_u32 v9, s0, v3
	v_add_nc_u32_e32 v7, v7, v11
	s_delay_alu instid0(VALU_DEP_2) | instskip(NEXT) | instid1(VALU_DEP_2)
	v_mul_hi_u32 v11, v3, v9
	v_mul_lo_u32 v13, v3, v7
	v_mul_hi_u32 v16, v3, v7
	v_mul_hi_u32 v21, v5, v9
	v_mul_lo_u32 v9, v5, v9
	v_mul_hi_u32 v22, v5, v7
	v_mul_lo_u32 v7, v5, v7
	v_add_co_u32 v11, vcc_lo, v11, v13
	v_add_co_ci_u32_e32 v13, vcc_lo, 0, v16, vcc_lo
	s_delay_alu instid0(VALU_DEP_2) | instskip(NEXT) | instid1(VALU_DEP_2)
	v_add_co_u32 v9, vcc_lo, v11, v9
	v_add_co_ci_u32_e32 v9, vcc_lo, v13, v21, vcc_lo
	v_add_co_ci_u32_e32 v11, vcc_lo, 0, v22, vcc_lo
	v_add_co_u32 v13, vcc_lo, v14, v17
	v_add_co_ci_u32_e32 v15, vcc_lo, v15, v17, vcc_lo
	s_delay_alu instid0(VALU_DEP_4) | instskip(NEXT) | instid1(VALU_DEP_4)
	v_add_co_u32 v7, vcc_lo, v9, v7
	v_add_co_ci_u32_e32 v9, vcc_lo, 0, v11, vcc_lo
	s_delay_alu instid0(VALU_DEP_4) | instskip(NEXT) | instid1(VALU_DEP_3)
	v_xor_b32_e32 v11, v13, v17
	v_add_co_u32 v3, vcc_lo, v3, v7
	s_delay_alu instid0(VALU_DEP_3) | instskip(SKIP_1) | instid1(VALU_DEP_3)
	v_add_co_ci_u32_e32 v5, vcc_lo, v5, v9, vcc_lo
	v_xor_b32_e32 v7, v15, v17
	v_mul_hi_u32 v9, v11, v3
	s_delay_alu instid0(VALU_DEP_3) | instskip(NEXT) | instid1(VALU_DEP_3)
	v_mad_u64_u32 v[15:16], null, v11, v5, 0
	v_mad_u64_u32 v[21:22], null, v7, v3, 0
	;; [unrolled: 1-line block ×3, first 2 shown]
	s_delay_alu instid0(VALU_DEP_3) | instskip(NEXT) | instid1(VALU_DEP_4)
	v_add_co_u32 v3, vcc_lo, v9, v15
	v_add_co_ci_u32_e32 v5, vcc_lo, 0, v16, vcc_lo
	s_delay_alu instid0(VALU_DEP_2) | instskip(NEXT) | instid1(VALU_DEP_2)
	v_add_co_u32 v3, vcc_lo, v3, v21
	v_add_co_ci_u32_e32 v3, vcc_lo, v5, v22, vcc_lo
	v_add_co_ci_u32_e32 v5, vcc_lo, 0, v24, vcc_lo
	s_delay_alu instid0(VALU_DEP_2) | instskip(NEXT) | instid1(VALU_DEP_2)
	v_add_co_u32 v3, vcc_lo, v3, v23
	v_add_co_ci_u32_e32 v5, vcc_lo, 0, v5, vcc_lo
	s_delay_alu instid0(VALU_DEP_2) | instskip(SKIP_1) | instid1(VALU_DEP_3)
	v_mul_lo_u32 v9, s25, v3
	v_mad_u64_u32 v[15:16], null, s24, v3, 0
	v_mul_lo_u32 v13, s24, v5
	s_delay_alu instid0(VALU_DEP_2) | instskip(NEXT) | instid1(VALU_DEP_2)
	v_sub_co_u32 v11, vcc_lo, v11, v15
	v_add3_u32 v9, v16, v13, v9
	s_delay_alu instid0(VALU_DEP_1) | instskip(NEXT) | instid1(VALU_DEP_1)
	v_sub_nc_u32_e32 v13, v7, v9
	v_subrev_co_ci_u32_e64 v13, s0, s25, v13, vcc_lo
	v_add_co_u32 v15, s0, v3, 2
	s_delay_alu instid0(VALU_DEP_1) | instskip(SKIP_3) | instid1(VALU_DEP_3)
	v_add_co_ci_u32_e64 v16, s0, 0, v5, s0
	v_sub_co_u32 v21, s0, v11, s24
	v_sub_co_ci_u32_e32 v7, vcc_lo, v7, v9, vcc_lo
	v_subrev_co_ci_u32_e64 v13, s0, 0, v13, s0
	v_cmp_le_u32_e32 vcc_lo, s24, v21
	s_delay_alu instid0(VALU_DEP_3) | instskip(SKIP_1) | instid1(VALU_DEP_4)
	v_cmp_eq_u32_e64 s0, s25, v7
	v_cndmask_b32_e64 v9, 0, -1, vcc_lo
	v_cmp_le_u32_e32 vcc_lo, s25, v13
	v_cndmask_b32_e64 v21, 0, -1, vcc_lo
	v_cmp_le_u32_e32 vcc_lo, s24, v11
	v_cndmask_b32_e64 v11, 0, -1, vcc_lo
	v_cmp_le_u32_e32 vcc_lo, s25, v7
	v_cndmask_b32_e64 v22, 0, -1, vcc_lo
	v_cmp_eq_u32_e32 vcc_lo, s25, v13
	s_delay_alu instid0(VALU_DEP_2) | instskip(SKIP_3) | instid1(VALU_DEP_3)
	v_cndmask_b32_e64 v7, v22, v11, s0
	v_cndmask_b32_e32 v9, v21, v9, vcc_lo
	v_add_co_u32 v13, vcc_lo, v3, 1
	v_add_co_ci_u32_e32 v21, vcc_lo, 0, v5, vcc_lo
	v_cmp_ne_u32_e32 vcc_lo, 0, v9
	s_delay_alu instid0(VALU_DEP_2) | instskip(NEXT) | instid1(VALU_DEP_4)
	v_cndmask_b32_e32 v9, v21, v16, vcc_lo
	v_cndmask_b32_e32 v11, v13, v15, vcc_lo
	v_cmp_ne_u32_e32 vcc_lo, 0, v7
	v_xor_b32_e32 v7, s22, v17
	s_delay_alu instid0(VALU_DEP_3) | instskip(SKIP_2) | instid1(VALU_DEP_3)
	v_cndmask_b32_e32 v3, v3, v11, vcc_lo
	v_cndmask_b32_e32 v5, v5, v9, vcc_lo
	v_xor_b32_e32 v9, s23, v17
	v_xor_b32_e32 v3, v3, v7
	s_delay_alu instid0(VALU_DEP_2) | instskip(NEXT) | instid1(VALU_DEP_2)
	v_xor_b32_e32 v5, v5, v9
	v_sub_co_u32 v16, vcc_lo, v3, v7
	s_delay_alu instid0(VALU_DEP_2)
	v_sub_co_ci_u32_e32 v17, vcc_lo, v5, v9, vcc_lo
.LBB53_36:                              ;   in Loop: Header=BB53_22 Depth=2
	s_and_not1_saveexec_b32 s0, s52
	s_cbranch_execz .LBB53_38
; %bb.37:                               ;   in Loop: Header=BB53_22 Depth=2
	v_cvt_f32_u32_e32 v3, s51
	s_sub_i32 s22, 0, s51
	v_mov_b32_e32 v17, v2
	s_delay_alu instid0(VALU_DEP_2) | instskip(SKIP_2) | instid1(VALU_DEP_1)
	v_rcp_iflag_f32_e32 v3, v3
	s_waitcnt_depctr 0xfff
	v_mul_f32_e32 v3, 0x4f7ffffe, v3
	v_cvt_u32_f32_e32 v3, v3
	s_delay_alu instid0(VALU_DEP_1) | instskip(NEXT) | instid1(VALU_DEP_1)
	v_mul_lo_u32 v5, s22, v3
	v_mul_hi_u32 v5, v3, v5
	s_delay_alu instid0(VALU_DEP_1) | instskip(NEXT) | instid1(VALU_DEP_1)
	v_add_nc_u32_e32 v3, v3, v5
	v_mul_hi_u32 v3, v14, v3
	s_delay_alu instid0(VALU_DEP_1) | instskip(SKIP_1) | instid1(VALU_DEP_2)
	v_mul_lo_u32 v5, v3, s51
	v_add_nc_u32_e32 v7, 1, v3
	v_sub_nc_u32_e32 v5, v14, v5
	s_delay_alu instid0(VALU_DEP_1) | instskip(SKIP_1) | instid1(VALU_DEP_4)
	v_cmp_le_u32_e32 vcc_lo, s51, v5
	v_subrev_nc_u32_e32 v9, s51, v5
	v_cndmask_b32_e32 v3, v3, v7, vcc_lo
	s_delay_alu instid0(VALU_DEP_1) | instskip(NEXT) | instid1(VALU_DEP_3)
	v_add_nc_u32_e32 v7, 1, v3
	v_cndmask_b32_e32 v5, v5, v9, vcc_lo
	s_delay_alu instid0(VALU_DEP_1) | instskip(NEXT) | instid1(VALU_DEP_3)
	v_cmp_le_u32_e32 vcc_lo, s51, v5
	v_cndmask_b32_e32 v16, v3, v7, vcc_lo
.LBB53_38:                              ;   in Loop: Header=BB53_22 Depth=2
	s_or_b32 exec_lo, exec_lo, s0
	s_add_u32 s20, s31, s20
	s_addc_u32 s21, s33, s21
	s_clause 0x1
	s_load_b32 s0, s[18:19], 0x6c
	s_load_b32 s18, s[20:21], 0x0
	v_mul_lo_u32 v3, v10, s42
	v_mul_lo_u32 v5, v12, s45
	;; [unrolled: 1-line block ×4, first 2 shown]
	s_add_i32 s16, s16, -4
	s_delay_alu instid0(SALU_CYCLE_1) | instskip(NEXT) | instid1(VALU_DEP_4)
	s_cmp_eq_u32 s16, -1
	v_sub_nc_u32_e32 v3, v8, v3
	s_delay_alu instid0(VALU_DEP_4) | instskip(NEXT) | instid1(VALU_DEP_4)
	v_sub_nc_u32_e32 v5, v10, v5
	v_sub_nc_u32_e32 v7, v12, v7
	s_delay_alu instid0(VALU_DEP_4) | instskip(NEXT) | instid1(VALU_DEP_4)
	v_sub_nc_u32_e32 v8, v14, v9
	v_mul_lo_u32 v9, s43, v3
	v_mul_lo_u32 v3, s44, v3
	;; [unrolled: 1-line block ×6, first 2 shown]
	s_waitcnt lgkmcnt(0)
	v_mul_lo_u32 v12, s0, v8
	v_mul_lo_u32 v8, s18, v8
	v_add3_u32 v6, v9, v6, v10
	v_add3_u32 v3, v3, v4, v5
	s_delay_alu instid0(VALU_DEP_2) | instskip(NEXT) | instid1(VALU_DEP_2)
	v_add3_u32 v6, v11, v6, v12
	v_add3_u32 v4, v7, v3, v8
	s_cbranch_scc1 .LBB53_40
; %bb.39:                               ;   in Loop: Header=BB53_22 Depth=2
	v_dual_mov_b32 v8, v16 :: v_dual_mov_b32 v9, v17
	s_branch .LBB53_22
.LBB53_40:                              ;   in Loop: Header=BB53_3 Depth=1
	v_sub_nc_u32_e32 v5, v19, v20
	v_mov_b32_e32 v3, 0
	s_mov_b32 s0, exec_lo
	s_delay_alu instid0(VALU_DEP_2) | instskip(NEXT) | instid1(VALU_DEP_1)
	v_add_nc_u32_e32 v7, 4, v5
	v_ashrrev_i32_e32 v8, 31, v7
	s_delay_alu instid0(VALU_DEP_1)
	v_cmpx_le_i64_e64 s[4:5], v[7:8]
	s_cbranch_execz .LBB53_50
; %bb.41:                               ;   in Loop: Header=BB53_3 Depth=1
	v_mov_b32_e32 v3, 0
	s_mov_b32 s16, exec_lo
	v_cmpx_gt_i32_e64 s9, v19
	s_cbranch_execz .LBB53_49
; %bb.42:                               ;   in Loop: Header=BB53_3 Depth=1
	v_ashrrev_i32_e32 v3, 31, v6
	v_add_co_u32 v7, vcc_lo, s2, v6
	v_add_nc_u32_e32 v9, 1, v19
	s_mov_b32 s18, exec_lo
	s_delay_alu instid0(VALU_DEP_3)
	v_add_co_ci_u32_e32 v8, vcc_lo, s3, v3, vcc_lo
	global_load_u8 v3, v[7:8], off
	v_cmpx_gt_i32_e64 s9, v9
	s_xor_b32 s18, exec_lo, s18
	s_cbranch_execz .LBB53_48
; %bb.43:                               ;   in Loop: Header=BB53_3 Depth=1
	v_add_co_u32 v7, vcc_lo, v7, s11
	v_add_co_ci_u32_e32 v8, vcc_lo, s39, v8, vcc_lo
	s_mov_b32 s19, exec_lo
	global_load_u8 v7, v[7:8], off
	s_waitcnt vmcnt(0)
	v_lshlrev_b16 v7, 8, v7
	s_delay_alu instid0(VALU_DEP_1) | instskip(SKIP_1) | instid1(VALU_DEP_2)
	v_or_b32_e32 v3, v3, v7
	v_add_nc_u32_e32 v7, 2, v19
	v_and_b32_e32 v3, 0xffff, v3
	s_delay_alu instid0(VALU_DEP_2)
	v_cmpx_gt_i32_e64 s9, v7
	s_xor_b32 s19, exec_lo, s19
	s_cbranch_execz .LBB53_47
; %bb.44:                               ;   in Loop: Header=BB53_3 Depth=1
	v_add3_u32 v6, s11, s11, v6
	s_mov_b32 s20, exec_lo
	s_delay_alu instid0(VALU_DEP_1) | instskip(SKIP_1) | instid1(VALU_DEP_2)
	v_ashrrev_i32_e32 v8, 31, v6
	v_add_co_u32 v7, vcc_lo, s2, v6
	v_add_co_ci_u32_e32 v8, vcc_lo, s3, v8, vcc_lo
	global_load_u8 v7, v[7:8], off
	v_add_nc_u32_e32 v8, 3, v19
	s_waitcnt vmcnt(0)
	v_lshl_or_b32 v3, v7, 16, v3
	s_delay_alu instid0(VALU_DEP_2)
	v_cmpx_gt_i32_e64 s9, v8
	s_xor_b32 s20, exec_lo, s20
	s_cbranch_execz .LBB53_46
; %bb.45:                               ;   in Loop: Header=BB53_3 Depth=1
	v_add_nc_u32_e32 v6, s11, v6
	s_delay_alu instid0(VALU_DEP_1) | instskip(SKIP_1) | instid1(VALU_DEP_2)
	v_ashrrev_i32_e32 v7, 31, v6
	v_add_co_u32 v6, vcc_lo, s2, v6
	v_add_co_ci_u32_e32 v7, vcc_lo, s3, v7, vcc_lo
	global_load_u8 v6, v[6:7], off
	v_lshrrev_b32_e32 v7, 16, v3
	s_waitcnt vmcnt(0)
	v_lshlrev_b16 v6, 8, v6
	s_delay_alu instid0(VALU_DEP_1) | instskip(NEXT) | instid1(VALU_DEP_1)
	v_or_b32_e32 v6, v7, v6
	v_lshlrev_b32_e32 v6, 16, v6
	s_delay_alu instid0(VALU_DEP_1)
	v_and_or_b32 v3, 0xffff, v3, v6
.LBB53_46:                              ;   in Loop: Header=BB53_3 Depth=1
	s_or_b32 exec_lo, exec_lo, s20
.LBB53_47:                              ;   in Loop: Header=BB53_3 Depth=1
	s_delay_alu instid0(SALU_CYCLE_1)
	s_or_b32 exec_lo, exec_lo, s19
.LBB53_48:                              ;   in Loop: Header=BB53_3 Depth=1
	s_delay_alu instid0(SALU_CYCLE_1)
	s_or_b32 exec_lo, exec_lo, s18
.LBB53_49:                              ;   in Loop: Header=BB53_3 Depth=1
	s_delay_alu instid0(SALU_CYCLE_1)
	s_or_b32 exec_lo, exec_lo, s16
	v_ashrrev_i32_e32 v6, 31, v5
	v_add_nc_u32_e32 v9, 3, v5
	s_waitcnt vmcnt(0)
	v_lshrrev_b32_e32 v13, 8, v3
	v_lshrrev_b32_e32 v11, 16, v3
	v_cmp_le_i64_e32 vcc_lo, s[4:5], v[5:6]
	v_add_nc_u32_e32 v7, 1, v5
	v_ashrrev_i32_e32 v10, 31, v9
	v_dual_cndmask_b32 v12, 0, v3 :: v_dual_add_nc_u32 v5, 2, v5
	s_delay_alu instid0(VALU_DEP_3) | instskip(SKIP_1) | instid1(VALU_DEP_3)
	v_ashrrev_i32_e32 v8, 31, v7
	v_lshrrev_b32_e32 v3, 24, v3
	v_ashrrev_i32_e32 v6, 31, v5
	s_delay_alu instid0(VALU_DEP_3)
	v_cmp_le_i64_e32 vcc_lo, s[4:5], v[7:8]
	v_cndmask_b32_e32 v7, 0, v13, vcc_lo
	v_cmp_le_i64_e32 vcc_lo, s[4:5], v[9:10]
	v_cndmask_b32_e32 v3, 0, v3, vcc_lo
	v_cmp_le_i64_e32 vcc_lo, s[4:5], v[5:6]
	v_and_b32_e32 v6, 0xff, v12
	v_lshlrev_b16 v7, 8, v7
	s_delay_alu instid0(VALU_DEP_4) | instskip(SKIP_1) | instid1(VALU_DEP_3)
	v_lshlrev_b16 v3, 8, v3
	v_cndmask_b32_e32 v5, 0, v11, vcc_lo
	v_or_b32_e32 v6, v6, v7
	s_delay_alu instid0(VALU_DEP_2) | instskip(NEXT) | instid1(VALU_DEP_1)
	v_and_b32_e32 v5, 0xff, v5
	v_or_b32_e32 v3, v5, v3
	s_delay_alu instid0(VALU_DEP_3) | instskip(NEXT) | instid1(VALU_DEP_2)
	v_and_b32_e32 v5, 0xffff, v6
	v_lshlrev_b32_e32 v3, 16, v3
	s_delay_alu instid0(VALU_DEP_1)
	v_or_b32_e32 v3, v5, v3
.LBB53_50:                              ;   in Loop: Header=BB53_3 Depth=1
	s_or_b32 exec_lo, exec_lo, s0
	s_delay_alu instid0(SALU_CYCLE_1)
	s_mov_b32 s0, exec_lo
	v_cmpx_gt_i32_e64 s9, v19
	s_cbranch_execz .LBB53_2
; %bb.51:                               ;   in Loop: Header=BB53_3 Depth=1
	v_ashrrev_i32_e32 v6, 31, v4
	v_add_co_u32 v5, vcc_lo, s14, v4
	v_add_nc_u32_e32 v7, 1, v19
	s_mov_b32 s16, exec_lo
	s_delay_alu instid0(VALU_DEP_3)
	v_add_co_ci_u32_e32 v6, vcc_lo, s15, v6, vcc_lo
	global_store_b8 v[5:6], v3, off
	v_cmpx_gt_i32_e64 s9, v7
	s_xor_b32 s16, exec_lo, s16
	s_cbranch_execz .LBB53_2
; %bb.52:                               ;   in Loop: Header=BB53_3 Depth=1
	v_add_co_u32 v5, vcc_lo, v5, s13
	v_lshrrev_b32_e32 v7, 8, v3
	v_add_nc_u32_e32 v8, 2, v19
	v_add_co_ci_u32_e32 v6, vcc_lo, s40, v6, vcc_lo
	s_mov_b32 s16, exec_lo
	global_store_b8 v[5:6], v7, off
	v_cmpx_gt_i32_e64 s9, v8
	s_xor_b32 s16, exec_lo, s16
	s_cbranch_execz .LBB53_2
; %bb.53:                               ;   in Loop: Header=BB53_3 Depth=1
	v_add3_u32 v4, s13, s13, v4
	v_add_nc_u32_e32 v7, 3, v19
	s_mov_b32 s16, exec_lo
	s_delay_alu instid0(VALU_DEP_2) | instskip(SKIP_1) | instid1(VALU_DEP_2)
	v_ashrrev_i32_e32 v6, 31, v4
	v_add_co_u32 v5, vcc_lo, s14, v4
	v_add_co_ci_u32_e32 v6, vcc_lo, s15, v6, vcc_lo
	global_store_d16_hi_b8 v[5:6], v3, off
	v_cmpx_gt_i32_e64 s9, v7
	s_xor_b32 s16, exec_lo, s16
	s_cbranch_execz .LBB53_2
; %bb.54:                               ;   in Loop: Header=BB53_3 Depth=1
	v_add_nc_u32_e32 v4, s13, v4
	v_lshrrev_b32_e32 v6, 24, v3
	s_delay_alu instid0(VALU_DEP_2) | instskip(SKIP_1) | instid1(VALU_DEP_2)
	v_ashrrev_i32_e32 v5, 31, v4
	v_add_co_u32 v3, vcc_lo, s14, v4
	v_add_co_ci_u32_e32 v4, vcc_lo, s15, v5, vcc_lo
	global_store_b8 v[3:4], v6, off
	s_branch .LBB53_2
.LBB53_55:
	s_nop 0
	s_sendmsg sendmsg(MSG_DEALLOC_VGPRS)
	s_endpgm
	.section	.rodata,"a",@progbits
	.p2align	6, 0x0
	.amdhsa_kernel _ZN2at6native16triu_tril_kernelIhiLb1ELi4ELb0EEEvNS_4cuda6detail10TensorInfoIT_T0_EENS4_IKS5_S6_EEllS6_
		.amdhsa_group_segment_fixed_size 0
		.amdhsa_private_segment_fixed_size 0
		.amdhsa_kernarg_size 712
		.amdhsa_user_sgpr_count 15
		.amdhsa_user_sgpr_dispatch_ptr 0
		.amdhsa_user_sgpr_queue_ptr 0
		.amdhsa_user_sgpr_kernarg_segment_ptr 1
		.amdhsa_user_sgpr_dispatch_id 0
		.amdhsa_user_sgpr_private_segment_size 0
		.amdhsa_wavefront_size32 1
		.amdhsa_uses_dynamic_stack 0
		.amdhsa_enable_private_segment 0
		.amdhsa_system_sgpr_workgroup_id_x 1
		.amdhsa_system_sgpr_workgroup_id_y 0
		.amdhsa_system_sgpr_workgroup_id_z 0
		.amdhsa_system_sgpr_workgroup_info 0
		.amdhsa_system_vgpr_workitem_id 0
		.amdhsa_next_free_vgpr 25
		.amdhsa_next_free_sgpr 54
		.amdhsa_reserve_vcc 1
		.amdhsa_float_round_mode_32 0
		.amdhsa_float_round_mode_16_64 0
		.amdhsa_float_denorm_mode_32 3
		.amdhsa_float_denorm_mode_16_64 3
		.amdhsa_dx10_clamp 1
		.amdhsa_ieee_mode 1
		.amdhsa_fp16_overflow 0
		.amdhsa_workgroup_processor_mode 1
		.amdhsa_memory_ordered 1
		.amdhsa_forward_progress 0
		.amdhsa_shared_vgpr_count 0
		.amdhsa_exception_fp_ieee_invalid_op 0
		.amdhsa_exception_fp_denorm_src 0
		.amdhsa_exception_fp_ieee_div_zero 0
		.amdhsa_exception_fp_ieee_overflow 0
		.amdhsa_exception_fp_ieee_underflow 0
		.amdhsa_exception_fp_ieee_inexact 0
		.amdhsa_exception_int_div_zero 0
	.end_amdhsa_kernel
	.section	.text._ZN2at6native16triu_tril_kernelIhiLb1ELi4ELb0EEEvNS_4cuda6detail10TensorInfoIT_T0_EENS4_IKS5_S6_EEllS6_,"axG",@progbits,_ZN2at6native16triu_tril_kernelIhiLb1ELi4ELb0EEEvNS_4cuda6detail10TensorInfoIT_T0_EENS4_IKS5_S6_EEllS6_,comdat
.Lfunc_end53:
	.size	_ZN2at6native16triu_tril_kernelIhiLb1ELi4ELb0EEEvNS_4cuda6detail10TensorInfoIT_T0_EENS4_IKS5_S6_EEllS6_, .Lfunc_end53-_ZN2at6native16triu_tril_kernelIhiLb1ELi4ELb0EEEvNS_4cuda6detail10TensorInfoIT_T0_EENS4_IKS5_S6_EEllS6_
                                        ; -- End function
	.section	.AMDGPU.csdata,"",@progbits
; Kernel info:
; codeLenInByte = 8760
; NumSgprs: 56
; NumVgprs: 25
; ScratchSize: 0
; MemoryBound: 0
; FloatMode: 240
; IeeeMode: 1
; LDSByteSize: 0 bytes/workgroup (compile time only)
; SGPRBlocks: 6
; VGPRBlocks: 3
; NumSGPRsForWavesPerEU: 56
; NumVGPRsForWavesPerEU: 25
; Occupancy: 16
; WaveLimiterHint : 0
; COMPUTE_PGM_RSRC2:SCRATCH_EN: 0
; COMPUTE_PGM_RSRC2:USER_SGPR: 15
; COMPUTE_PGM_RSRC2:TRAP_HANDLER: 0
; COMPUTE_PGM_RSRC2:TGID_X_EN: 1
; COMPUTE_PGM_RSRC2:TGID_Y_EN: 0
; COMPUTE_PGM_RSRC2:TGID_Z_EN: 0
; COMPUTE_PGM_RSRC2:TIDIG_COMP_CNT: 0
	.section	.text._ZN2at6native16triu_tril_kernelIhlLb1ELi4ELb1EEEvNS_4cuda6detail10TensorInfoIT_T0_EENS4_IKS5_S6_EEllS6_,"axG",@progbits,_ZN2at6native16triu_tril_kernelIhlLb1ELi4ELb1EEEvNS_4cuda6detail10TensorInfoIT_T0_EENS4_IKS5_S6_EEllS6_,comdat
	.protected	_ZN2at6native16triu_tril_kernelIhlLb1ELi4ELb1EEEvNS_4cuda6detail10TensorInfoIT_T0_EENS4_IKS5_S6_EEllS6_ ; -- Begin function _ZN2at6native16triu_tril_kernelIhlLb1ELi4ELb1EEEvNS_4cuda6detail10TensorInfoIT_T0_EENS4_IKS5_S6_EEllS6_
	.globl	_ZN2at6native16triu_tril_kernelIhlLb1ELi4ELb1EEEvNS_4cuda6detail10TensorInfoIT_T0_EENS4_IKS5_S6_EEllS6_
	.p2align	8
	.type	_ZN2at6native16triu_tril_kernelIhlLb1ELi4ELb1EEEvNS_4cuda6detail10TensorInfoIT_T0_EENS4_IKS5_S6_EEllS6_,@function
_ZN2at6native16triu_tril_kernelIhlLb1ELi4ELb1EEEvNS_4cuda6detail10TensorInfoIT_T0_EENS4_IKS5_S6_EEllS6_: ; @_ZN2at6native16triu_tril_kernelIhlLb1ELi4ELb1EEEvNS_4cuda6detail10TensorInfoIT_T0_EENS4_IKS5_S6_EEllS6_
; %bb.0:
	s_clause 0x1
	s_load_b32 s2, s[0:1], 0x364
	s_load_b128 s[4:7], s[0:1], 0x340
	v_mov_b32_e32 v2, 0
	s_add_u32 s8, s0, 0x358
	s_addc_u32 s9, s1, 0
	s_delay_alu instid0(VALU_DEP_1) | instskip(SKIP_3) | instid1(VALU_DEP_1)
	v_mov_b32_e32 v1, v2
	s_waitcnt lgkmcnt(0)
	s_and_b32 s10, s2, 0xffff
	s_mov_b32 s2, exec_lo
	v_mad_u64_u32 v[3:4], null, s10, s15, v[0:1]
	s_delay_alu instid0(VALU_DEP_1) | instskip(NEXT) | instid1(VALU_DEP_1)
	v_lshlrev_b64 v[0:1], 2, v[3:4]
	v_cmpx_gt_i64_e64 s[6:7], v[0:1]
	s_cbranch_execz .LBB54_27
; %bb.1:
	s_clause 0x1
	s_load_b32 s24, s[0:1], 0x338
	s_load_b64 s[2:3], s[0:1], 0x350
	s_load_b32 s11, s[8:9], 0x0
	s_load_b64 s[8:9], s[0:1], 0x0
	s_mov_b32 s45, 0
	s_waitcnt lgkmcnt(0)
	s_ashr_i32 s25, s24, 31
	s_add_u32 s20, s0, 0x1a8
	s_addc_u32 s21, s1, 0
	s_lshl_b64 s[12:13], s[24:25], 3
	v_cvt_f32_u32_e32 v3, s2
	s_add_u32 s14, s12, -16
	s_addc_u32 s15, s13, -1
	s_add_u32 s22, s20, s14
	s_addc_u32 s23, s21, s15
	v_rcp_iflag_f32_e32 v3, v3
	s_add_u32 s17, s12, -8
	s_addc_u32 s18, s13, -1
	s_add_u32 s26, s0, 0xd0
	s_addc_u32 s27, s1, 0
	s_mul_i32 s16, s11, s10
	s_add_u32 s10, s26, s17
	s_addc_u32 s11, s27, s18
	s_add_u32 s12, s26, s14
	s_addc_u32 s13, s27, s15
	s_add_i32 s0, s24, -3
	s_waitcnt_depctr 0xfff
	v_mul_f32_e32 v3, 0x4f7ffffe, v3
	s_ashr_i32 s1, s0, 31
	s_add_u32 s14, s20, s17
	s_addc_u32 s15, s21, s18
	s_lshl_b64 s[18:19], s[0:1], 3
	s_lshl_b32 s33, s16, 2
	s_add_u32 s16, s26, s18
	s_addc_u32 s17, s27, s19
	v_cvt_u32_f32_e32 v3, v3
	s_add_u32 s18, s20, s18
	s_addc_u32 s19, s21, s19
	s_add_u32 s20, s0, 1
	s_addc_u32 s21, s1, 0
	s_sub_i32 s0, 0, s2
	s_load_b64 s[22:23], s[22:23], 0x0
	v_mul_lo_u32 v4, s0, v3
	v_cmp_gt_i64_e64 s44, s[24:25], 2
	s_ashr_i32 s24, s3, 31
	s_delay_alu instid0(VALU_DEP_2) | instskip(NEXT) | instid1(VALU_DEP_1)
	v_mul_hi_u32 v4, v3, v4
	v_add_nc_u32_e32 v14, v3, v4
	s_waitcnt lgkmcnt(0)
	s_ashr_i32 s26, s23, 31
	s_branch .LBB54_3
.LBB54_2:                               ;   in Loop: Header=BB54_3 Depth=1
	s_or_b32 exec_lo, exec_lo, s25
	v_add_co_u32 v0, vcc_lo, v0, s33
	v_add_co_ci_u32_e32 v1, vcc_lo, 0, v1, vcc_lo
	s_delay_alu instid0(VALU_DEP_1) | instskip(SKIP_1) | instid1(SALU_CYCLE_1)
	v_cmp_le_i64_e32 vcc_lo, s[6:7], v[0:1]
	s_or_b32 s45, vcc_lo, s45
	s_and_not1_b32 exec_lo, exec_lo, s45
	s_cbranch_execz .LBB54_27
.LBB54_3:                               ; =>This Loop Header: Depth=1
                                        ;     Child Loop BB54_23 Depth 2
	v_or_b32_e32 v3, s3, v1
                                        ; implicit-def: $vgpr8_vgpr9
	s_mov_b32 s0, exec_lo
	s_delay_alu instid0(VALU_DEP_1)
	v_cmpx_ne_u64_e32 0, v[2:3]
	s_xor_b32 s1, exec_lo, s0
	s_cbranch_execz .LBB54_5
; %bb.4:                                ;   in Loop: Header=BB54_3 Depth=1
	s_add_u32 s28, s2, s24
	s_mov_b32 s25, s24
	s_addc_u32 s29, s3, s24
	s_delay_alu instid0(SALU_CYCLE_1) | instskip(NEXT) | instid1(SALU_CYCLE_1)
	s_xor_b64 s[28:29], s[28:29], s[24:25]
	v_cvt_f32_u32_e32 v3, s28
	v_cvt_f32_u32_e32 v4, s29
	s_sub_u32 s0, 0, s28
	s_subb_u32 s25, 0, s29
	s_delay_alu instid0(VALU_DEP_1) | instskip(NEXT) | instid1(VALU_DEP_1)
	v_fmac_f32_e32 v3, 0x4f800000, v4
	v_rcp_f32_e32 v3, v3
	s_waitcnt_depctr 0xfff
	v_mul_f32_e32 v3, 0x5f7ffffc, v3
	s_delay_alu instid0(VALU_DEP_1) | instskip(NEXT) | instid1(VALU_DEP_1)
	v_mul_f32_e32 v4, 0x2f800000, v3
	v_trunc_f32_e32 v4, v4
	s_delay_alu instid0(VALU_DEP_1) | instskip(SKIP_1) | instid1(VALU_DEP_2)
	v_fmac_f32_e32 v3, 0xcf800000, v4
	v_cvt_u32_f32_e32 v4, v4
	v_cvt_u32_f32_e32 v3, v3
	s_delay_alu instid0(VALU_DEP_2) | instskip(NEXT) | instid1(VALU_DEP_2)
	v_mul_lo_u32 v5, s0, v4
	v_mul_hi_u32 v6, s0, v3
	v_mul_lo_u32 v7, s25, v3
	s_delay_alu instid0(VALU_DEP_2) | instskip(SKIP_1) | instid1(VALU_DEP_2)
	v_add_nc_u32_e32 v5, v6, v5
	v_mul_lo_u32 v6, s0, v3
	v_add_nc_u32_e32 v5, v5, v7
	s_delay_alu instid0(VALU_DEP_2) | instskip(NEXT) | instid1(VALU_DEP_2)
	v_mul_hi_u32 v7, v3, v6
	v_mul_lo_u32 v8, v3, v5
	v_mul_hi_u32 v9, v3, v5
	v_mul_hi_u32 v10, v4, v6
	v_mul_lo_u32 v6, v4, v6
	v_mul_hi_u32 v11, v4, v5
	v_mul_lo_u32 v5, v4, v5
	v_add_co_u32 v7, vcc_lo, v7, v8
	v_add_co_ci_u32_e32 v8, vcc_lo, 0, v9, vcc_lo
	s_delay_alu instid0(VALU_DEP_2) | instskip(NEXT) | instid1(VALU_DEP_2)
	v_add_co_u32 v6, vcc_lo, v7, v6
	v_add_co_ci_u32_e32 v6, vcc_lo, v8, v10, vcc_lo
	v_add_co_ci_u32_e32 v7, vcc_lo, 0, v11, vcc_lo
	v_ashrrev_i32_e32 v10, 31, v1
	s_delay_alu instid0(VALU_DEP_3) | instskip(NEXT) | instid1(VALU_DEP_3)
	v_add_co_u32 v5, vcc_lo, v6, v5
	v_add_co_ci_u32_e32 v6, vcc_lo, 0, v7, vcc_lo
	s_delay_alu instid0(VALU_DEP_2) | instskip(NEXT) | instid1(VALU_DEP_2)
	v_add_co_u32 v3, vcc_lo, v3, v5
	v_add_co_ci_u32_e32 v4, vcc_lo, v4, v6, vcc_lo
	s_delay_alu instid0(VALU_DEP_2) | instskip(SKIP_1) | instid1(VALU_DEP_3)
	v_mul_hi_u32 v5, s0, v3
	v_mul_lo_u32 v7, s25, v3
	v_mul_lo_u32 v6, s0, v4
	s_delay_alu instid0(VALU_DEP_1) | instskip(SKIP_1) | instid1(VALU_DEP_2)
	v_add_nc_u32_e32 v5, v5, v6
	v_mul_lo_u32 v6, s0, v3
	v_add_nc_u32_e32 v5, v5, v7
	s_delay_alu instid0(VALU_DEP_2) | instskip(NEXT) | instid1(VALU_DEP_2)
	v_mul_hi_u32 v7, v3, v6
	v_mul_lo_u32 v8, v3, v5
	v_mul_hi_u32 v9, v3, v5
	v_mul_hi_u32 v11, v4, v6
	v_mul_lo_u32 v6, v4, v6
	v_mul_hi_u32 v12, v4, v5
	v_mul_lo_u32 v5, v4, v5
	v_add_co_u32 v7, vcc_lo, v7, v8
	v_add_co_ci_u32_e32 v8, vcc_lo, 0, v9, vcc_lo
	s_delay_alu instid0(VALU_DEP_2) | instskip(NEXT) | instid1(VALU_DEP_2)
	v_add_co_u32 v6, vcc_lo, v7, v6
	v_add_co_ci_u32_e32 v6, vcc_lo, v8, v11, vcc_lo
	v_add_co_ci_u32_e32 v7, vcc_lo, 0, v12, vcc_lo
	v_add_co_u32 v8, vcc_lo, v0, v10
	v_add_co_ci_u32_e32 v9, vcc_lo, v1, v10, vcc_lo
	s_delay_alu instid0(VALU_DEP_4) | instskip(NEXT) | instid1(VALU_DEP_4)
	v_add_co_u32 v5, vcc_lo, v6, v5
	v_add_co_ci_u32_e32 v6, vcc_lo, 0, v7, vcc_lo
	s_delay_alu instid0(VALU_DEP_4) | instskip(NEXT) | instid1(VALU_DEP_3)
	v_xor_b32_e32 v11, v8, v10
	v_add_co_u32 v7, vcc_lo, v3, v5
	s_delay_alu instid0(VALU_DEP_3) | instskip(SKIP_1) | instid1(VALU_DEP_3)
	v_add_co_ci_u32_e32 v12, vcc_lo, v4, v6, vcc_lo
	v_xor_b32_e32 v9, v9, v10
	v_mul_hi_u32 v13, v11, v7
	s_delay_alu instid0(VALU_DEP_3) | instskip(NEXT) | instid1(VALU_DEP_3)
	v_mad_u64_u32 v[3:4], null, v11, v12, 0
	v_mad_u64_u32 v[5:6], null, v9, v7, 0
	;; [unrolled: 1-line block ×3, first 2 shown]
	s_delay_alu instid0(VALU_DEP_3) | instskip(NEXT) | instid1(VALU_DEP_4)
	v_add_co_u32 v3, vcc_lo, v13, v3
	v_add_co_ci_u32_e32 v4, vcc_lo, 0, v4, vcc_lo
	s_delay_alu instid0(VALU_DEP_2) | instskip(NEXT) | instid1(VALU_DEP_2)
	v_add_co_u32 v3, vcc_lo, v3, v5
	v_add_co_ci_u32_e32 v3, vcc_lo, v4, v6, vcc_lo
	v_add_co_ci_u32_e32 v4, vcc_lo, 0, v8, vcc_lo
	s_delay_alu instid0(VALU_DEP_2) | instskip(NEXT) | instid1(VALU_DEP_2)
	v_add_co_u32 v5, vcc_lo, v3, v7
	v_add_co_ci_u32_e32 v6, vcc_lo, 0, v4, vcc_lo
	s_delay_alu instid0(VALU_DEP_2) | instskip(SKIP_1) | instid1(VALU_DEP_3)
	v_mul_lo_u32 v7, s29, v5
	v_mad_u64_u32 v[3:4], null, s28, v5, 0
	v_mul_lo_u32 v8, s28, v6
	s_delay_alu instid0(VALU_DEP_2) | instskip(NEXT) | instid1(VALU_DEP_2)
	v_sub_co_u32 v3, vcc_lo, v11, v3
	v_add3_u32 v4, v4, v8, v7
	s_delay_alu instid0(VALU_DEP_1) | instskip(NEXT) | instid1(VALU_DEP_1)
	v_sub_nc_u32_e32 v7, v9, v4
	v_subrev_co_ci_u32_e64 v7, s0, s29, v7, vcc_lo
	v_add_co_u32 v8, s0, v5, 2
	s_delay_alu instid0(VALU_DEP_1) | instskip(SKIP_3) | instid1(VALU_DEP_3)
	v_add_co_ci_u32_e64 v11, s0, 0, v6, s0
	v_sub_co_u32 v12, s0, v3, s28
	v_sub_co_ci_u32_e32 v4, vcc_lo, v9, v4, vcc_lo
	v_subrev_co_ci_u32_e64 v7, s0, 0, v7, s0
	v_cmp_le_u32_e32 vcc_lo, s28, v12
	s_delay_alu instid0(VALU_DEP_3) | instskip(SKIP_1) | instid1(VALU_DEP_4)
	v_cmp_eq_u32_e64 s0, s29, v4
	v_cndmask_b32_e64 v9, 0, -1, vcc_lo
	v_cmp_le_u32_e32 vcc_lo, s29, v7
	v_cndmask_b32_e64 v12, 0, -1, vcc_lo
	v_cmp_le_u32_e32 vcc_lo, s28, v3
	;; [unrolled: 2-line block ×3, first 2 shown]
	v_cndmask_b32_e64 v13, 0, -1, vcc_lo
	v_cmp_eq_u32_e32 vcc_lo, s29, v7
	s_delay_alu instid0(VALU_DEP_2) | instskip(SKIP_3) | instid1(VALU_DEP_3)
	v_cndmask_b32_e64 v3, v13, v3, s0
	v_cndmask_b32_e32 v7, v12, v9, vcc_lo
	v_add_co_u32 v9, vcc_lo, v5, 1
	v_add_co_ci_u32_e32 v12, vcc_lo, 0, v6, vcc_lo
	v_cmp_ne_u32_e32 vcc_lo, 0, v7
	s_delay_alu instid0(VALU_DEP_2) | instskip(SKIP_2) | instid1(VALU_DEP_3)
	v_dual_cndmask_b32 v4, v12, v11 :: v_dual_cndmask_b32 v7, v9, v8
	v_cmp_ne_u32_e32 vcc_lo, 0, v3
	v_xor_b32_e32 v3, s24, v10
	v_dual_cndmask_b32 v5, v5, v7 :: v_dual_cndmask_b32 v4, v6, v4
	s_delay_alu instid0(VALU_DEP_1) | instskip(NEXT) | instid1(VALU_DEP_2)
	v_xor_b32_e32 v5, v5, v3
	v_xor_b32_e32 v4, v4, v3
	s_delay_alu instid0(VALU_DEP_2) | instskip(NEXT) | instid1(VALU_DEP_2)
	v_sub_co_u32 v8, vcc_lo, v5, v3
	v_sub_co_ci_u32_e32 v9, vcc_lo, v4, v3, vcc_lo
.LBB54_5:                               ;   in Loop: Header=BB54_3 Depth=1
	s_and_not1_saveexec_b32 s0, s1
; %bb.6:                                ;   in Loop: Header=BB54_3 Depth=1
	v_mul_hi_u32 v3, v0, v14
	v_mov_b32_e32 v9, v2
	s_delay_alu instid0(VALU_DEP_2) | instskip(NEXT) | instid1(VALU_DEP_1)
	v_mul_lo_u32 v4, v3, s2
	v_sub_nc_u32_e32 v4, v0, v4
	s_delay_alu instid0(VALU_DEP_1) | instskip(SKIP_1) | instid1(VALU_DEP_2)
	v_subrev_nc_u32_e32 v6, s2, v4
	v_cmp_le_u32_e32 vcc_lo, s2, v4
	v_dual_cndmask_b32 v4, v4, v6 :: v_dual_add_nc_u32 v5, 1, v3
	s_delay_alu instid0(VALU_DEP_1) | instskip(NEXT) | instid1(VALU_DEP_2)
	v_cndmask_b32_e32 v3, v3, v5, vcc_lo
	v_cmp_le_u32_e32 vcc_lo, s2, v4
	s_delay_alu instid0(VALU_DEP_2) | instskip(NEXT) | instid1(VALU_DEP_1)
	v_add_nc_u32_e32 v5, 1, v3
	v_cndmask_b32_e32 v8, v3, v5, vcc_lo
; %bb.7:                                ;   in Loop: Header=BB54_3 Depth=1
	s_or_b32 exec_lo, exec_lo, s0
	v_or_b32_e32 v3, s23, v9
                                        ; implicit-def: $vgpr6_vgpr7
	s_mov_b32 s0, exec_lo
	s_delay_alu instid0(VALU_DEP_1)
	v_cmpx_ne_u64_e32 0, v[2:3]
	s_xor_b32 s1, exec_lo, s0
	s_cbranch_execz .LBB54_9
; %bb.8:                                ;   in Loop: Header=BB54_3 Depth=1
	s_add_u32 s28, s22, s26
	s_mov_b32 s27, s26
	s_addc_u32 s29, s23, s26
	s_delay_alu instid0(SALU_CYCLE_1) | instskip(NEXT) | instid1(SALU_CYCLE_1)
	s_xor_b64 s[28:29], s[28:29], s[26:27]
	v_cvt_f32_u32_e32 v3, s28
	v_cvt_f32_u32_e32 v4, s29
	s_sub_u32 s0, 0, s28
	s_subb_u32 s25, 0, s29
	s_delay_alu instid0(VALU_DEP_1) | instskip(NEXT) | instid1(VALU_DEP_1)
	v_fmac_f32_e32 v3, 0x4f800000, v4
	v_rcp_f32_e32 v3, v3
	s_waitcnt_depctr 0xfff
	v_mul_f32_e32 v3, 0x5f7ffffc, v3
	s_delay_alu instid0(VALU_DEP_1) | instskip(NEXT) | instid1(VALU_DEP_1)
	v_mul_f32_e32 v4, 0x2f800000, v3
	v_trunc_f32_e32 v4, v4
	s_delay_alu instid0(VALU_DEP_1) | instskip(SKIP_1) | instid1(VALU_DEP_2)
	v_fmac_f32_e32 v3, 0xcf800000, v4
	v_cvt_u32_f32_e32 v4, v4
	v_cvt_u32_f32_e32 v3, v3
	s_delay_alu instid0(VALU_DEP_2) | instskip(NEXT) | instid1(VALU_DEP_2)
	v_mul_lo_u32 v5, s0, v4
	v_mul_hi_u32 v6, s0, v3
	v_mul_lo_u32 v7, s25, v3
	s_delay_alu instid0(VALU_DEP_2) | instskip(SKIP_1) | instid1(VALU_DEP_2)
	v_add_nc_u32_e32 v5, v6, v5
	v_mul_lo_u32 v6, s0, v3
	v_add_nc_u32_e32 v5, v5, v7
	s_delay_alu instid0(VALU_DEP_2) | instskip(NEXT) | instid1(VALU_DEP_2)
	v_mul_hi_u32 v7, v3, v6
	v_mul_lo_u32 v10, v3, v5
	v_mul_hi_u32 v11, v3, v5
	v_mul_hi_u32 v12, v4, v6
	v_mul_lo_u32 v6, v4, v6
	v_mul_hi_u32 v13, v4, v5
	v_mul_lo_u32 v5, v4, v5
	v_add_co_u32 v7, vcc_lo, v7, v10
	v_add_co_ci_u32_e32 v10, vcc_lo, 0, v11, vcc_lo
	s_delay_alu instid0(VALU_DEP_2) | instskip(NEXT) | instid1(VALU_DEP_2)
	v_add_co_u32 v6, vcc_lo, v7, v6
	v_add_co_ci_u32_e32 v6, vcc_lo, v10, v12, vcc_lo
	v_add_co_ci_u32_e32 v7, vcc_lo, 0, v13, vcc_lo
	v_ashrrev_i32_e32 v12, 31, v9
	s_delay_alu instid0(VALU_DEP_3) | instskip(NEXT) | instid1(VALU_DEP_3)
	v_add_co_u32 v5, vcc_lo, v6, v5
	v_add_co_ci_u32_e32 v6, vcc_lo, 0, v7, vcc_lo
	s_delay_alu instid0(VALU_DEP_2) | instskip(NEXT) | instid1(VALU_DEP_2)
	v_add_co_u32 v3, vcc_lo, v3, v5
	v_add_co_ci_u32_e32 v4, vcc_lo, v4, v6, vcc_lo
	s_delay_alu instid0(VALU_DEP_2) | instskip(SKIP_1) | instid1(VALU_DEP_3)
	v_mul_hi_u32 v5, s0, v3
	v_mul_lo_u32 v7, s25, v3
	v_mul_lo_u32 v6, s0, v4
	s_delay_alu instid0(VALU_DEP_1) | instskip(SKIP_1) | instid1(VALU_DEP_2)
	v_add_nc_u32_e32 v5, v5, v6
	v_mul_lo_u32 v6, s0, v3
	v_add_nc_u32_e32 v5, v5, v7
	s_delay_alu instid0(VALU_DEP_2) | instskip(NEXT) | instid1(VALU_DEP_2)
	v_mul_hi_u32 v7, v3, v6
	v_mul_lo_u32 v10, v3, v5
	v_mul_hi_u32 v11, v3, v5
	v_mul_hi_u32 v13, v4, v6
	v_mul_lo_u32 v6, v4, v6
	v_mul_hi_u32 v15, v4, v5
	v_mul_lo_u32 v5, v4, v5
	v_add_co_u32 v7, vcc_lo, v7, v10
	v_add_co_ci_u32_e32 v10, vcc_lo, 0, v11, vcc_lo
	s_delay_alu instid0(VALU_DEP_2) | instskip(NEXT) | instid1(VALU_DEP_2)
	v_add_co_u32 v6, vcc_lo, v7, v6
	v_add_co_ci_u32_e32 v6, vcc_lo, v10, v13, vcc_lo
	v_add_co_ci_u32_e32 v7, vcc_lo, 0, v15, vcc_lo
	v_add_co_u32 v10, vcc_lo, v8, v12
	v_add_co_ci_u32_e32 v11, vcc_lo, v9, v12, vcc_lo
	s_delay_alu instid0(VALU_DEP_4) | instskip(NEXT) | instid1(VALU_DEP_4)
	v_add_co_u32 v5, vcc_lo, v6, v5
	v_add_co_ci_u32_e32 v6, vcc_lo, 0, v7, vcc_lo
	s_delay_alu instid0(VALU_DEP_4) | instskip(NEXT) | instid1(VALU_DEP_3)
	v_xor_b32_e32 v7, v10, v12
	v_add_co_u32 v10, vcc_lo, v3, v5
	s_delay_alu instid0(VALU_DEP_3) | instskip(SKIP_1) | instid1(VALU_DEP_3)
	v_add_co_ci_u32_e32 v13, vcc_lo, v4, v6, vcc_lo
	v_xor_b32_e32 v15, v11, v12
	v_mul_hi_u32 v16, v7, v10
	s_delay_alu instid0(VALU_DEP_3) | instskip(NEXT) | instid1(VALU_DEP_3)
	v_mad_u64_u32 v[3:4], null, v7, v13, 0
	v_mad_u64_u32 v[5:6], null, v15, v10, 0
	;; [unrolled: 1-line block ×3, first 2 shown]
	s_delay_alu instid0(VALU_DEP_3) | instskip(NEXT) | instid1(VALU_DEP_4)
	v_add_co_u32 v3, vcc_lo, v16, v3
	v_add_co_ci_u32_e32 v4, vcc_lo, 0, v4, vcc_lo
	s_delay_alu instid0(VALU_DEP_2) | instskip(NEXT) | instid1(VALU_DEP_2)
	v_add_co_u32 v3, vcc_lo, v3, v5
	v_add_co_ci_u32_e32 v3, vcc_lo, v4, v6, vcc_lo
	v_add_co_ci_u32_e32 v4, vcc_lo, 0, v11, vcc_lo
	s_delay_alu instid0(VALU_DEP_2) | instskip(NEXT) | instid1(VALU_DEP_2)
	v_add_co_u32 v5, vcc_lo, v3, v10
	v_add_co_ci_u32_e32 v6, vcc_lo, 0, v4, vcc_lo
	s_delay_alu instid0(VALU_DEP_2) | instskip(SKIP_1) | instid1(VALU_DEP_3)
	v_mul_lo_u32 v10, s29, v5
	v_mad_u64_u32 v[3:4], null, s28, v5, 0
	v_mul_lo_u32 v11, s28, v6
	s_delay_alu instid0(VALU_DEP_2) | instskip(NEXT) | instid1(VALU_DEP_2)
	v_sub_co_u32 v3, vcc_lo, v7, v3
	v_add3_u32 v4, v4, v11, v10
	s_delay_alu instid0(VALU_DEP_1) | instskip(NEXT) | instid1(VALU_DEP_1)
	v_sub_nc_u32_e32 v10, v15, v4
	v_subrev_co_ci_u32_e64 v7, s0, s29, v10, vcc_lo
	v_add_co_u32 v10, s0, v5, 2
	s_delay_alu instid0(VALU_DEP_1) | instskip(SKIP_3) | instid1(VALU_DEP_3)
	v_add_co_ci_u32_e64 v11, s0, 0, v6, s0
	v_sub_co_u32 v13, s0, v3, s28
	v_sub_co_ci_u32_e32 v4, vcc_lo, v15, v4, vcc_lo
	v_subrev_co_ci_u32_e64 v7, s0, 0, v7, s0
	v_cmp_le_u32_e32 vcc_lo, s28, v13
	s_delay_alu instid0(VALU_DEP_3) | instskip(SKIP_1) | instid1(VALU_DEP_4)
	v_cmp_eq_u32_e64 s0, s29, v4
	v_cndmask_b32_e64 v13, 0, -1, vcc_lo
	v_cmp_le_u32_e32 vcc_lo, s29, v7
	v_cndmask_b32_e64 v15, 0, -1, vcc_lo
	v_cmp_le_u32_e32 vcc_lo, s28, v3
	;; [unrolled: 2-line block ×3, first 2 shown]
	v_cndmask_b32_e64 v16, 0, -1, vcc_lo
	v_cmp_eq_u32_e32 vcc_lo, s29, v7
	s_delay_alu instid0(VALU_DEP_2) | instskip(SKIP_3) | instid1(VALU_DEP_3)
	v_cndmask_b32_e64 v3, v16, v3, s0
	v_cndmask_b32_e32 v7, v15, v13, vcc_lo
	v_add_co_u32 v13, vcc_lo, v5, 1
	v_add_co_ci_u32_e32 v15, vcc_lo, 0, v6, vcc_lo
	v_cmp_ne_u32_e32 vcc_lo, 0, v7
	s_delay_alu instid0(VALU_DEP_2) | instskip(SKIP_2) | instid1(VALU_DEP_3)
	v_dual_cndmask_b32 v4, v15, v11 :: v_dual_cndmask_b32 v7, v13, v10
	v_cmp_ne_u32_e32 vcc_lo, 0, v3
	v_xor_b32_e32 v3, s26, v12
	v_dual_cndmask_b32 v5, v5, v7 :: v_dual_cndmask_b32 v4, v6, v4
	s_delay_alu instid0(VALU_DEP_1) | instskip(NEXT) | instid1(VALU_DEP_2)
	v_xor_b32_e32 v5, v5, v3
	v_xor_b32_e32 v4, v4, v3
	s_delay_alu instid0(VALU_DEP_2) | instskip(NEXT) | instid1(VALU_DEP_2)
	v_sub_co_u32 v6, vcc_lo, v5, v3
	v_sub_co_ci_u32_e32 v7, vcc_lo, v4, v3, vcc_lo
.LBB54_9:                               ;   in Loop: Header=BB54_3 Depth=1
	s_and_not1_saveexec_b32 s0, s1
	s_cbranch_execz .LBB54_11
; %bb.10:                               ;   in Loop: Header=BB54_3 Depth=1
	v_cvt_f32_u32_e32 v3, s22
	s_sub_i32 s1, 0, s22
	v_mov_b32_e32 v7, v2
	s_delay_alu instid0(VALU_DEP_2) | instskip(SKIP_2) | instid1(VALU_DEP_1)
	v_rcp_iflag_f32_e32 v3, v3
	s_waitcnt_depctr 0xfff
	v_mul_f32_e32 v3, 0x4f7ffffe, v3
	v_cvt_u32_f32_e32 v3, v3
	s_delay_alu instid0(VALU_DEP_1) | instskip(NEXT) | instid1(VALU_DEP_1)
	v_mul_lo_u32 v4, s1, v3
	v_mul_hi_u32 v4, v3, v4
	s_delay_alu instid0(VALU_DEP_1) | instskip(NEXT) | instid1(VALU_DEP_1)
	v_add_nc_u32_e32 v3, v3, v4
	v_mul_hi_u32 v3, v8, v3
	s_delay_alu instid0(VALU_DEP_1) | instskip(SKIP_1) | instid1(VALU_DEP_2)
	v_mul_lo_u32 v4, v3, s22
	v_add_nc_u32_e32 v5, 1, v3
	v_sub_nc_u32_e32 v4, v8, v4
	s_delay_alu instid0(VALU_DEP_1) | instskip(SKIP_1) | instid1(VALU_DEP_2)
	v_subrev_nc_u32_e32 v6, s22, v4
	v_cmp_le_u32_e32 vcc_lo, s22, v4
	v_dual_cndmask_b32 v4, v4, v6 :: v_dual_cndmask_b32 v3, v3, v5
	s_delay_alu instid0(VALU_DEP_1) | instskip(NEXT) | instid1(VALU_DEP_2)
	v_cmp_le_u32_e32 vcc_lo, s22, v4
	v_add_nc_u32_e32 v5, 1, v3
	s_delay_alu instid0(VALU_DEP_1)
	v_cndmask_b32_e32 v6, v3, v5, vcc_lo
.LBB54_11:                              ;   in Loop: Header=BB54_3 Depth=1
	s_or_b32 exec_lo, exec_lo, s0
	v_mul_lo_u32 v5, v9, s2
	v_mul_lo_u32 v12, v8, s3
	v_mad_u64_u32 v[3:4], null, v8, s2, 0
	v_mul_lo_u32 v13, v7, s22
	v_mul_lo_u32 v15, v6, s23
	v_mad_u64_u32 v[10:11], null, v6, s22, 0
	s_mov_b32 s25, exec_lo
	s_delay_alu instid0(VALU_DEP_4) | instskip(SKIP_1) | instid1(VALU_DEP_3)
	v_add3_u32 v5, v4, v12, v5
	v_sub_co_u32 v4, vcc_lo, v0, v3
	v_add3_u32 v11, v11, v15, v13
	s_delay_alu instid0(VALU_DEP_3) | instskip(SKIP_1) | instid1(VALU_DEP_3)
	v_sub_co_ci_u32_e32 v5, vcc_lo, v1, v5, vcc_lo
	v_sub_co_u32 v15, vcc_lo, v8, v10
	v_sub_co_ci_u32_e32 v16, vcc_lo, v9, v11, vcc_lo
	s_delay_alu instid0(VALU_DEP_2) | instskip(NEXT) | instid1(VALU_DEP_2)
	v_sub_co_u32 v8, vcc_lo, v4, v15
	v_sub_co_ci_u32_e32 v9, vcc_lo, v5, v16, vcc_lo
	s_delay_alu instid0(VALU_DEP_1)
	v_cmpx_gt_i64_e64 s[4:5], v[8:9]
	s_cbranch_execz .LBB54_2
; %bb.12:                               ;   in Loop: Header=BB54_3 Depth=1
	s_clause 0x1
	s_load_b64 s[28:29], s[10:11], 0x0
	s_load_b64 s[0:1], s[12:13], 0x0
	s_and_b32 vcc_lo, exec_lo, s44
	s_mov_b64 s[30:31], s[20:21]
	s_mov_b64 s[34:35], s[18:19]
	;; [unrolled: 1-line block ×3, first 2 shown]
	s_waitcnt lgkmcnt(0)
	v_mul_lo_u32 v3, s29, v4
	v_mul_lo_u32 v10, s28, v5
	v_mad_u64_u32 v[8:9], null, s28, v4, 0
	s_delay_alu instid0(VALU_DEP_1) | instskip(SKIP_1) | instid1(VALU_DEP_2)
	v_add3_u32 v9, v9, v10, v3
	v_mul_lo_u32 v3, s0, v16
	v_mad_u64_u32 v[12:13], null, s0, v15, v[8:9]
	v_mul_lo_u32 v8, s1, v15
	s_delay_alu instid0(VALU_DEP_1) | instskip(NEXT) | instid1(VALU_DEP_1)
	v_add3_u32 v13, v8, v13, v3
	v_dual_mov_b32 v8, v12 :: v_dual_mov_b32 v9, v13
	s_cbranch_vccnz .LBB54_23
.LBB54_13:                              ;   in Loop: Header=BB54_3 Depth=1
	s_load_b64 s[0:1], s[14:15], 0x0
	s_waitcnt lgkmcnt(0)
	v_cmp_gt_i64_e32 vcc_lo, s[0:1], v[4:5]
	s_and_b32 exec_lo, exec_lo, vcc_lo
	s_cbranch_execz .LBB54_2
; %bb.14:                               ;   in Loop: Header=BB54_3 Depth=1
	v_add_co_u32 v8, vcc_lo, v4, 1
	v_add_co_ci_u32_e32 v9, vcc_lo, 0, v5, vcc_lo
	v_add_co_u32 v6, vcc_lo, s8, v12
	v_add_co_ci_u32_e32 v7, vcc_lo, s9, v13, vcc_lo
	s_delay_alu instid0(VALU_DEP_3)
	v_cmp_gt_i64_e32 vcc_lo, s[0:1], v[8:9]
	global_store_b8 v[6:7], v2, off
	s_and_b32 exec_lo, exec_lo, vcc_lo
	s_cbranch_execz .LBB54_2
; %bb.15:                               ;   in Loop: Header=BB54_3 Depth=1
	v_sub_co_u32 v8, vcc_lo, v8, v15
	v_sub_co_ci_u32_e32 v9, vcc_lo, v9, v16, vcc_lo
	s_mov_b32 s27, exec_lo
	s_delay_alu instid0(VALU_DEP_1)
	v_cmpx_gt_i64_e64 s[4:5], v[8:9]
	s_cbranch_execz .LBB54_17
; %bb.16:                               ;   in Loop: Header=BB54_3 Depth=1
	v_add_co_u32 v8, vcc_lo, v6, s28
	v_add_co_ci_u32_e32 v9, vcc_lo, s29, v7, vcc_lo
	global_store_b8 v[8:9], v2, off
.LBB54_17:                              ;   in Loop: Header=BB54_3 Depth=1
	s_or_b32 exec_lo, exec_lo, s27
	v_add_co_u32 v8, vcc_lo, v4, 2
	v_add_co_ci_u32_e32 v9, vcc_lo, 0, v5, vcc_lo
	s_delay_alu instid0(VALU_DEP_1)
	v_cmp_gt_i64_e32 vcc_lo, s[0:1], v[8:9]
	s_and_b32 exec_lo, exec_lo, vcc_lo
	s_cbranch_execz .LBB54_2
; %bb.18:                               ;   in Loop: Header=BB54_3 Depth=1
	v_sub_co_u32 v8, vcc_lo, v8, v15
	v_sub_co_ci_u32_e32 v9, vcc_lo, v9, v16, vcc_lo
	s_mov_b32 s27, exec_lo
	s_delay_alu instid0(VALU_DEP_1)
	v_cmpx_gt_i64_e64 s[4:5], v[8:9]
	s_cbranch_execz .LBB54_20
; %bb.19:                               ;   in Loop: Header=BB54_3 Depth=1
	s_lshl_b64 s[30:31], s[28:29], 1
	s_delay_alu instid0(SALU_CYCLE_1)
	v_add_co_u32 v8, vcc_lo, v6, s30
	v_add_co_ci_u32_e32 v9, vcc_lo, s31, v7, vcc_lo
	global_store_b8 v[8:9], v2, off
.LBB54_20:                              ;   in Loop: Header=BB54_3 Depth=1
	s_or_b32 exec_lo, exec_lo, s27
	v_add_co_u32 v3, vcc_lo, v4, 3
	v_add_co_ci_u32_e32 v4, vcc_lo, 0, v5, vcc_lo
	s_delay_alu instid0(VALU_DEP_2) | instskip(NEXT) | instid1(VALU_DEP_2)
	v_sub_co_u32 v8, vcc_lo, v3, v15
	v_sub_co_ci_u32_e32 v9, vcc_lo, v4, v16, vcc_lo
	v_cmp_gt_i64_e32 vcc_lo, s[0:1], v[3:4]
	s_delay_alu instid0(VALU_DEP_2) | instskip(NEXT) | instid1(VALU_DEP_1)
	v_cmp_gt_i64_e64 s0, s[4:5], v[8:9]
	s_and_b32 s0, vcc_lo, s0
	s_delay_alu instid0(SALU_CYCLE_1)
	s_and_b32 exec_lo, exec_lo, s0
	s_cbranch_execz .LBB54_2
; %bb.21:                               ;   in Loop: Header=BB54_3 Depth=1
	v_mad_u64_u32 v[3:4], null, s28, 3, v[6:7]
	s_delay_alu instid0(VALU_DEP_1) | instskip(NEXT) | instid1(VALU_DEP_1)
	v_mad_u64_u32 v[5:6], null, s29, 3, v[4:5]
	v_mov_b32_e32 v4, v5
	global_store_b8 v[3:4], v2, off
	s_branch .LBB54_2
.LBB54_22:                              ;   in Loop: Header=BB54_23 Depth=2
	s_or_b32 exec_lo, exec_lo, s0
	s_load_b64 s[0:1], s[36:37], 0x0
	s_delay_alu instid0(VALU_DEP_1)
	v_mul_lo_u32 v3, v11, s38
	v_mul_lo_u32 v17, v10, s39
	v_mad_u64_u32 v[12:13], null, v10, s38, 0
	s_add_u32 s36, s36, -8
	s_addc_u32 s37, s37, -1
	s_add_u32 s34, s34, -8
	s_addc_u32 s35, s35, -1
	;; [unrolled: 2-line block ×3, first 2 shown]
	s_delay_alu instid0(VALU_DEP_1) | instskip(SKIP_1) | instid1(VALU_DEP_2)
	v_add3_u32 v3, v13, v17, v3
	v_sub_co_u32 v6, vcc_lo, v6, v12
	v_sub_co_ci_u32_e32 v3, vcc_lo, v7, v3, vcc_lo
	s_waitcnt lgkmcnt(0)
	s_delay_alu instid0(VALU_DEP_2) | instskip(NEXT) | instid1(VALU_DEP_2)
	v_mul_lo_u32 v7, s1, v6
	v_mul_lo_u32 v3, s0, v3
	v_mad_u64_u32 v[12:13], null, s0, v6, v[8:9]
	v_cmp_lt_i64_e64 s0, s[30:31], 1
	s_delay_alu instid0(VALU_DEP_1) | instskip(NEXT) | instid1(VALU_DEP_2)
	s_and_b32 vcc_lo, exec_lo, s0
	v_add3_u32 v13, v7, v13, v3
	s_delay_alu instid0(VALU_DEP_3) | instskip(SKIP_1) | instid1(VALU_DEP_3)
	v_mov_b32_e32 v8, v12
	v_dual_mov_b32 v6, v10 :: v_dual_mov_b32 v7, v11
	v_mov_b32_e32 v9, v13
	s_cbranch_vccnz .LBB54_13
.LBB54_23:                              ;   Parent Loop BB54_3 Depth=1
                                        ; =>  This Inner Loop Header: Depth=2
	s_load_b64 s[38:39], s[34:35], 0x0
                                        ; implicit-def: $vgpr10_vgpr11
	s_mov_b32 s0, exec_lo
	s_waitcnt lgkmcnt(0)
	v_or_b32_e32 v3, s39, v7
	s_delay_alu instid0(VALU_DEP_1)
	v_cmpx_ne_u64_e32 0, v[2:3]
	s_xor_b32 s1, exec_lo, s0
	s_cbranch_execz .LBB54_25
; %bb.24:                               ;   in Loop: Header=BB54_23 Depth=2
	s_ashr_i32 s40, s39, 31
	s_delay_alu instid0(SALU_CYCLE_1) | instskip(SKIP_2) | instid1(SALU_CYCLE_1)
	s_add_u32 s42, s38, s40
	s_mov_b32 s41, s40
	s_addc_u32 s43, s39, s40
	s_xor_b64 s[42:43], s[42:43], s[40:41]
	s_delay_alu instid0(SALU_CYCLE_1) | instskip(SKIP_3) | instid1(VALU_DEP_1)
	v_cvt_f32_u32_e32 v3, s42
	v_cvt_f32_u32_e32 v10, s43
	s_sub_u32 s0, 0, s42
	s_subb_u32 s27, 0, s43
	v_fmac_f32_e32 v3, 0x4f800000, v10
	s_delay_alu instid0(VALU_DEP_1) | instskip(SKIP_2) | instid1(VALU_DEP_1)
	v_rcp_f32_e32 v3, v3
	s_waitcnt_depctr 0xfff
	v_mul_f32_e32 v3, 0x5f7ffffc, v3
	v_mul_f32_e32 v10, 0x2f800000, v3
	s_delay_alu instid0(VALU_DEP_1) | instskip(NEXT) | instid1(VALU_DEP_1)
	v_trunc_f32_e32 v10, v10
	v_fmac_f32_e32 v3, 0xcf800000, v10
	v_cvt_u32_f32_e32 v10, v10
	s_delay_alu instid0(VALU_DEP_2) | instskip(NEXT) | instid1(VALU_DEP_2)
	v_cvt_u32_f32_e32 v3, v3
	v_mul_lo_u32 v11, s0, v10
	s_delay_alu instid0(VALU_DEP_2) | instskip(SKIP_1) | instid1(VALU_DEP_2)
	v_mul_hi_u32 v12, s0, v3
	v_mul_lo_u32 v13, s27, v3
	v_add_nc_u32_e32 v11, v12, v11
	v_mul_lo_u32 v12, s0, v3
	s_delay_alu instid0(VALU_DEP_2) | instskip(NEXT) | instid1(VALU_DEP_2)
	v_add_nc_u32_e32 v11, v11, v13
	v_mul_hi_u32 v13, v3, v12
	s_delay_alu instid0(VALU_DEP_2)
	v_mul_lo_u32 v17, v3, v11
	v_mul_hi_u32 v18, v3, v11
	v_mul_hi_u32 v19, v10, v12
	v_mul_lo_u32 v12, v10, v12
	v_mul_hi_u32 v20, v10, v11
	v_mul_lo_u32 v11, v10, v11
	v_add_co_u32 v13, vcc_lo, v13, v17
	v_add_co_ci_u32_e32 v17, vcc_lo, 0, v18, vcc_lo
	s_delay_alu instid0(VALU_DEP_2) | instskip(NEXT) | instid1(VALU_DEP_2)
	v_add_co_u32 v12, vcc_lo, v13, v12
	v_add_co_ci_u32_e32 v12, vcc_lo, v17, v19, vcc_lo
	v_add_co_ci_u32_e32 v13, vcc_lo, 0, v20, vcc_lo
	v_ashrrev_i32_e32 v19, 31, v7
	s_delay_alu instid0(VALU_DEP_3) | instskip(NEXT) | instid1(VALU_DEP_3)
	v_add_co_u32 v11, vcc_lo, v12, v11
	v_add_co_ci_u32_e32 v12, vcc_lo, 0, v13, vcc_lo
	s_delay_alu instid0(VALU_DEP_2) | instskip(NEXT) | instid1(VALU_DEP_2)
	v_add_co_u32 v3, vcc_lo, v3, v11
	v_add_co_ci_u32_e32 v10, vcc_lo, v10, v12, vcc_lo
	s_delay_alu instid0(VALU_DEP_2) | instskip(SKIP_1) | instid1(VALU_DEP_3)
	v_mul_hi_u32 v11, s0, v3
	v_mul_lo_u32 v13, s27, v3
	v_mul_lo_u32 v12, s0, v10
	s_delay_alu instid0(VALU_DEP_1) | instskip(SKIP_1) | instid1(VALU_DEP_2)
	v_add_nc_u32_e32 v11, v11, v12
	v_mul_lo_u32 v12, s0, v3
	v_add_nc_u32_e32 v11, v11, v13
	s_delay_alu instid0(VALU_DEP_2) | instskip(NEXT) | instid1(VALU_DEP_2)
	v_mul_hi_u32 v13, v3, v12
	v_mul_lo_u32 v17, v3, v11
	v_mul_hi_u32 v18, v3, v11
	v_mul_hi_u32 v20, v10, v12
	v_mul_lo_u32 v12, v10, v12
	v_mul_hi_u32 v21, v10, v11
	v_mul_lo_u32 v11, v10, v11
	v_add_co_u32 v13, vcc_lo, v13, v17
	v_add_co_ci_u32_e32 v17, vcc_lo, 0, v18, vcc_lo
	s_delay_alu instid0(VALU_DEP_2) | instskip(NEXT) | instid1(VALU_DEP_2)
	v_add_co_u32 v12, vcc_lo, v13, v12
	v_add_co_ci_u32_e32 v12, vcc_lo, v17, v20, vcc_lo
	v_add_co_ci_u32_e32 v13, vcc_lo, 0, v21, vcc_lo
	v_add_co_u32 v17, vcc_lo, v6, v19
	v_add_co_ci_u32_e32 v18, vcc_lo, v7, v19, vcc_lo
	s_delay_alu instid0(VALU_DEP_4) | instskip(NEXT) | instid1(VALU_DEP_4)
	v_add_co_u32 v11, vcc_lo, v12, v11
	v_add_co_ci_u32_e32 v12, vcc_lo, 0, v13, vcc_lo
	s_delay_alu instid0(VALU_DEP_4) | instskip(NEXT) | instid1(VALU_DEP_3)
	v_xor_b32_e32 v20, v17, v19
	v_add_co_u32 v3, vcc_lo, v3, v11
	s_delay_alu instid0(VALU_DEP_3) | instskip(SKIP_1) | instid1(VALU_DEP_3)
	v_add_co_ci_u32_e32 v21, vcc_lo, v10, v12, vcc_lo
	v_xor_b32_e32 v22, v18, v19
	v_mul_hi_u32 v23, v20, v3
	s_delay_alu instid0(VALU_DEP_3) | instskip(NEXT) | instid1(VALU_DEP_3)
	v_mad_u64_u32 v[10:11], null, v20, v21, 0
	v_mad_u64_u32 v[12:13], null, v22, v3, 0
	;; [unrolled: 1-line block ×3, first 2 shown]
	s_delay_alu instid0(VALU_DEP_3) | instskip(NEXT) | instid1(VALU_DEP_4)
	v_add_co_u32 v3, vcc_lo, v23, v10
	v_add_co_ci_u32_e32 v10, vcc_lo, 0, v11, vcc_lo
	s_delay_alu instid0(VALU_DEP_2) | instskip(NEXT) | instid1(VALU_DEP_2)
	v_add_co_u32 v3, vcc_lo, v3, v12
	v_add_co_ci_u32_e32 v3, vcc_lo, v10, v13, vcc_lo
	v_add_co_ci_u32_e32 v10, vcc_lo, 0, v18, vcc_lo
	s_delay_alu instid0(VALU_DEP_2) | instskip(NEXT) | instid1(VALU_DEP_2)
	v_add_co_u32 v3, vcc_lo, v3, v17
	v_add_co_ci_u32_e32 v12, vcc_lo, 0, v10, vcc_lo
	s_delay_alu instid0(VALU_DEP_2) | instskip(SKIP_1) | instid1(VALU_DEP_3)
	v_mul_lo_u32 v13, s43, v3
	v_mad_u64_u32 v[10:11], null, s42, v3, 0
	v_mul_lo_u32 v17, s42, v12
	s_delay_alu instid0(VALU_DEP_2) | instskip(NEXT) | instid1(VALU_DEP_2)
	v_sub_co_u32 v10, vcc_lo, v20, v10
	v_add3_u32 v11, v11, v17, v13
	s_delay_alu instid0(VALU_DEP_1) | instskip(NEXT) | instid1(VALU_DEP_1)
	v_sub_nc_u32_e32 v13, v22, v11
	v_subrev_co_ci_u32_e64 v13, s0, s43, v13, vcc_lo
	v_add_co_u32 v17, s0, v3, 2
	s_delay_alu instid0(VALU_DEP_1) | instskip(SKIP_3) | instid1(VALU_DEP_3)
	v_add_co_ci_u32_e64 v18, s0, 0, v12, s0
	v_sub_co_u32 v20, s0, v10, s42
	v_sub_co_ci_u32_e32 v11, vcc_lo, v22, v11, vcc_lo
	v_subrev_co_ci_u32_e64 v13, s0, 0, v13, s0
	v_cmp_le_u32_e32 vcc_lo, s42, v20
	s_delay_alu instid0(VALU_DEP_3) | instskip(SKIP_1) | instid1(VALU_DEP_4)
	v_cmp_eq_u32_e64 s0, s43, v11
	v_cndmask_b32_e64 v20, 0, -1, vcc_lo
	v_cmp_le_u32_e32 vcc_lo, s43, v13
	v_cndmask_b32_e64 v21, 0, -1, vcc_lo
	v_cmp_le_u32_e32 vcc_lo, s42, v10
	;; [unrolled: 2-line block ×3, first 2 shown]
	v_cndmask_b32_e64 v22, 0, -1, vcc_lo
	v_cmp_eq_u32_e32 vcc_lo, s43, v13
	s_delay_alu instid0(VALU_DEP_2) | instskip(SKIP_3) | instid1(VALU_DEP_3)
	v_cndmask_b32_e64 v10, v22, v10, s0
	v_cndmask_b32_e32 v13, v21, v20, vcc_lo
	v_add_co_u32 v20, vcc_lo, v3, 1
	v_add_co_ci_u32_e32 v21, vcc_lo, 0, v12, vcc_lo
	v_cmp_ne_u32_e32 vcc_lo, 0, v13
	s_delay_alu instid0(VALU_DEP_2) | instskip(NEXT) | instid1(VALU_DEP_4)
	v_cndmask_b32_e32 v11, v21, v18, vcc_lo
	v_cndmask_b32_e32 v13, v20, v17, vcc_lo
	v_cmp_ne_u32_e32 vcc_lo, 0, v10
	v_xor_b32_e32 v17, s40, v19
	s_delay_alu instid0(VALU_DEP_3) | instskip(NEXT) | instid1(VALU_DEP_1)
	v_dual_cndmask_b32 v3, v3, v13 :: v_dual_cndmask_b32 v10, v12, v11
	v_xor_b32_e32 v3, v3, v17
	s_delay_alu instid0(VALU_DEP_2) | instskip(NEXT) | instid1(VALU_DEP_2)
	v_xor_b32_e32 v11, v10, v17
	v_sub_co_u32 v10, vcc_lo, v3, v17
	s_delay_alu instid0(VALU_DEP_2)
	v_sub_co_ci_u32_e32 v11, vcc_lo, v11, v17, vcc_lo
.LBB54_25:                              ;   in Loop: Header=BB54_23 Depth=2
	s_and_not1_saveexec_b32 s0, s1
	s_cbranch_execz .LBB54_22
; %bb.26:                               ;   in Loop: Header=BB54_23 Depth=2
	v_cvt_f32_u32_e32 v3, s38
	s_sub_i32 s1, 0, s38
	s_delay_alu instid0(VALU_DEP_1) | instskip(SKIP_2) | instid1(VALU_DEP_1)
	v_rcp_iflag_f32_e32 v3, v3
	s_waitcnt_depctr 0xfff
	v_mul_f32_e32 v3, 0x4f7ffffe, v3
	v_cvt_u32_f32_e32 v3, v3
	s_delay_alu instid0(VALU_DEP_1) | instskip(NEXT) | instid1(VALU_DEP_1)
	v_mul_lo_u32 v10, s1, v3
	v_mul_hi_u32 v10, v3, v10
	s_delay_alu instid0(VALU_DEP_1) | instskip(NEXT) | instid1(VALU_DEP_1)
	v_add_nc_u32_e32 v3, v3, v10
	v_mul_hi_u32 v3, v6, v3
	s_delay_alu instid0(VALU_DEP_1) | instskip(SKIP_1) | instid1(VALU_DEP_2)
	v_mul_lo_u32 v10, v3, s38
	v_add_nc_u32_e32 v11, 1, v3
	v_sub_nc_u32_e32 v10, v6, v10
	s_delay_alu instid0(VALU_DEP_1) | instskip(SKIP_1) | instid1(VALU_DEP_2)
	v_subrev_nc_u32_e32 v12, s38, v10
	v_cmp_le_u32_e32 vcc_lo, s38, v10
	v_dual_cndmask_b32 v10, v10, v12 :: v_dual_cndmask_b32 v3, v3, v11
	s_delay_alu instid0(VALU_DEP_1) | instskip(NEXT) | instid1(VALU_DEP_2)
	v_cmp_le_u32_e32 vcc_lo, s38, v10
	v_add_nc_u32_e32 v11, 1, v3
	s_delay_alu instid0(VALU_DEP_1)
	v_dual_cndmask_b32 v10, v3, v11 :: v_dual_mov_b32 v11, v2
	s_branch .LBB54_22
.LBB54_27:
	s_nop 0
	s_sendmsg sendmsg(MSG_DEALLOC_VGPRS)
	s_endpgm
	.section	.rodata,"a",@progbits
	.p2align	6, 0x0
	.amdhsa_kernel _ZN2at6native16triu_tril_kernelIhlLb1ELi4ELb1EEEvNS_4cuda6detail10TensorInfoIT_T0_EENS4_IKS5_S6_EEllS6_
		.amdhsa_group_segment_fixed_size 0
		.amdhsa_private_segment_fixed_size 0
		.amdhsa_kernarg_size 1112
		.amdhsa_user_sgpr_count 15
		.amdhsa_user_sgpr_dispatch_ptr 0
		.amdhsa_user_sgpr_queue_ptr 0
		.amdhsa_user_sgpr_kernarg_segment_ptr 1
		.amdhsa_user_sgpr_dispatch_id 0
		.amdhsa_user_sgpr_private_segment_size 0
		.amdhsa_wavefront_size32 1
		.amdhsa_uses_dynamic_stack 0
		.amdhsa_enable_private_segment 0
		.amdhsa_system_sgpr_workgroup_id_x 1
		.amdhsa_system_sgpr_workgroup_id_y 0
		.amdhsa_system_sgpr_workgroup_id_z 0
		.amdhsa_system_sgpr_workgroup_info 0
		.amdhsa_system_vgpr_workitem_id 0
		.amdhsa_next_free_vgpr 24
		.amdhsa_next_free_sgpr 46
		.amdhsa_reserve_vcc 1
		.amdhsa_float_round_mode_32 0
		.amdhsa_float_round_mode_16_64 0
		.amdhsa_float_denorm_mode_32 3
		.amdhsa_float_denorm_mode_16_64 3
		.amdhsa_dx10_clamp 1
		.amdhsa_ieee_mode 1
		.amdhsa_fp16_overflow 0
		.amdhsa_workgroup_processor_mode 1
		.amdhsa_memory_ordered 1
		.amdhsa_forward_progress 0
		.amdhsa_shared_vgpr_count 0
		.amdhsa_exception_fp_ieee_invalid_op 0
		.amdhsa_exception_fp_denorm_src 0
		.amdhsa_exception_fp_ieee_div_zero 0
		.amdhsa_exception_fp_ieee_overflow 0
		.amdhsa_exception_fp_ieee_underflow 0
		.amdhsa_exception_fp_ieee_inexact 0
		.amdhsa_exception_int_div_zero 0
	.end_amdhsa_kernel
	.section	.text._ZN2at6native16triu_tril_kernelIhlLb1ELi4ELb1EEEvNS_4cuda6detail10TensorInfoIT_T0_EENS4_IKS5_S6_EEllS6_,"axG",@progbits,_ZN2at6native16triu_tril_kernelIhlLb1ELi4ELb1EEEvNS_4cuda6detail10TensorInfoIT_T0_EENS4_IKS5_S6_EEllS6_,comdat
.Lfunc_end54:
	.size	_ZN2at6native16triu_tril_kernelIhlLb1ELi4ELb1EEEvNS_4cuda6detail10TensorInfoIT_T0_EENS4_IKS5_S6_EEllS6_, .Lfunc_end54-_ZN2at6native16triu_tril_kernelIhlLb1ELi4ELb1EEEvNS_4cuda6detail10TensorInfoIT_T0_EENS4_IKS5_S6_EEllS6_
                                        ; -- End function
	.section	.AMDGPU.csdata,"",@progbits
; Kernel info:
; codeLenInByte = 4044
; NumSgprs: 48
; NumVgprs: 24
; ScratchSize: 0
; MemoryBound: 0
; FloatMode: 240
; IeeeMode: 1
; LDSByteSize: 0 bytes/workgroup (compile time only)
; SGPRBlocks: 5
; VGPRBlocks: 2
; NumSGPRsForWavesPerEU: 48
; NumVGPRsForWavesPerEU: 24
; Occupancy: 16
; WaveLimiterHint : 0
; COMPUTE_PGM_RSRC2:SCRATCH_EN: 0
; COMPUTE_PGM_RSRC2:USER_SGPR: 15
; COMPUTE_PGM_RSRC2:TRAP_HANDLER: 0
; COMPUTE_PGM_RSRC2:TGID_X_EN: 1
; COMPUTE_PGM_RSRC2:TGID_Y_EN: 0
; COMPUTE_PGM_RSRC2:TGID_Z_EN: 0
; COMPUTE_PGM_RSRC2:TIDIG_COMP_CNT: 0
	.section	.text._ZN2at6native16triu_tril_kernelIhlLb1ELi4ELb0EEEvNS_4cuda6detail10TensorInfoIT_T0_EENS4_IKS5_S6_EEllS6_,"axG",@progbits,_ZN2at6native16triu_tril_kernelIhlLb1ELi4ELb0EEEvNS_4cuda6detail10TensorInfoIT_T0_EENS4_IKS5_S6_EEllS6_,comdat
	.protected	_ZN2at6native16triu_tril_kernelIhlLb1ELi4ELb0EEEvNS_4cuda6detail10TensorInfoIT_T0_EENS4_IKS5_S6_EEllS6_ ; -- Begin function _ZN2at6native16triu_tril_kernelIhlLb1ELi4ELb0EEEvNS_4cuda6detail10TensorInfoIT_T0_EENS4_IKS5_S6_EEllS6_
	.globl	_ZN2at6native16triu_tril_kernelIhlLb1ELi4ELb0EEEvNS_4cuda6detail10TensorInfoIT_T0_EENS4_IKS5_S6_EEllS6_
	.p2align	8
	.type	_ZN2at6native16triu_tril_kernelIhlLb1ELi4ELb0EEEvNS_4cuda6detail10TensorInfoIT_T0_EENS4_IKS5_S6_EEllS6_,@function
_ZN2at6native16triu_tril_kernelIhlLb1ELi4ELb0EEEvNS_4cuda6detail10TensorInfoIT_T0_EENS4_IKS5_S6_EEllS6_: ; @_ZN2at6native16triu_tril_kernelIhlLb1ELi4ELb0EEEvNS_4cuda6detail10TensorInfoIT_T0_EENS4_IKS5_S6_EEllS6_
; %bb.0:
	s_clause 0x1
	s_load_b32 s2, s[0:1], 0x364
	s_load_b128 s[4:7], s[0:1], 0x340
	v_mov_b32_e32 v2, 0
	s_add_u32 s8, s0, 0x358
	s_addc_u32 s9, s1, 0
	s_delay_alu instid0(VALU_DEP_1) | instskip(SKIP_3) | instid1(VALU_DEP_1)
	v_mov_b32_e32 v1, v2
	s_waitcnt lgkmcnt(0)
	s_and_b32 s24, s2, 0xffff
	s_mov_b32 s2, exec_lo
	v_mad_u64_u32 v[3:4], null, s24, s15, v[0:1]
	s_delay_alu instid0(VALU_DEP_1) | instskip(NEXT) | instid1(VALU_DEP_1)
	v_lshlrev_b64 v[0:1], 2, v[3:4]
	v_cmpx_gt_i64_e64 s[6:7], v[0:1]
	s_cbranch_execz .LBB55_32
; %bb.1:
	s_clause 0x1
	s_load_b32 s26, s[0:1], 0x338
	s_load_b64 s[2:3], s[0:1], 0x350
	s_add_u32 s10, s0, 0x1a0
	s_addc_u32 s11, s1, 0
	s_load_b32 s25, s[8:9], 0x0
	s_clause 0x1
	s_load_b64 s[20:21], s[0:1], 0x1a0
	s_load_b64 s[22:23], s[0:1], 0x0
	s_mov_b32 s46, 0
	s_waitcnt lgkmcnt(0)
	s_ashr_i32 s27, s26, 31
	s_add_u32 s30, s0, 0x1a8
	s_addc_u32 s31, s1, 0
	s_lshl_b64 s[8:9], s[26:27], 3
	v_cvt_f32_u32_e32 v3, s2
	s_add_u32 s14, s8, -16
	s_addc_u32 s15, s9, -1
	s_add_u32 s8, s30, s14
	s_addc_u32 s9, s31, s15
	s_add_u32 s12, s10, s14
	s_addc_u32 s13, s11, s15
	;; [unrolled: 2-line block ×4, first 2 shown]
	s_clause 0x2
	s_load_b128 s[8:11], s[8:9], 0x0
	s_load_b128 s[12:15], s[12:13], 0xd0
	;; [unrolled: 1-line block ×3, first 2 shown]
	v_rcp_iflag_f32_e32 v3, v3
	s_add_i32 s28, s26, -3
	s_mul_i32 s25, s25, s24
	s_ashr_i32 s29, s28, 31
	v_cmp_gt_i64_e64 s1, s[26:27], 2
	s_lshl_b64 s[26:27], s[28:29], 3
	s_lshl_b32 s33, s25, 2
	s_add_u32 s24, s34, s26
	s_addc_u32 s25, s35, s27
	s_add_u32 s26, s30, s26
	s_waitcnt_depctr 0xfff
	v_mul_f32_e32 v3, 0x4f7ffffe, v3
	s_addc_u32 s27, s31, s27
	s_add_u32 s28, s28, 1
	s_addc_u32 s29, s29, 0
	s_ashr_i32 s30, s3, 31
	v_cvt_u32_f32_e32 v18, v3
	s_branch .LBB55_3
.LBB55_2:                               ;   in Loop: Header=BB55_3 Depth=1
	s_or_b32 exec_lo, exec_lo, s0
	v_add_co_u32 v0, vcc_lo, v0, s33
	v_add_co_ci_u32_e32 v1, vcc_lo, 0, v1, vcc_lo
	s_delay_alu instid0(VALU_DEP_1) | instskip(SKIP_1) | instid1(SALU_CYCLE_1)
	v_cmp_le_i64_e32 vcc_lo, s[6:7], v[0:1]
	s_or_b32 s46, vcc_lo, s46
	s_and_not1_b32 exec_lo, exec_lo, s46
	s_cbranch_execz .LBB55_32
.LBB55_3:                               ; =>This Loop Header: Depth=1
                                        ;     Child Loop BB55_28 Depth 2
	v_or_b32_e32 v3, s3, v1
                                        ; implicit-def: $vgpr8_vgpr9
	s_mov_b32 s0, exec_lo
	s_delay_alu instid0(VALU_DEP_1)
	v_cmpx_ne_u64_e32 0, v[2:3]
	s_xor_b32 s36, exec_lo, s0
	s_cbranch_execz .LBB55_5
; %bb.4:                                ;   in Loop: Header=BB55_3 Depth=1
	s_add_u32 s34, s2, s30
	s_mov_b32 s31, s30
	s_addc_u32 s35, s3, s30
	s_delay_alu instid0(SALU_CYCLE_1) | instskip(NEXT) | instid1(SALU_CYCLE_1)
	s_xor_b64 s[34:35], s[34:35], s[30:31]
	v_cvt_f32_u32_e32 v3, s34
	v_cvt_f32_u32_e32 v4, s35
	s_sub_u32 s0, 0, s34
	s_subb_u32 s31, 0, s35
	s_delay_alu instid0(VALU_DEP_1) | instskip(NEXT) | instid1(VALU_DEP_1)
	v_fmac_f32_e32 v3, 0x4f800000, v4
	v_rcp_f32_e32 v3, v3
	s_waitcnt_depctr 0xfff
	v_mul_f32_e32 v3, 0x5f7ffffc, v3
	s_delay_alu instid0(VALU_DEP_1) | instskip(NEXT) | instid1(VALU_DEP_1)
	v_mul_f32_e32 v4, 0x2f800000, v3
	v_trunc_f32_e32 v4, v4
	s_delay_alu instid0(VALU_DEP_1) | instskip(SKIP_1) | instid1(VALU_DEP_2)
	v_fmac_f32_e32 v3, 0xcf800000, v4
	v_cvt_u32_f32_e32 v4, v4
	v_cvt_u32_f32_e32 v3, v3
	s_delay_alu instid0(VALU_DEP_2) | instskip(NEXT) | instid1(VALU_DEP_2)
	v_mul_lo_u32 v5, s0, v4
	v_mul_hi_u32 v6, s0, v3
	v_mul_lo_u32 v7, s31, v3
	s_delay_alu instid0(VALU_DEP_2) | instskip(SKIP_1) | instid1(VALU_DEP_2)
	v_add_nc_u32_e32 v5, v6, v5
	v_mul_lo_u32 v6, s0, v3
	v_add_nc_u32_e32 v5, v5, v7
	s_delay_alu instid0(VALU_DEP_2) | instskip(NEXT) | instid1(VALU_DEP_2)
	v_mul_hi_u32 v7, v3, v6
	v_mul_lo_u32 v8, v3, v5
	v_mul_hi_u32 v9, v3, v5
	v_mul_hi_u32 v10, v4, v6
	v_mul_lo_u32 v6, v4, v6
	v_mul_hi_u32 v11, v4, v5
	v_mul_lo_u32 v5, v4, v5
	v_add_co_u32 v7, vcc_lo, v7, v8
	v_add_co_ci_u32_e32 v8, vcc_lo, 0, v9, vcc_lo
	s_delay_alu instid0(VALU_DEP_2) | instskip(NEXT) | instid1(VALU_DEP_2)
	v_add_co_u32 v6, vcc_lo, v7, v6
	v_add_co_ci_u32_e32 v6, vcc_lo, v8, v10, vcc_lo
	v_add_co_ci_u32_e32 v7, vcc_lo, 0, v11, vcc_lo
	v_ashrrev_i32_e32 v10, 31, v1
	s_delay_alu instid0(VALU_DEP_3) | instskip(NEXT) | instid1(VALU_DEP_3)
	v_add_co_u32 v5, vcc_lo, v6, v5
	v_add_co_ci_u32_e32 v6, vcc_lo, 0, v7, vcc_lo
	s_delay_alu instid0(VALU_DEP_2) | instskip(NEXT) | instid1(VALU_DEP_2)
	v_add_co_u32 v3, vcc_lo, v3, v5
	v_add_co_ci_u32_e32 v4, vcc_lo, v4, v6, vcc_lo
	s_delay_alu instid0(VALU_DEP_2) | instskip(SKIP_1) | instid1(VALU_DEP_3)
	v_mul_hi_u32 v5, s0, v3
	v_mul_lo_u32 v7, s31, v3
	v_mul_lo_u32 v6, s0, v4
	s_delay_alu instid0(VALU_DEP_1) | instskip(SKIP_1) | instid1(VALU_DEP_2)
	v_add_nc_u32_e32 v5, v5, v6
	v_mul_lo_u32 v6, s0, v3
	v_add_nc_u32_e32 v5, v5, v7
	s_delay_alu instid0(VALU_DEP_2) | instskip(NEXT) | instid1(VALU_DEP_2)
	v_mul_hi_u32 v7, v3, v6
	v_mul_lo_u32 v8, v3, v5
	v_mul_hi_u32 v9, v3, v5
	v_mul_hi_u32 v11, v4, v6
	v_mul_lo_u32 v6, v4, v6
	v_mul_hi_u32 v12, v4, v5
	v_mul_lo_u32 v5, v4, v5
	v_add_co_u32 v7, vcc_lo, v7, v8
	v_add_co_ci_u32_e32 v8, vcc_lo, 0, v9, vcc_lo
	s_delay_alu instid0(VALU_DEP_2) | instskip(NEXT) | instid1(VALU_DEP_2)
	v_add_co_u32 v6, vcc_lo, v7, v6
	v_add_co_ci_u32_e32 v6, vcc_lo, v8, v11, vcc_lo
	v_add_co_ci_u32_e32 v7, vcc_lo, 0, v12, vcc_lo
	v_add_co_u32 v8, vcc_lo, v0, v10
	v_add_co_ci_u32_e32 v9, vcc_lo, v1, v10, vcc_lo
	s_delay_alu instid0(VALU_DEP_4) | instskip(NEXT) | instid1(VALU_DEP_4)
	v_add_co_u32 v5, vcc_lo, v6, v5
	v_add_co_ci_u32_e32 v6, vcc_lo, 0, v7, vcc_lo
	s_delay_alu instid0(VALU_DEP_4) | instskip(NEXT) | instid1(VALU_DEP_3)
	v_xor_b32_e32 v11, v8, v10
	v_add_co_u32 v7, vcc_lo, v3, v5
	s_delay_alu instid0(VALU_DEP_3) | instskip(SKIP_1) | instid1(VALU_DEP_3)
	v_add_co_ci_u32_e32 v12, vcc_lo, v4, v6, vcc_lo
	v_xor_b32_e32 v9, v9, v10
	v_mul_hi_u32 v13, v11, v7
	s_delay_alu instid0(VALU_DEP_3) | instskip(NEXT) | instid1(VALU_DEP_3)
	v_mad_u64_u32 v[3:4], null, v11, v12, 0
	v_mad_u64_u32 v[5:6], null, v9, v7, 0
	;; [unrolled: 1-line block ×3, first 2 shown]
	s_delay_alu instid0(VALU_DEP_3) | instskip(NEXT) | instid1(VALU_DEP_4)
	v_add_co_u32 v3, vcc_lo, v13, v3
	v_add_co_ci_u32_e32 v4, vcc_lo, 0, v4, vcc_lo
	s_delay_alu instid0(VALU_DEP_2) | instskip(NEXT) | instid1(VALU_DEP_2)
	v_add_co_u32 v3, vcc_lo, v3, v5
	v_add_co_ci_u32_e32 v3, vcc_lo, v4, v6, vcc_lo
	v_add_co_ci_u32_e32 v4, vcc_lo, 0, v8, vcc_lo
	s_delay_alu instid0(VALU_DEP_2) | instskip(NEXT) | instid1(VALU_DEP_2)
	v_add_co_u32 v5, vcc_lo, v3, v7
	v_add_co_ci_u32_e32 v6, vcc_lo, 0, v4, vcc_lo
	s_delay_alu instid0(VALU_DEP_2) | instskip(SKIP_1) | instid1(VALU_DEP_3)
	v_mul_lo_u32 v7, s35, v5
	v_mad_u64_u32 v[3:4], null, s34, v5, 0
	v_mul_lo_u32 v8, s34, v6
	s_delay_alu instid0(VALU_DEP_2) | instskip(NEXT) | instid1(VALU_DEP_2)
	v_sub_co_u32 v3, vcc_lo, v11, v3
	v_add3_u32 v4, v4, v8, v7
	s_delay_alu instid0(VALU_DEP_1) | instskip(NEXT) | instid1(VALU_DEP_1)
	v_sub_nc_u32_e32 v7, v9, v4
	v_subrev_co_ci_u32_e64 v7, s0, s35, v7, vcc_lo
	v_add_co_u32 v8, s0, v5, 2
	s_delay_alu instid0(VALU_DEP_1) | instskip(SKIP_3) | instid1(VALU_DEP_3)
	v_add_co_ci_u32_e64 v11, s0, 0, v6, s0
	v_sub_co_u32 v12, s0, v3, s34
	v_sub_co_ci_u32_e32 v4, vcc_lo, v9, v4, vcc_lo
	v_subrev_co_ci_u32_e64 v7, s0, 0, v7, s0
	v_cmp_le_u32_e32 vcc_lo, s34, v12
	s_delay_alu instid0(VALU_DEP_3) | instskip(SKIP_1) | instid1(VALU_DEP_4)
	v_cmp_eq_u32_e64 s0, s35, v4
	v_cndmask_b32_e64 v9, 0, -1, vcc_lo
	v_cmp_le_u32_e32 vcc_lo, s35, v7
	v_cndmask_b32_e64 v12, 0, -1, vcc_lo
	v_cmp_le_u32_e32 vcc_lo, s34, v3
	;; [unrolled: 2-line block ×3, first 2 shown]
	v_cndmask_b32_e64 v13, 0, -1, vcc_lo
	v_cmp_eq_u32_e32 vcc_lo, s35, v7
	s_delay_alu instid0(VALU_DEP_2) | instskip(SKIP_3) | instid1(VALU_DEP_3)
	v_cndmask_b32_e64 v3, v13, v3, s0
	v_cndmask_b32_e32 v7, v12, v9, vcc_lo
	v_add_co_u32 v9, vcc_lo, v5, 1
	v_add_co_ci_u32_e32 v12, vcc_lo, 0, v6, vcc_lo
	v_cmp_ne_u32_e32 vcc_lo, 0, v7
	s_delay_alu instid0(VALU_DEP_2) | instskip(SKIP_2) | instid1(VALU_DEP_3)
	v_dual_cndmask_b32 v4, v12, v11 :: v_dual_cndmask_b32 v7, v9, v8
	v_cmp_ne_u32_e32 vcc_lo, 0, v3
	v_xor_b32_e32 v3, s30, v10
	v_dual_cndmask_b32 v5, v5, v7 :: v_dual_cndmask_b32 v4, v6, v4
	s_delay_alu instid0(VALU_DEP_1) | instskip(NEXT) | instid1(VALU_DEP_2)
	v_xor_b32_e32 v5, v5, v3
	v_xor_b32_e32 v4, v4, v3
	s_delay_alu instid0(VALU_DEP_2) | instskip(NEXT) | instid1(VALU_DEP_2)
	v_sub_co_u32 v8, vcc_lo, v5, v3
	v_sub_co_ci_u32_e32 v9, vcc_lo, v4, v3, vcc_lo
.LBB55_5:                               ;   in Loop: Header=BB55_3 Depth=1
	s_and_not1_saveexec_b32 s0, s36
	s_cbranch_execz .LBB55_7
; %bb.6:                                ;   in Loop: Header=BB55_3 Depth=1
	s_sub_i32 s31, 0, s2
	v_mov_b32_e32 v9, v2
	v_mul_lo_u32 v3, s31, v18
	s_delay_alu instid0(VALU_DEP_1) | instskip(NEXT) | instid1(VALU_DEP_1)
	v_mul_hi_u32 v3, v18, v3
	v_add_nc_u32_e32 v3, v18, v3
	s_delay_alu instid0(VALU_DEP_1) | instskip(NEXT) | instid1(VALU_DEP_1)
	v_mul_hi_u32 v3, v0, v3
	v_mul_lo_u32 v4, v3, s2
	v_add_nc_u32_e32 v5, 1, v3
	s_delay_alu instid0(VALU_DEP_2) | instskip(NEXT) | instid1(VALU_DEP_1)
	v_sub_nc_u32_e32 v4, v0, v4
	v_subrev_nc_u32_e32 v6, s2, v4
	v_cmp_le_u32_e32 vcc_lo, s2, v4
	s_delay_alu instid0(VALU_DEP_2) | instskip(NEXT) | instid1(VALU_DEP_1)
	v_dual_cndmask_b32 v4, v4, v6 :: v_dual_cndmask_b32 v3, v3, v5
	v_cmp_le_u32_e32 vcc_lo, s2, v4
	s_delay_alu instid0(VALU_DEP_2) | instskip(NEXT) | instid1(VALU_DEP_1)
	v_add_nc_u32_e32 v5, 1, v3
	v_cndmask_b32_e32 v8, v3, v5, vcc_lo
.LBB55_7:                               ;   in Loop: Header=BB55_3 Depth=1
	s_or_b32 exec_lo, exec_lo, s0
	s_waitcnt lgkmcnt(0)
	v_or_b32_e32 v3, s9, v9
                                        ; implicit-def: $vgpr6_vgpr7
	s_mov_b32 s0, exec_lo
	s_delay_alu instid0(VALU_DEP_1)
	v_cmpx_ne_u64_e32 0, v[2:3]
	s_xor_b32 s31, exec_lo, s0
	s_cbranch_execz .LBB55_9
; %bb.8:                                ;   in Loop: Header=BB55_3 Depth=1
	s_ashr_i32 s34, s9, 31
	s_delay_alu instid0(SALU_CYCLE_1) | instskip(SKIP_2) | instid1(SALU_CYCLE_1)
	s_add_u32 s36, s8, s34
	s_mov_b32 s35, s34
	s_addc_u32 s37, s9, s34
	s_xor_b64 s[36:37], s[36:37], s[34:35]
	s_delay_alu instid0(SALU_CYCLE_1) | instskip(SKIP_3) | instid1(VALU_DEP_1)
	v_cvt_f32_u32_e32 v3, s36
	v_cvt_f32_u32_e32 v4, s37
	s_sub_u32 s0, 0, s36
	s_subb_u32 s35, 0, s37
	v_fmac_f32_e32 v3, 0x4f800000, v4
	s_delay_alu instid0(VALU_DEP_1) | instskip(SKIP_2) | instid1(VALU_DEP_1)
	v_rcp_f32_e32 v3, v3
	s_waitcnt_depctr 0xfff
	v_mul_f32_e32 v3, 0x5f7ffffc, v3
	v_mul_f32_e32 v4, 0x2f800000, v3
	s_delay_alu instid0(VALU_DEP_1) | instskip(NEXT) | instid1(VALU_DEP_1)
	v_trunc_f32_e32 v4, v4
	v_fmac_f32_e32 v3, 0xcf800000, v4
	v_cvt_u32_f32_e32 v4, v4
	s_delay_alu instid0(VALU_DEP_2) | instskip(NEXT) | instid1(VALU_DEP_2)
	v_cvt_u32_f32_e32 v3, v3
	v_mul_lo_u32 v5, s0, v4
	s_delay_alu instid0(VALU_DEP_2) | instskip(SKIP_1) | instid1(VALU_DEP_2)
	v_mul_hi_u32 v6, s0, v3
	v_mul_lo_u32 v7, s35, v3
	v_add_nc_u32_e32 v5, v6, v5
	v_mul_lo_u32 v6, s0, v3
	s_delay_alu instid0(VALU_DEP_2) | instskip(NEXT) | instid1(VALU_DEP_2)
	v_add_nc_u32_e32 v5, v5, v7
	v_mul_hi_u32 v7, v3, v6
	s_delay_alu instid0(VALU_DEP_2)
	v_mul_lo_u32 v10, v3, v5
	v_mul_hi_u32 v11, v3, v5
	v_mul_hi_u32 v12, v4, v6
	v_mul_lo_u32 v6, v4, v6
	v_mul_hi_u32 v13, v4, v5
	v_mul_lo_u32 v5, v4, v5
	v_add_co_u32 v7, vcc_lo, v7, v10
	v_add_co_ci_u32_e32 v10, vcc_lo, 0, v11, vcc_lo
	s_delay_alu instid0(VALU_DEP_2) | instskip(NEXT) | instid1(VALU_DEP_2)
	v_add_co_u32 v6, vcc_lo, v7, v6
	v_add_co_ci_u32_e32 v6, vcc_lo, v10, v12, vcc_lo
	v_add_co_ci_u32_e32 v7, vcc_lo, 0, v13, vcc_lo
	v_ashrrev_i32_e32 v12, 31, v9
	s_delay_alu instid0(VALU_DEP_3) | instskip(NEXT) | instid1(VALU_DEP_3)
	v_add_co_u32 v5, vcc_lo, v6, v5
	v_add_co_ci_u32_e32 v6, vcc_lo, 0, v7, vcc_lo
	s_delay_alu instid0(VALU_DEP_2) | instskip(NEXT) | instid1(VALU_DEP_2)
	v_add_co_u32 v3, vcc_lo, v3, v5
	v_add_co_ci_u32_e32 v4, vcc_lo, v4, v6, vcc_lo
	s_delay_alu instid0(VALU_DEP_2) | instskip(SKIP_1) | instid1(VALU_DEP_3)
	v_mul_hi_u32 v5, s0, v3
	v_mul_lo_u32 v7, s35, v3
	v_mul_lo_u32 v6, s0, v4
	s_delay_alu instid0(VALU_DEP_1) | instskip(SKIP_1) | instid1(VALU_DEP_2)
	v_add_nc_u32_e32 v5, v5, v6
	v_mul_lo_u32 v6, s0, v3
	v_add_nc_u32_e32 v5, v5, v7
	s_delay_alu instid0(VALU_DEP_2) | instskip(NEXT) | instid1(VALU_DEP_2)
	v_mul_hi_u32 v7, v3, v6
	v_mul_lo_u32 v10, v3, v5
	v_mul_hi_u32 v11, v3, v5
	v_mul_hi_u32 v13, v4, v6
	v_mul_lo_u32 v6, v4, v6
	v_mul_hi_u32 v14, v4, v5
	v_mul_lo_u32 v5, v4, v5
	v_add_co_u32 v7, vcc_lo, v7, v10
	v_add_co_ci_u32_e32 v10, vcc_lo, 0, v11, vcc_lo
	s_delay_alu instid0(VALU_DEP_2) | instskip(NEXT) | instid1(VALU_DEP_2)
	v_add_co_u32 v6, vcc_lo, v7, v6
	v_add_co_ci_u32_e32 v6, vcc_lo, v10, v13, vcc_lo
	v_add_co_ci_u32_e32 v7, vcc_lo, 0, v14, vcc_lo
	v_add_co_u32 v10, vcc_lo, v8, v12
	v_add_co_ci_u32_e32 v11, vcc_lo, v9, v12, vcc_lo
	s_delay_alu instid0(VALU_DEP_4) | instskip(NEXT) | instid1(VALU_DEP_4)
	v_add_co_u32 v5, vcc_lo, v6, v5
	v_add_co_ci_u32_e32 v6, vcc_lo, 0, v7, vcc_lo
	s_delay_alu instid0(VALU_DEP_4) | instskip(NEXT) | instid1(VALU_DEP_3)
	v_xor_b32_e32 v7, v10, v12
	v_add_co_u32 v10, vcc_lo, v3, v5
	s_delay_alu instid0(VALU_DEP_3) | instskip(SKIP_1) | instid1(VALU_DEP_3)
	v_add_co_ci_u32_e32 v13, vcc_lo, v4, v6, vcc_lo
	v_xor_b32_e32 v14, v11, v12
	v_mul_hi_u32 v15, v7, v10
	s_delay_alu instid0(VALU_DEP_3) | instskip(NEXT) | instid1(VALU_DEP_3)
	v_mad_u64_u32 v[3:4], null, v7, v13, 0
	v_mad_u64_u32 v[5:6], null, v14, v10, 0
	;; [unrolled: 1-line block ×3, first 2 shown]
	s_delay_alu instid0(VALU_DEP_3) | instskip(NEXT) | instid1(VALU_DEP_4)
	v_add_co_u32 v3, vcc_lo, v15, v3
	v_add_co_ci_u32_e32 v4, vcc_lo, 0, v4, vcc_lo
	s_delay_alu instid0(VALU_DEP_2) | instskip(NEXT) | instid1(VALU_DEP_2)
	v_add_co_u32 v3, vcc_lo, v3, v5
	v_add_co_ci_u32_e32 v3, vcc_lo, v4, v6, vcc_lo
	v_add_co_ci_u32_e32 v4, vcc_lo, 0, v11, vcc_lo
	s_delay_alu instid0(VALU_DEP_2) | instskip(NEXT) | instid1(VALU_DEP_2)
	v_add_co_u32 v5, vcc_lo, v3, v10
	v_add_co_ci_u32_e32 v6, vcc_lo, 0, v4, vcc_lo
	s_delay_alu instid0(VALU_DEP_2) | instskip(SKIP_1) | instid1(VALU_DEP_3)
	v_mul_lo_u32 v10, s37, v5
	v_mad_u64_u32 v[3:4], null, s36, v5, 0
	v_mul_lo_u32 v11, s36, v6
	s_delay_alu instid0(VALU_DEP_2) | instskip(NEXT) | instid1(VALU_DEP_2)
	v_sub_co_u32 v3, vcc_lo, v7, v3
	v_add3_u32 v4, v4, v11, v10
	s_delay_alu instid0(VALU_DEP_1) | instskip(NEXT) | instid1(VALU_DEP_1)
	v_sub_nc_u32_e32 v10, v14, v4
	v_subrev_co_ci_u32_e64 v7, s0, s37, v10, vcc_lo
	v_add_co_u32 v10, s0, v5, 2
	s_delay_alu instid0(VALU_DEP_1) | instskip(SKIP_3) | instid1(VALU_DEP_3)
	v_add_co_ci_u32_e64 v11, s0, 0, v6, s0
	v_sub_co_u32 v13, s0, v3, s36
	v_sub_co_ci_u32_e32 v4, vcc_lo, v14, v4, vcc_lo
	v_subrev_co_ci_u32_e64 v7, s0, 0, v7, s0
	v_cmp_le_u32_e32 vcc_lo, s36, v13
	s_delay_alu instid0(VALU_DEP_3) | instskip(SKIP_1) | instid1(VALU_DEP_4)
	v_cmp_eq_u32_e64 s0, s37, v4
	v_cndmask_b32_e64 v13, 0, -1, vcc_lo
	v_cmp_le_u32_e32 vcc_lo, s37, v7
	v_cndmask_b32_e64 v14, 0, -1, vcc_lo
	v_cmp_le_u32_e32 vcc_lo, s36, v3
	;; [unrolled: 2-line block ×3, first 2 shown]
	v_cndmask_b32_e64 v15, 0, -1, vcc_lo
	v_cmp_eq_u32_e32 vcc_lo, s37, v7
	s_delay_alu instid0(VALU_DEP_2) | instskip(SKIP_3) | instid1(VALU_DEP_3)
	v_cndmask_b32_e64 v3, v15, v3, s0
	v_cndmask_b32_e32 v7, v14, v13, vcc_lo
	v_add_co_u32 v13, vcc_lo, v5, 1
	v_add_co_ci_u32_e32 v14, vcc_lo, 0, v6, vcc_lo
	v_cmp_ne_u32_e32 vcc_lo, 0, v7
	s_delay_alu instid0(VALU_DEP_2) | instskip(SKIP_2) | instid1(VALU_DEP_3)
	v_dual_cndmask_b32 v4, v14, v11 :: v_dual_cndmask_b32 v7, v13, v10
	v_cmp_ne_u32_e32 vcc_lo, 0, v3
	v_xor_b32_e32 v3, s34, v12
	v_dual_cndmask_b32 v5, v5, v7 :: v_dual_cndmask_b32 v4, v6, v4
	s_delay_alu instid0(VALU_DEP_1) | instskip(NEXT) | instid1(VALU_DEP_2)
	v_xor_b32_e32 v5, v5, v3
	v_xor_b32_e32 v4, v4, v3
	s_delay_alu instid0(VALU_DEP_2) | instskip(NEXT) | instid1(VALU_DEP_2)
	v_sub_co_u32 v6, vcc_lo, v5, v3
	v_sub_co_ci_u32_e32 v7, vcc_lo, v4, v3, vcc_lo
.LBB55_9:                               ;   in Loop: Header=BB55_3 Depth=1
	s_and_not1_saveexec_b32 s0, s31
	s_cbranch_execz .LBB55_11
; %bb.10:                               ;   in Loop: Header=BB55_3 Depth=1
	v_cvt_f32_u32_e32 v3, s8
	s_sub_i32 s31, 0, s8
	v_mov_b32_e32 v7, v2
	s_delay_alu instid0(VALU_DEP_2) | instskip(SKIP_2) | instid1(VALU_DEP_1)
	v_rcp_iflag_f32_e32 v3, v3
	s_waitcnt_depctr 0xfff
	v_mul_f32_e32 v3, 0x4f7ffffe, v3
	v_cvt_u32_f32_e32 v3, v3
	s_delay_alu instid0(VALU_DEP_1) | instskip(NEXT) | instid1(VALU_DEP_1)
	v_mul_lo_u32 v4, s31, v3
	v_mul_hi_u32 v4, v3, v4
	s_delay_alu instid0(VALU_DEP_1) | instskip(NEXT) | instid1(VALU_DEP_1)
	v_add_nc_u32_e32 v3, v3, v4
	v_mul_hi_u32 v3, v8, v3
	s_delay_alu instid0(VALU_DEP_1) | instskip(SKIP_1) | instid1(VALU_DEP_2)
	v_mul_lo_u32 v4, v3, s8
	v_add_nc_u32_e32 v5, 1, v3
	v_sub_nc_u32_e32 v4, v8, v4
	s_delay_alu instid0(VALU_DEP_1) | instskip(SKIP_1) | instid1(VALU_DEP_2)
	v_subrev_nc_u32_e32 v6, s8, v4
	v_cmp_le_u32_e32 vcc_lo, s8, v4
	v_dual_cndmask_b32 v4, v4, v6 :: v_dual_cndmask_b32 v3, v3, v5
	s_delay_alu instid0(VALU_DEP_1) | instskip(NEXT) | instid1(VALU_DEP_2)
	v_cmp_le_u32_e32 vcc_lo, s8, v4
	v_add_nc_u32_e32 v5, 1, v3
	s_delay_alu instid0(VALU_DEP_1)
	v_cndmask_b32_e32 v6, v3, v5, vcc_lo
.LBB55_11:                              ;   in Loop: Header=BB55_3 Depth=1
	s_or_b32 exec_lo, exec_lo, s0
	v_mul_lo_u32 v5, v9, s2
	v_mul_lo_u32 v12, v8, s3
	v_mad_u64_u32 v[3:4], null, v8, s2, 0
	v_mul_lo_u32 v13, v7, s8
	v_mul_lo_u32 v14, v6, s9
	v_mad_u64_u32 v[10:11], null, v6, s8, 0
	s_mov_b64 s[34:35], s[28:29]
	s_mov_b64 s[36:37], s[26:27]
	s_delay_alu instid0(VALU_DEP_4) | instskip(SKIP_2) | instid1(VALU_DEP_3)
	v_add3_u32 v5, v4, v12, v5
	v_sub_co_u32 v4, vcc_lo, v0, v3
	s_mov_b64 s[38:39], s[24:25]
	v_add3_u32 v3, v11, v14, v13
	s_delay_alu instid0(VALU_DEP_3) | instskip(NEXT) | instid1(VALU_DEP_3)
	v_sub_co_ci_u32_e32 v5, vcc_lo, v1, v5, vcc_lo
	v_mul_lo_u32 v11, s15, v4
	v_mul_lo_u32 v12, s19, v4
	v_mad_u64_u32 v[14:15], null, s18, v4, 0
	s_delay_alu instid0(VALU_DEP_4)
	v_mul_lo_u32 v13, s14, v5
	v_mul_lo_u32 v16, s18, v5
	v_mad_u64_u32 v[21:22], null, s14, v4, 0
	v_sub_co_u32 v19, vcc_lo, v8, v10
	v_sub_co_ci_u32_e32 v20, vcc_lo, v9, v3, vcc_lo
	s_and_b32 vcc_lo, exec_lo, s1
	s_delay_alu instid0(VALU_DEP_4) | instskip(NEXT) | instid1(VALU_DEP_4)
	v_add3_u32 v15, v15, v16, v12
	v_add3_u32 v22, v22, v13, v11
	v_mul_lo_u32 v3, s13, v19
	v_mul_lo_u32 v8, s12, v20
	;; [unrolled: 1-line block ×3, first 2 shown]
	v_mad_u64_u32 v[12:13], null, s16, v19, v[14:15]
	v_mul_lo_u32 v10, s17, v19
	v_mad_u64_u32 v[16:17], null, s12, v19, v[21:22]
	s_delay_alu instid0(VALU_DEP_2) | instskip(NEXT) | instid1(VALU_DEP_2)
	v_add3_u32 v13, v10, v13, v9
	v_add3_u32 v17, v3, v17, v8
	v_mov_b32_e32 v8, v12
	s_delay_alu instid0(VALU_DEP_3) | instskip(NEXT) | instid1(VALU_DEP_3)
	v_dual_mov_b32 v10, v16 :: v_dual_mov_b32 v9, v13
	v_mov_b32_e32 v11, v17
	s_cbranch_vccnz .LBB55_28
.LBB55_12:                              ;   in Loop: Header=BB55_3 Depth=1
	v_sub_co_u32 v6, vcc_lo, v4, v19
	v_sub_co_ci_u32_e32 v7, vcc_lo, v5, v20, vcc_lo
	s_delay_alu instid0(VALU_DEP_2) | instskip(NEXT) | instid1(VALU_DEP_2)
	v_add_co_u32 v8, vcc_lo, v6, 4
	v_add_co_ci_u32_e32 v9, vcc_lo, 0, v7, vcc_lo
	s_delay_alu instid0(VALU_DEP_1)
	v_cmp_le_i64_e32 vcc_lo, s[4:5], v[8:9]
	v_mov_b32_e32 v8, 0
	s_and_saveexec_b32 s0, vcc_lo
	s_cbranch_execz .LBB55_22
; %bb.13:                               ;   in Loop: Header=BB55_3 Depth=1
	v_mov_b32_e32 v3, 0
	s_mov_b32 s31, exec_lo
	v_cmpx_gt_i64_e64 s[10:11], v[4:5]
	s_cbranch_execz .LBB55_21
; %bb.14:                               ;   in Loop: Header=BB55_3 Depth=1
	v_add_co_u32 v8, vcc_lo, s20, v16
	v_add_co_ci_u32_e32 v9, vcc_lo, s21, v17, vcc_lo
	v_add_co_u32 v10, vcc_lo, v4, 1
	v_add_co_ci_u32_e32 v11, vcc_lo, 0, v5, vcc_lo
	global_load_u8 v3, v[8:9], off
	s_mov_b32 s34, exec_lo
	v_cmpx_gt_i64_e64 s[10:11], v[10:11]
	s_xor_b32 s34, exec_lo, s34
	s_cbranch_execz .LBB55_20
; %bb.15:                               ;   in Loop: Header=BB55_3 Depth=1
	v_add_co_u32 v8, vcc_lo, v8, s14
	v_add_co_ci_u32_e32 v9, vcc_lo, s15, v9, vcc_lo
	s_mov_b32 s35, exec_lo
	global_load_u8 v10, v[8:9], off
	s_waitcnt vmcnt(0)
	v_lshlrev_b16 v14, 8, v10
	v_add_co_u32 v10, vcc_lo, v4, 2
	v_add_co_ci_u32_e32 v11, vcc_lo, 0, v5, vcc_lo
	s_delay_alu instid0(VALU_DEP_3) | instskip(NEXT) | instid1(VALU_DEP_1)
	v_or_b32_e32 v3, v3, v14
	v_and_b32_e32 v3, 0xffff, v3
	s_delay_alu instid0(VALU_DEP_3)
	v_cmpx_gt_i64_e64 s[10:11], v[10:11]
	s_xor_b32 s35, exec_lo, s35
	s_cbranch_execz .LBB55_19
; %bb.16:                               ;   in Loop: Header=BB55_3 Depth=1
	v_add_co_u32 v8, vcc_lo, v8, s14
	v_add_co_ci_u32_e32 v9, vcc_lo, s15, v9, vcc_lo
	v_add_co_u32 v10, vcc_lo, v4, 3
	v_add_co_ci_u32_e32 v11, vcc_lo, 0, v5, vcc_lo
	global_load_u8 v14, v[8:9], off
	s_mov_b32 s36, exec_lo
	s_waitcnt vmcnt(0)
	v_lshl_or_b32 v3, v14, 16, v3
	v_cmpx_gt_i64_e64 s[10:11], v[10:11]
	s_xor_b32 s36, exec_lo, s36
	s_cbranch_execz .LBB55_18
; %bb.17:                               ;   in Loop: Header=BB55_3 Depth=1
	v_add_co_u32 v8, vcc_lo, v8, s14
	v_add_co_ci_u32_e32 v9, vcc_lo, s15, v9, vcc_lo
	global_load_u8 v8, v[8:9], off
	v_lshrrev_b32_e32 v9, 16, v3
	s_waitcnt vmcnt(0)
	v_lshlrev_b16 v8, 8, v8
	s_delay_alu instid0(VALU_DEP_1) | instskip(NEXT) | instid1(VALU_DEP_1)
	v_or_b32_e32 v8, v9, v8
	v_lshlrev_b32_e32 v8, 16, v8
	s_delay_alu instid0(VALU_DEP_1)
	v_and_or_b32 v3, 0xffff, v3, v8
.LBB55_18:                              ;   in Loop: Header=BB55_3 Depth=1
	s_or_b32 exec_lo, exec_lo, s36
.LBB55_19:                              ;   in Loop: Header=BB55_3 Depth=1
	s_delay_alu instid0(SALU_CYCLE_1)
	s_or_b32 exec_lo, exec_lo, s35
.LBB55_20:                              ;   in Loop: Header=BB55_3 Depth=1
	s_delay_alu instid0(SALU_CYCLE_1)
	s_or_b32 exec_lo, exec_lo, s34
.LBB55_21:                              ;   in Loop: Header=BB55_3 Depth=1
	s_delay_alu instid0(SALU_CYCLE_1)
	s_or_b32 exec_lo, exec_lo, s31
	v_add_co_u32 v8, vcc_lo, v6, 1
	v_add_co_ci_u32_e32 v9, vcc_lo, 0, v7, vcc_lo
	v_add_co_u32 v10, vcc_lo, v6, 3
	v_add_co_ci_u32_e32 v11, vcc_lo, 0, v7, vcc_lo
	v_add_co_u32 v14, vcc_lo, v6, 2
	v_add_co_ci_u32_e32 v15, vcc_lo, 0, v7, vcc_lo
	v_cmp_le_i64_e32 vcc_lo, s[4:5], v[8:9]
	s_waitcnt vmcnt(0)
	v_lshrrev_b32_e32 v17, 8, v3
	v_lshrrev_b32_e32 v19, 24, v3
	;; [unrolled: 1-line block ×3, first 2 shown]
	s_delay_alu instid0(VALU_DEP_3) | instskip(SKIP_1) | instid1(VALU_DEP_4)
	v_cndmask_b32_e32 v8, 0, v17, vcc_lo
	v_cmp_le_i64_e32 vcc_lo, s[4:5], v[10:11]
	v_cndmask_b32_e32 v9, 0, v19, vcc_lo
	v_cmp_le_i64_e32 vcc_lo, s[4:5], v[14:15]
	s_delay_alu instid0(VALU_DEP_4) | instskip(SKIP_4) | instid1(VALU_DEP_4)
	v_lshlrev_b16 v8, 8, v8
	v_cndmask_b32_e32 v10, 0, v16, vcc_lo
	v_cmp_le_i64_e32 vcc_lo, s[4:5], v[6:7]
	v_lshlrev_b16 v6, 8, v9
	v_cndmask_b32_e32 v3, 0, v3, vcc_lo
	v_and_b32_e32 v7, 0xff, v10
	s_delay_alu instid0(VALU_DEP_2) | instskip(NEXT) | instid1(VALU_DEP_2)
	v_and_b32_e32 v3, 0xff, v3
	v_or_b32_e32 v6, v7, v6
	s_delay_alu instid0(VALU_DEP_2) | instskip(NEXT) | instid1(VALU_DEP_2)
	v_or_b32_e32 v3, v3, v8
	v_lshlrev_b32_e32 v6, 16, v6
	s_delay_alu instid0(VALU_DEP_2) | instskip(NEXT) | instid1(VALU_DEP_1)
	v_and_b32_e32 v3, 0xffff, v3
	v_or_b32_e32 v8, v3, v6
.LBB55_22:                              ;   in Loop: Header=BB55_3 Depth=1
	s_or_b32 exec_lo, exec_lo, s0
	s_delay_alu instid0(SALU_CYCLE_1)
	s_mov_b32 s0, exec_lo
	v_cmpx_gt_i64_e64 s[10:11], v[4:5]
	s_cbranch_execz .LBB55_2
; %bb.23:                               ;   in Loop: Header=BB55_3 Depth=1
	v_add_co_u32 v9, vcc_lo, v4, 1
	v_add_co_ci_u32_e32 v10, vcc_lo, 0, v5, vcc_lo
	v_add_co_u32 v6, vcc_lo, s22, v12
	v_add_co_ci_u32_e32 v7, vcc_lo, s23, v13, vcc_lo
	s_mov_b32 s31, exec_lo
	global_store_b8 v[6:7], v8, off
	v_cmpx_gt_i64_e64 s[10:11], v[9:10]
	s_xor_b32 s31, exec_lo, s31
	s_cbranch_execz .LBB55_2
; %bb.24:                               ;   in Loop: Header=BB55_3 Depth=1
	v_add_co_u32 v9, vcc_lo, v4, 2
	v_add_co_ci_u32_e32 v10, vcc_lo, 0, v5, vcc_lo
	v_add_co_u32 v6, vcc_lo, v6, s18
	v_lshrrev_b32_e32 v3, 8, v8
	v_add_co_ci_u32_e32 v7, vcc_lo, s19, v7, vcc_lo
	s_mov_b32 s31, exec_lo
	global_store_b8 v[6:7], v3, off
	v_cmpx_gt_i64_e64 s[10:11], v[9:10]
	s_xor_b32 s31, exec_lo, s31
	s_cbranch_execz .LBB55_2
; %bb.25:                               ;   in Loop: Header=BB55_3 Depth=1
	v_add_co_u32 v9, vcc_lo, v4, 3
	v_add_co_ci_u32_e32 v10, vcc_lo, 0, v5, vcc_lo
	v_add_co_u32 v3, vcc_lo, v6, s18
	v_add_co_ci_u32_e32 v4, vcc_lo, s19, v7, vcc_lo
	s_mov_b32 s31, exec_lo
	global_store_d16_hi_b8 v[3:4], v8, off
	v_cmpx_gt_i64_e64 s[10:11], v[9:10]
	s_xor_b32 s31, exec_lo, s31
	s_cbranch_execz .LBB55_2
; %bb.26:                               ;   in Loop: Header=BB55_3 Depth=1
	v_add_co_u32 v3, vcc_lo, v3, s18
	v_lshrrev_b32_e32 v5, 24, v8
	v_add_co_ci_u32_e32 v4, vcc_lo, s19, v4, vcc_lo
	global_store_b8 v[3:4], v5, off
	s_branch .LBB55_2
.LBB55_27:                              ;   in Loop: Header=BB55_28 Depth=2
	s_or_b32 exec_lo, exec_lo, s0
	s_delay_alu instid0(VALU_DEP_1) | instskip(NEXT) | instid1(VALU_DEP_2)
	v_mul_lo_u32 v3, v15, s40
	v_mul_lo_u32 v16, v14, s41
	s_load_b64 s[42:43], s[36:37], 0xc8
	v_mad_u64_u32 v[12:13], null, v14, s40, 0
	s_load_b64 s[40:41], s[38:39], 0x0
	s_add_u32 s38, s38, -8
	s_addc_u32 s39, s39, -1
	s_add_u32 s36, s36, -8
	s_addc_u32 s37, s37, -1
	s_add_u32 s34, s34, -1
	s_delay_alu instid0(VALU_DEP_1) | instskip(SKIP_2) | instid1(VALU_DEP_2)
	v_add3_u32 v3, v13, v16, v3
	v_sub_co_u32 v6, vcc_lo, v6, v12
	s_addc_u32 s35, s35, -1
	v_sub_co_ci_u32_e32 v3, vcc_lo, v7, v3, vcc_lo
	v_cmp_lt_i64_e64 s0, s[34:35], 1
	s_waitcnt lgkmcnt(0)
	s_delay_alu instid0(VALU_DEP_2)
	v_mul_lo_u32 v7, s42, v3
	v_mul_lo_u32 v21, s43, v6
	v_mad_u64_u32 v[16:17], null, s42, v6, v[10:11]
	v_mul_lo_u32 v3, s40, v3
	v_mul_lo_u32 v10, s41, v6
	v_mad_u64_u32 v[12:13], null, s40, v6, v[8:9]
	s_and_b32 vcc_lo, exec_lo, s0
	s_delay_alu instid0(VALU_DEP_4) | instskip(SKIP_1) | instid1(VALU_DEP_3)
	v_add3_u32 v17, v21, v17, v7
	v_dual_mov_b32 v6, v14 :: v_dual_mov_b32 v7, v15
	v_add3_u32 v13, v10, v13, v3
	s_delay_alu instid0(VALU_DEP_4) | instskip(NEXT) | instid1(VALU_DEP_4)
	v_mov_b32_e32 v8, v12
	v_dual_mov_b32 v10, v16 :: v_dual_mov_b32 v11, v17
	s_delay_alu instid0(VALU_DEP_3)
	v_mov_b32_e32 v9, v13
	s_cbranch_vccnz .LBB55_12
.LBB55_28:                              ;   Parent Loop BB55_3 Depth=1
                                        ; =>  This Inner Loop Header: Depth=2
	s_load_b64 s[40:41], s[36:37], 0x0
                                        ; implicit-def: $vgpr14_vgpr15
	s_mov_b32 s0, exec_lo
	s_waitcnt lgkmcnt(0)
	v_or_b32_e32 v3, s41, v7
	s_delay_alu instid0(VALU_DEP_1)
	v_cmpx_ne_u64_e32 0, v[2:3]
	s_xor_b32 s31, exec_lo, s0
	s_cbranch_execz .LBB55_30
; %bb.29:                               ;   in Loop: Header=BB55_28 Depth=2
	s_ashr_i32 s42, s41, 31
	s_delay_alu instid0(SALU_CYCLE_1) | instskip(SKIP_2) | instid1(SALU_CYCLE_1)
	s_add_u32 s44, s40, s42
	s_mov_b32 s43, s42
	s_addc_u32 s45, s41, s42
	s_xor_b64 s[44:45], s[44:45], s[42:43]
	s_delay_alu instid0(SALU_CYCLE_1) | instskip(SKIP_3) | instid1(VALU_DEP_1)
	v_cvt_f32_u32_e32 v3, s44
	v_cvt_f32_u32_e32 v12, s45
	s_sub_u32 s0, 0, s44
	s_subb_u32 s43, 0, s45
	v_fmac_f32_e32 v3, 0x4f800000, v12
	s_delay_alu instid0(VALU_DEP_1) | instskip(SKIP_2) | instid1(VALU_DEP_1)
	v_rcp_f32_e32 v3, v3
	s_waitcnt_depctr 0xfff
	v_mul_f32_e32 v3, 0x5f7ffffc, v3
	v_mul_f32_e32 v12, 0x2f800000, v3
	s_delay_alu instid0(VALU_DEP_1) | instskip(NEXT) | instid1(VALU_DEP_1)
	v_trunc_f32_e32 v12, v12
	v_fmac_f32_e32 v3, 0xcf800000, v12
	v_cvt_u32_f32_e32 v12, v12
	s_delay_alu instid0(VALU_DEP_2) | instskip(NEXT) | instid1(VALU_DEP_2)
	v_cvt_u32_f32_e32 v3, v3
	v_mul_lo_u32 v13, s0, v12
	s_delay_alu instid0(VALU_DEP_2) | instskip(SKIP_1) | instid1(VALU_DEP_2)
	v_mul_hi_u32 v14, s0, v3
	v_mul_lo_u32 v15, s43, v3
	v_add_nc_u32_e32 v13, v14, v13
	v_mul_lo_u32 v14, s0, v3
	s_delay_alu instid0(VALU_DEP_2) | instskip(NEXT) | instid1(VALU_DEP_2)
	v_add_nc_u32_e32 v13, v13, v15
	v_mul_hi_u32 v15, v3, v14
	s_delay_alu instid0(VALU_DEP_2)
	v_mul_lo_u32 v16, v3, v13
	v_mul_hi_u32 v17, v3, v13
	v_mul_hi_u32 v21, v12, v14
	v_mul_lo_u32 v14, v12, v14
	v_mul_hi_u32 v22, v12, v13
	v_mul_lo_u32 v13, v12, v13
	v_add_co_u32 v15, vcc_lo, v15, v16
	v_add_co_ci_u32_e32 v16, vcc_lo, 0, v17, vcc_lo
	s_delay_alu instid0(VALU_DEP_2) | instskip(NEXT) | instid1(VALU_DEP_2)
	v_add_co_u32 v14, vcc_lo, v15, v14
	v_add_co_ci_u32_e32 v14, vcc_lo, v16, v21, vcc_lo
	v_add_co_ci_u32_e32 v15, vcc_lo, 0, v22, vcc_lo
	v_ashrrev_i32_e32 v21, 31, v7
	s_delay_alu instid0(VALU_DEP_3) | instskip(NEXT) | instid1(VALU_DEP_3)
	v_add_co_u32 v13, vcc_lo, v14, v13
	v_add_co_ci_u32_e32 v14, vcc_lo, 0, v15, vcc_lo
	s_delay_alu instid0(VALU_DEP_2) | instskip(NEXT) | instid1(VALU_DEP_2)
	v_add_co_u32 v3, vcc_lo, v3, v13
	v_add_co_ci_u32_e32 v12, vcc_lo, v12, v14, vcc_lo
	s_delay_alu instid0(VALU_DEP_2) | instskip(SKIP_1) | instid1(VALU_DEP_3)
	v_mul_hi_u32 v13, s0, v3
	v_mul_lo_u32 v15, s43, v3
	v_mul_lo_u32 v14, s0, v12
	s_delay_alu instid0(VALU_DEP_1) | instskip(SKIP_1) | instid1(VALU_DEP_2)
	v_add_nc_u32_e32 v13, v13, v14
	v_mul_lo_u32 v14, s0, v3
	v_add_nc_u32_e32 v13, v13, v15
	s_delay_alu instid0(VALU_DEP_2) | instskip(NEXT) | instid1(VALU_DEP_2)
	v_mul_hi_u32 v15, v3, v14
	v_mul_lo_u32 v16, v3, v13
	v_mul_hi_u32 v17, v3, v13
	v_mul_hi_u32 v22, v12, v14
	v_mul_lo_u32 v14, v12, v14
	v_mul_hi_u32 v23, v12, v13
	v_mul_lo_u32 v13, v12, v13
	v_add_co_u32 v15, vcc_lo, v15, v16
	v_add_co_ci_u32_e32 v16, vcc_lo, 0, v17, vcc_lo
	s_delay_alu instid0(VALU_DEP_2) | instskip(NEXT) | instid1(VALU_DEP_2)
	v_add_co_u32 v14, vcc_lo, v15, v14
	v_add_co_ci_u32_e32 v14, vcc_lo, v16, v22, vcc_lo
	v_add_co_ci_u32_e32 v15, vcc_lo, 0, v23, vcc_lo
	v_add_co_u32 v16, vcc_lo, v6, v21
	v_add_co_ci_u32_e32 v17, vcc_lo, v7, v21, vcc_lo
	s_delay_alu instid0(VALU_DEP_4) | instskip(NEXT) | instid1(VALU_DEP_4)
	v_add_co_u32 v13, vcc_lo, v14, v13
	v_add_co_ci_u32_e32 v14, vcc_lo, 0, v15, vcc_lo
	s_delay_alu instid0(VALU_DEP_4) | instskip(NEXT) | instid1(VALU_DEP_3)
	v_xor_b32_e32 v22, v16, v21
	v_add_co_u32 v3, vcc_lo, v3, v13
	s_delay_alu instid0(VALU_DEP_3) | instskip(SKIP_1) | instid1(VALU_DEP_3)
	v_add_co_ci_u32_e32 v23, vcc_lo, v12, v14, vcc_lo
	v_xor_b32_e32 v24, v17, v21
	v_mul_hi_u32 v25, v22, v3
	s_delay_alu instid0(VALU_DEP_3) | instskip(NEXT) | instid1(VALU_DEP_3)
	v_mad_u64_u32 v[12:13], null, v22, v23, 0
	v_mad_u64_u32 v[14:15], null, v24, v3, 0
	;; [unrolled: 1-line block ×3, first 2 shown]
	s_delay_alu instid0(VALU_DEP_3) | instskip(NEXT) | instid1(VALU_DEP_4)
	v_add_co_u32 v3, vcc_lo, v25, v12
	v_add_co_ci_u32_e32 v12, vcc_lo, 0, v13, vcc_lo
	s_delay_alu instid0(VALU_DEP_2) | instskip(NEXT) | instid1(VALU_DEP_2)
	v_add_co_u32 v3, vcc_lo, v3, v14
	v_add_co_ci_u32_e32 v3, vcc_lo, v12, v15, vcc_lo
	v_add_co_ci_u32_e32 v12, vcc_lo, 0, v17, vcc_lo
	s_delay_alu instid0(VALU_DEP_2) | instskip(NEXT) | instid1(VALU_DEP_2)
	v_add_co_u32 v3, vcc_lo, v3, v16
	v_add_co_ci_u32_e32 v14, vcc_lo, 0, v12, vcc_lo
	s_delay_alu instid0(VALU_DEP_2) | instskip(SKIP_1) | instid1(VALU_DEP_3)
	v_mul_lo_u32 v15, s45, v3
	v_mad_u64_u32 v[12:13], null, s44, v3, 0
	v_mul_lo_u32 v16, s44, v14
	s_delay_alu instid0(VALU_DEP_2) | instskip(NEXT) | instid1(VALU_DEP_2)
	v_sub_co_u32 v12, vcc_lo, v22, v12
	v_add3_u32 v13, v13, v16, v15
	s_delay_alu instid0(VALU_DEP_1) | instskip(NEXT) | instid1(VALU_DEP_1)
	v_sub_nc_u32_e32 v15, v24, v13
	v_subrev_co_ci_u32_e64 v15, s0, s45, v15, vcc_lo
	v_add_co_u32 v16, s0, v3, 2
	s_delay_alu instid0(VALU_DEP_1) | instskip(SKIP_3) | instid1(VALU_DEP_3)
	v_add_co_ci_u32_e64 v17, s0, 0, v14, s0
	v_sub_co_u32 v22, s0, v12, s44
	v_sub_co_ci_u32_e32 v13, vcc_lo, v24, v13, vcc_lo
	v_subrev_co_ci_u32_e64 v15, s0, 0, v15, s0
	v_cmp_le_u32_e32 vcc_lo, s44, v22
	s_delay_alu instid0(VALU_DEP_3) | instskip(SKIP_1) | instid1(VALU_DEP_4)
	v_cmp_eq_u32_e64 s0, s45, v13
	v_cndmask_b32_e64 v22, 0, -1, vcc_lo
	v_cmp_le_u32_e32 vcc_lo, s45, v15
	v_cndmask_b32_e64 v23, 0, -1, vcc_lo
	v_cmp_le_u32_e32 vcc_lo, s44, v12
	;; [unrolled: 2-line block ×3, first 2 shown]
	v_cndmask_b32_e64 v24, 0, -1, vcc_lo
	v_cmp_eq_u32_e32 vcc_lo, s45, v15
	s_delay_alu instid0(VALU_DEP_2) | instskip(SKIP_3) | instid1(VALU_DEP_3)
	v_cndmask_b32_e64 v12, v24, v12, s0
	v_cndmask_b32_e32 v15, v23, v22, vcc_lo
	v_add_co_u32 v22, vcc_lo, v3, 1
	v_add_co_ci_u32_e32 v23, vcc_lo, 0, v14, vcc_lo
	v_cmp_ne_u32_e32 vcc_lo, 0, v15
	s_delay_alu instid0(VALU_DEP_2) | instskip(NEXT) | instid1(VALU_DEP_4)
	v_cndmask_b32_e32 v13, v23, v17, vcc_lo
	v_cndmask_b32_e32 v15, v22, v16, vcc_lo
	v_cmp_ne_u32_e32 vcc_lo, 0, v12
	v_xor_b32_e32 v12, s42, v21
	s_delay_alu instid0(VALU_DEP_3) | instskip(SKIP_1) | instid1(VALU_DEP_2)
	v_cndmask_b32_e32 v3, v3, v15, vcc_lo
	v_cndmask_b32_e32 v13, v14, v13, vcc_lo
	v_xor_b32_e32 v3, v3, v12
	s_delay_alu instid0(VALU_DEP_2) | instskip(NEXT) | instid1(VALU_DEP_2)
	v_xor_b32_e32 v13, v13, v12
	v_sub_co_u32 v14, vcc_lo, v3, v12
	s_delay_alu instid0(VALU_DEP_2)
	v_sub_co_ci_u32_e32 v15, vcc_lo, v13, v12, vcc_lo
.LBB55_30:                              ;   in Loop: Header=BB55_28 Depth=2
	s_and_not1_saveexec_b32 s0, s31
	s_cbranch_execz .LBB55_27
; %bb.31:                               ;   in Loop: Header=BB55_28 Depth=2
	v_cvt_f32_u32_e32 v3, s40
	s_sub_i32 s31, 0, s40
	v_mov_b32_e32 v15, v2
	s_delay_alu instid0(VALU_DEP_2) | instskip(SKIP_2) | instid1(VALU_DEP_1)
	v_rcp_iflag_f32_e32 v3, v3
	s_waitcnt_depctr 0xfff
	v_mul_f32_e32 v3, 0x4f7ffffe, v3
	v_cvt_u32_f32_e32 v3, v3
	s_delay_alu instid0(VALU_DEP_1) | instskip(NEXT) | instid1(VALU_DEP_1)
	v_mul_lo_u32 v12, s31, v3
	v_mul_hi_u32 v12, v3, v12
	s_delay_alu instid0(VALU_DEP_1) | instskip(NEXT) | instid1(VALU_DEP_1)
	v_add_nc_u32_e32 v3, v3, v12
	v_mul_hi_u32 v3, v6, v3
	s_delay_alu instid0(VALU_DEP_1) | instskip(SKIP_1) | instid1(VALU_DEP_2)
	v_mul_lo_u32 v12, v3, s40
	v_add_nc_u32_e32 v13, 1, v3
	v_sub_nc_u32_e32 v12, v6, v12
	s_delay_alu instid0(VALU_DEP_1) | instskip(SKIP_1) | instid1(VALU_DEP_2)
	v_subrev_nc_u32_e32 v14, s40, v12
	v_cmp_le_u32_e32 vcc_lo, s40, v12
	v_dual_cndmask_b32 v12, v12, v14 :: v_dual_cndmask_b32 v3, v3, v13
	s_delay_alu instid0(VALU_DEP_1) | instskip(NEXT) | instid1(VALU_DEP_2)
	v_cmp_le_u32_e32 vcc_lo, s40, v12
	v_add_nc_u32_e32 v13, 1, v3
	s_delay_alu instid0(VALU_DEP_1)
	v_cndmask_b32_e32 v14, v3, v13, vcc_lo
	s_branch .LBB55_27
.LBB55_32:
	s_nop 0
	s_sendmsg sendmsg(MSG_DEALLOC_VGPRS)
	s_endpgm
	.section	.rodata,"a",@progbits
	.p2align	6, 0x0
	.amdhsa_kernel _ZN2at6native16triu_tril_kernelIhlLb1ELi4ELb0EEEvNS_4cuda6detail10TensorInfoIT_T0_EENS4_IKS5_S6_EEllS6_
		.amdhsa_group_segment_fixed_size 0
		.amdhsa_private_segment_fixed_size 0
		.amdhsa_kernarg_size 1112
		.amdhsa_user_sgpr_count 15
		.amdhsa_user_sgpr_dispatch_ptr 0
		.amdhsa_user_sgpr_queue_ptr 0
		.amdhsa_user_sgpr_kernarg_segment_ptr 1
		.amdhsa_user_sgpr_dispatch_id 0
		.amdhsa_user_sgpr_private_segment_size 0
		.amdhsa_wavefront_size32 1
		.amdhsa_uses_dynamic_stack 0
		.amdhsa_enable_private_segment 0
		.amdhsa_system_sgpr_workgroup_id_x 1
		.amdhsa_system_sgpr_workgroup_id_y 0
		.amdhsa_system_sgpr_workgroup_id_z 0
		.amdhsa_system_sgpr_workgroup_info 0
		.amdhsa_system_vgpr_workitem_id 0
		.amdhsa_next_free_vgpr 26
		.amdhsa_next_free_sgpr 47
		.amdhsa_reserve_vcc 1
		.amdhsa_float_round_mode_32 0
		.amdhsa_float_round_mode_16_64 0
		.amdhsa_float_denorm_mode_32 3
		.amdhsa_float_denorm_mode_16_64 3
		.amdhsa_dx10_clamp 1
		.amdhsa_ieee_mode 1
		.amdhsa_fp16_overflow 0
		.amdhsa_workgroup_processor_mode 1
		.amdhsa_memory_ordered 1
		.amdhsa_forward_progress 0
		.amdhsa_shared_vgpr_count 0
		.amdhsa_exception_fp_ieee_invalid_op 0
		.amdhsa_exception_fp_denorm_src 0
		.amdhsa_exception_fp_ieee_div_zero 0
		.amdhsa_exception_fp_ieee_overflow 0
		.amdhsa_exception_fp_ieee_underflow 0
		.amdhsa_exception_fp_ieee_inexact 0
		.amdhsa_exception_int_div_zero 0
	.end_amdhsa_kernel
	.section	.text._ZN2at6native16triu_tril_kernelIhlLb1ELi4ELb0EEEvNS_4cuda6detail10TensorInfoIT_T0_EENS4_IKS5_S6_EEllS6_,"axG",@progbits,_ZN2at6native16triu_tril_kernelIhlLb1ELi4ELb0EEEvNS_4cuda6detail10TensorInfoIT_T0_EENS4_IKS5_S6_EEllS6_,comdat
.Lfunc_end55:
	.size	_ZN2at6native16triu_tril_kernelIhlLb1ELi4ELb0EEEvNS_4cuda6detail10TensorInfoIT_T0_EENS4_IKS5_S6_EEllS6_, .Lfunc_end55-_ZN2at6native16triu_tril_kernelIhlLb1ELi4ELb0EEEvNS_4cuda6detail10TensorInfoIT_T0_EENS4_IKS5_S6_EEllS6_
                                        ; -- End function
	.section	.AMDGPU.csdata,"",@progbits
; Kernel info:
; codeLenInByte = 4568
; NumSgprs: 49
; NumVgprs: 26
; ScratchSize: 0
; MemoryBound: 0
; FloatMode: 240
; IeeeMode: 1
; LDSByteSize: 0 bytes/workgroup (compile time only)
; SGPRBlocks: 6
; VGPRBlocks: 3
; NumSGPRsForWavesPerEU: 49
; NumVGPRsForWavesPerEU: 26
; Occupancy: 16
; WaveLimiterHint : 0
; COMPUTE_PGM_RSRC2:SCRATCH_EN: 0
; COMPUTE_PGM_RSRC2:USER_SGPR: 15
; COMPUTE_PGM_RSRC2:TRAP_HANDLER: 0
; COMPUTE_PGM_RSRC2:TGID_X_EN: 1
; COMPUTE_PGM_RSRC2:TGID_Y_EN: 0
; COMPUTE_PGM_RSRC2:TGID_Z_EN: 0
; COMPUTE_PGM_RSRC2:TIDIG_COMP_CNT: 0
	.section	.text._ZN2at6native16triu_tril_kernelIaiLb1ELi4ELb1EEEvNS_4cuda6detail10TensorInfoIT_T0_EENS4_IKS5_S6_EEllS6_,"axG",@progbits,_ZN2at6native16triu_tril_kernelIaiLb1ELi4ELb1EEEvNS_4cuda6detail10TensorInfoIT_T0_EENS4_IKS5_S6_EEllS6_,comdat
	.protected	_ZN2at6native16triu_tril_kernelIaiLb1ELi4ELb1EEEvNS_4cuda6detail10TensorInfoIT_T0_EENS4_IKS5_S6_EEllS6_ ; -- Begin function _ZN2at6native16triu_tril_kernelIaiLb1ELi4ELb1EEEvNS_4cuda6detail10TensorInfoIT_T0_EENS4_IKS5_S6_EEllS6_
	.globl	_ZN2at6native16triu_tril_kernelIaiLb1ELi4ELb1EEEvNS_4cuda6detail10TensorInfoIT_T0_EENS4_IKS5_S6_EEllS6_
	.p2align	8
	.type	_ZN2at6native16triu_tril_kernelIaiLb1ELi4ELb1EEEvNS_4cuda6detail10TensorInfoIT_T0_EENS4_IKS5_S6_EEllS6_,@function
_ZN2at6native16triu_tril_kernelIaiLb1ELi4ELb1EEEvNS_4cuda6detail10TensorInfoIT_T0_EENS4_IKS5_S6_EEllS6_: ; @_ZN2at6native16triu_tril_kernelIaiLb1ELi4ELb1EEEvNS_4cuda6detail10TensorInfoIT_T0_EENS4_IKS5_S6_EEllS6_
; %bb.0:
	s_clause 0x1
	s_load_b32 s2, s[0:1], 0x1d4
	s_load_b128 s[4:7], s[0:1], 0x1b0
	v_mov_b32_e32 v2, 0
	s_add_u32 s8, s0, 0x1c8
	s_addc_u32 s9, s1, 0
	s_delay_alu instid0(VALU_DEP_1) | instskip(SKIP_3) | instid1(VALU_DEP_1)
	v_mov_b32_e32 v1, v2
	s_waitcnt lgkmcnt(0)
	s_and_b32 s14, s2, 0xffff
	s_mov_b32 s2, exec_lo
	v_mad_u64_u32 v[3:4], null, s14, s15, v[0:1]
	s_delay_alu instid0(VALU_DEP_1) | instskip(NEXT) | instid1(VALU_DEP_1)
	v_lshlrev_b64 v[0:1], 2, v[3:4]
	v_cmpx_gt_i64_e64 s[6:7], v[0:1]
	s_cbranch_execz .LBB56_68
; %bb.1:
	s_clause 0x2
	s_load_b32 s24, s[0:1], 0x1c0
	s_load_b32 s16, s[0:1], 0x1a8
	s_load_b64 s[2:3], s[0:1], 0x0
	s_load_b32 s19, s[8:9], 0x0
	s_mov_b32 s38, 0
	s_waitcnt lgkmcnt(0)
	s_ashr_i32 s25, s24, 31
	s_ashr_i32 s17, s16, 31
	s_add_u32 s26, s0, 0xe0
	s_addc_u32 s27, s1, 0
	s_lshl_b64 s[10:11], s[16:17], 2
	v_cvt_f32_u32_e32 v3, s24
	s_add_u32 s15, s10, -8
	s_addc_u32 s18, s11, -1
	s_add_u32 s12, s26, s15
	s_addc_u32 s13, s27, s18
	v_rcp_iflag_f32_e32 v3, v3
	s_load_b32 s28, s[12:13], 0x0
	s_mul_i32 s19, s19, s14
	v_cmp_gt_i64_e64 s37, s[16:17], 2
	s_waitcnt_depctr 0xfff
	v_mul_f32_e32 v3, 0x4f7ffffe, v3
	s_delay_alu instid0(VALU_DEP_1)
	v_cvt_u32_f32_e32 v3, v3
	s_waitcnt lgkmcnt(0)
	s_ashr_i32 s29, s28, 31
	s_add_u32 s12, s10, -4
	s_addc_u32 s13, s11, -1
	s_add_u32 s30, s0, 0x6c
	s_addc_u32 s1, s1, 0
	s_add_u32 s8, s30, s12
	s_addc_u32 s9, s1, s13
	;; [unrolled: 2-line block ×3, first 2 shown]
	s_add_i32 s31, s16, -3
	s_add_u32 s12, s26, s12
	s_addc_u32 s13, s27, s13
	s_add_i32 s0, s16, 6
	s_lshl_b32 s34, s19, 2
	s_and_b32 s33, s0, 7
	s_mov_b32 s15, 0
	s_cmp_lg_u32 s33, 0
	s_cselect_b32 s35, -1, 0
	s_cmp_gt_u32 s31, 6
	s_cselect_b32 s36, -1, 0
	s_sub_i32 s0, 0, s24
	s_delay_alu instid0(SALU_CYCLE_1) | instskip(NEXT) | instid1(VALU_DEP_1)
	v_mul_lo_u32 v4, s0, v3
	v_mul_hi_u32 v4, v3, v4
	s_delay_alu instid0(VALU_DEP_1)
	v_add_nc_u32_e32 v24, v3, v4
	s_branch .LBB56_3
.LBB56_2:                               ;   in Loop: Header=BB56_3 Depth=1
	s_or_b32 exec_lo, exec_lo, s39
	v_add_co_u32 v0, vcc_lo, v0, s34
	v_add_co_ci_u32_e32 v1, vcc_lo, 0, v1, vcc_lo
	s_delay_alu instid0(VALU_DEP_1) | instskip(SKIP_1) | instid1(SALU_CYCLE_1)
	v_cmp_le_i64_e32 vcc_lo, s[6:7], v[0:1]
	s_or_b32 s38, vcc_lo, s38
	s_and_not1_b32 exec_lo, exec_lo, s38
	s_cbranch_execz .LBB56_68
.LBB56_3:                               ; =>This Loop Header: Depth=1
                                        ;     Child Loop BB56_15 Depth 2
                                        ;     Child Loop BB56_24 Depth 2
	v_or_b32_e32 v3, s25, v1
                                        ; implicit-def: $vgpr4_vgpr5
	s_mov_b32 s0, exec_lo
	s_delay_alu instid0(VALU_DEP_1)
	v_cmpx_ne_u64_e32 0, v[2:3]
	s_xor_b32 s14, exec_lo, s0
	s_cbranch_execz .LBB56_5
; %bb.4:                                ;   in Loop: Header=BB56_3 Depth=1
	s_add_u32 s18, s24, s25
	s_mov_b32 s16, s25
	s_mov_b32 s17, s25
	s_addc_u32 s19, s25, s25
	s_delay_alu instid0(SALU_CYCLE_1) | instskip(NEXT) | instid1(SALU_CYCLE_1)
	s_xor_b64 s[18:19], s[18:19], s[16:17]
	v_cvt_f32_u32_e32 v3, s18
	v_cvt_f32_u32_e32 v4, s19
	s_sub_u32 s0, 0, s18
	s_subb_u32 s20, 0, s19
	s_delay_alu instid0(VALU_DEP_1) | instskip(NEXT) | instid1(VALU_DEP_1)
	v_fmac_f32_e32 v3, 0x4f800000, v4
	v_rcp_f32_e32 v3, v3
	s_waitcnt_depctr 0xfff
	v_mul_f32_e32 v3, 0x5f7ffffc, v3
	s_delay_alu instid0(VALU_DEP_1) | instskip(NEXT) | instid1(VALU_DEP_1)
	v_mul_f32_e32 v4, 0x2f800000, v3
	v_trunc_f32_e32 v4, v4
	s_delay_alu instid0(VALU_DEP_1) | instskip(SKIP_1) | instid1(VALU_DEP_2)
	v_fmac_f32_e32 v3, 0xcf800000, v4
	v_cvt_u32_f32_e32 v4, v4
	v_cvt_u32_f32_e32 v3, v3
	s_delay_alu instid0(VALU_DEP_2) | instskip(NEXT) | instid1(VALU_DEP_2)
	v_mul_lo_u32 v5, s0, v4
	v_mul_hi_u32 v6, s0, v3
	v_mul_lo_u32 v7, s20, v3
	s_delay_alu instid0(VALU_DEP_2) | instskip(SKIP_1) | instid1(VALU_DEP_2)
	v_add_nc_u32_e32 v5, v6, v5
	v_mul_lo_u32 v6, s0, v3
	v_add_nc_u32_e32 v5, v5, v7
	s_delay_alu instid0(VALU_DEP_2) | instskip(NEXT) | instid1(VALU_DEP_2)
	v_mul_hi_u32 v7, v3, v6
	v_mul_lo_u32 v8, v3, v5
	v_mul_hi_u32 v9, v3, v5
	v_mul_hi_u32 v10, v4, v6
	v_mul_lo_u32 v6, v4, v6
	v_mul_hi_u32 v11, v4, v5
	v_mul_lo_u32 v5, v4, v5
	v_add_co_u32 v7, vcc_lo, v7, v8
	v_add_co_ci_u32_e32 v8, vcc_lo, 0, v9, vcc_lo
	s_delay_alu instid0(VALU_DEP_2) | instskip(NEXT) | instid1(VALU_DEP_2)
	v_add_co_u32 v6, vcc_lo, v7, v6
	v_add_co_ci_u32_e32 v6, vcc_lo, v8, v10, vcc_lo
	v_add_co_ci_u32_e32 v7, vcc_lo, 0, v11, vcc_lo
	v_ashrrev_i32_e32 v10, 31, v1
	s_delay_alu instid0(VALU_DEP_3) | instskip(NEXT) | instid1(VALU_DEP_3)
	v_add_co_u32 v5, vcc_lo, v6, v5
	v_add_co_ci_u32_e32 v6, vcc_lo, 0, v7, vcc_lo
	s_delay_alu instid0(VALU_DEP_2) | instskip(NEXT) | instid1(VALU_DEP_2)
	v_add_co_u32 v3, vcc_lo, v3, v5
	v_add_co_ci_u32_e32 v4, vcc_lo, v4, v6, vcc_lo
	s_delay_alu instid0(VALU_DEP_2) | instskip(SKIP_1) | instid1(VALU_DEP_3)
	v_mul_hi_u32 v5, s0, v3
	v_mul_lo_u32 v7, s20, v3
	v_mul_lo_u32 v6, s0, v4
	s_delay_alu instid0(VALU_DEP_1) | instskip(SKIP_1) | instid1(VALU_DEP_2)
	v_add_nc_u32_e32 v5, v5, v6
	v_mul_lo_u32 v6, s0, v3
	v_add_nc_u32_e32 v5, v5, v7
	s_delay_alu instid0(VALU_DEP_2) | instskip(NEXT) | instid1(VALU_DEP_2)
	v_mul_hi_u32 v7, v3, v6
	v_mul_lo_u32 v8, v3, v5
	v_mul_hi_u32 v9, v3, v5
	v_mul_hi_u32 v11, v4, v6
	v_mul_lo_u32 v6, v4, v6
	v_mul_hi_u32 v12, v4, v5
	v_mul_lo_u32 v5, v4, v5
	v_add_co_u32 v7, vcc_lo, v7, v8
	v_add_co_ci_u32_e32 v8, vcc_lo, 0, v9, vcc_lo
	s_delay_alu instid0(VALU_DEP_2) | instskip(NEXT) | instid1(VALU_DEP_2)
	v_add_co_u32 v6, vcc_lo, v7, v6
	v_add_co_ci_u32_e32 v6, vcc_lo, v8, v11, vcc_lo
	v_add_co_ci_u32_e32 v7, vcc_lo, 0, v12, vcc_lo
	v_add_co_u32 v8, vcc_lo, v0, v10
	v_add_co_ci_u32_e32 v9, vcc_lo, v1, v10, vcc_lo
	s_delay_alu instid0(VALU_DEP_4) | instskip(NEXT) | instid1(VALU_DEP_4)
	v_add_co_u32 v5, vcc_lo, v6, v5
	v_add_co_ci_u32_e32 v6, vcc_lo, 0, v7, vcc_lo
	s_delay_alu instid0(VALU_DEP_4) | instskip(NEXT) | instid1(VALU_DEP_3)
	v_xor_b32_e32 v11, v8, v10
	v_add_co_u32 v7, vcc_lo, v3, v5
	s_delay_alu instid0(VALU_DEP_3) | instskip(SKIP_1) | instid1(VALU_DEP_3)
	v_add_co_ci_u32_e32 v12, vcc_lo, v4, v6, vcc_lo
	v_xor_b32_e32 v9, v9, v10
	v_mul_hi_u32 v13, v11, v7
	s_delay_alu instid0(VALU_DEP_3) | instskip(NEXT) | instid1(VALU_DEP_3)
	v_mad_u64_u32 v[3:4], null, v11, v12, 0
	v_mad_u64_u32 v[5:6], null, v9, v7, 0
	;; [unrolled: 1-line block ×3, first 2 shown]
	s_delay_alu instid0(VALU_DEP_3) | instskip(NEXT) | instid1(VALU_DEP_4)
	v_add_co_u32 v3, vcc_lo, v13, v3
	v_add_co_ci_u32_e32 v4, vcc_lo, 0, v4, vcc_lo
	s_delay_alu instid0(VALU_DEP_2) | instskip(NEXT) | instid1(VALU_DEP_2)
	v_add_co_u32 v3, vcc_lo, v3, v5
	v_add_co_ci_u32_e32 v3, vcc_lo, v4, v6, vcc_lo
	v_add_co_ci_u32_e32 v4, vcc_lo, 0, v8, vcc_lo
	s_delay_alu instid0(VALU_DEP_2) | instskip(NEXT) | instid1(VALU_DEP_2)
	v_add_co_u32 v5, vcc_lo, v3, v7
	v_add_co_ci_u32_e32 v6, vcc_lo, 0, v4, vcc_lo
	s_delay_alu instid0(VALU_DEP_2) | instskip(SKIP_1) | instid1(VALU_DEP_3)
	v_mul_lo_u32 v7, s19, v5
	v_mad_u64_u32 v[3:4], null, s18, v5, 0
	v_mul_lo_u32 v8, s18, v6
	s_delay_alu instid0(VALU_DEP_2) | instskip(NEXT) | instid1(VALU_DEP_2)
	v_sub_co_u32 v3, vcc_lo, v11, v3
	v_add3_u32 v4, v4, v8, v7
	s_delay_alu instid0(VALU_DEP_1) | instskip(NEXT) | instid1(VALU_DEP_1)
	v_sub_nc_u32_e32 v7, v9, v4
	v_subrev_co_ci_u32_e64 v7, s0, s19, v7, vcc_lo
	v_add_co_u32 v8, s0, v5, 2
	s_delay_alu instid0(VALU_DEP_1) | instskip(SKIP_3) | instid1(VALU_DEP_3)
	v_add_co_ci_u32_e64 v11, s0, 0, v6, s0
	v_sub_co_u32 v12, s0, v3, s18
	v_sub_co_ci_u32_e32 v4, vcc_lo, v9, v4, vcc_lo
	v_subrev_co_ci_u32_e64 v7, s0, 0, v7, s0
	v_cmp_le_u32_e32 vcc_lo, s18, v12
	s_delay_alu instid0(VALU_DEP_3) | instskip(SKIP_1) | instid1(VALU_DEP_4)
	v_cmp_eq_u32_e64 s0, s19, v4
	v_cndmask_b32_e64 v9, 0, -1, vcc_lo
	v_cmp_le_u32_e32 vcc_lo, s19, v7
	v_cndmask_b32_e64 v12, 0, -1, vcc_lo
	v_cmp_le_u32_e32 vcc_lo, s18, v3
	;; [unrolled: 2-line block ×3, first 2 shown]
	v_cndmask_b32_e64 v13, 0, -1, vcc_lo
	v_cmp_eq_u32_e32 vcc_lo, s19, v7
	s_delay_alu instid0(VALU_DEP_2) | instskip(SKIP_3) | instid1(VALU_DEP_3)
	v_cndmask_b32_e64 v3, v13, v3, s0
	v_cndmask_b32_e32 v7, v12, v9, vcc_lo
	v_add_co_u32 v9, vcc_lo, v5, 1
	v_add_co_ci_u32_e32 v12, vcc_lo, 0, v6, vcc_lo
	v_cmp_ne_u32_e32 vcc_lo, 0, v7
	s_delay_alu instid0(VALU_DEP_2) | instskip(SKIP_2) | instid1(VALU_DEP_3)
	v_dual_cndmask_b32 v4, v12, v11 :: v_dual_cndmask_b32 v7, v9, v8
	v_cmp_ne_u32_e32 vcc_lo, 0, v3
	v_xor_b32_e32 v3, s16, v10
	v_dual_cndmask_b32 v5, v5, v7 :: v_dual_cndmask_b32 v4, v6, v4
	v_xor_b32_e32 v6, s17, v10
	s_delay_alu instid0(VALU_DEP_2) | instskip(NEXT) | instid1(VALU_DEP_2)
	v_xor_b32_e32 v5, v5, v3
	v_xor_b32_e32 v7, v4, v6
	s_delay_alu instid0(VALU_DEP_2) | instskip(NEXT) | instid1(VALU_DEP_2)
	v_sub_co_u32 v4, vcc_lo, v5, v3
	v_sub_co_ci_u32_e32 v5, vcc_lo, v7, v6, vcc_lo
.LBB56_5:                               ;   in Loop: Header=BB56_3 Depth=1
	s_and_not1_saveexec_b32 s0, s14
; %bb.6:                                ;   in Loop: Header=BB56_3 Depth=1
	v_mul_hi_u32 v3, v0, v24
	s_delay_alu instid0(VALU_DEP_1) | instskip(NEXT) | instid1(VALU_DEP_1)
	v_mul_lo_u32 v4, v3, s24
	v_sub_nc_u32_e32 v4, v0, v4
	s_delay_alu instid0(VALU_DEP_1) | instskip(SKIP_1) | instid1(VALU_DEP_2)
	v_subrev_nc_u32_e32 v6, s24, v4
	v_cmp_le_u32_e32 vcc_lo, s24, v4
	v_dual_cndmask_b32 v4, v4, v6 :: v_dual_add_nc_u32 v5, 1, v3
	s_delay_alu instid0(VALU_DEP_1) | instskip(NEXT) | instid1(VALU_DEP_2)
	v_cndmask_b32_e32 v3, v3, v5, vcc_lo
	v_cmp_le_u32_e32 vcc_lo, s24, v4
	s_delay_alu instid0(VALU_DEP_2) | instskip(NEXT) | instid1(VALU_DEP_1)
	v_add_nc_u32_e32 v5, 1, v3
	v_dual_cndmask_b32 v4, v3, v5 :: v_dual_mov_b32 v5, v2
; %bb.7:                                ;   in Loop: Header=BB56_3 Depth=1
	s_or_b32 exec_lo, exec_lo, s0
	s_delay_alu instid0(VALU_DEP_1) | instskip(SKIP_1) | instid1(VALU_DEP_1)
	v_or_b32_e32 v3, s29, v5
                                        ; implicit-def: $vgpr6_vgpr7
	s_mov_b32 s0, exec_lo
	v_cmpx_ne_u64_e32 0, v[2:3]
	s_xor_b32 s14, exec_lo, s0
	s_cbranch_execz .LBB56_9
; %bb.8:                                ;   in Loop: Header=BB56_3 Depth=1
	s_add_u32 s18, s28, s29
	s_mov_b32 s16, s29
	s_mov_b32 s17, s29
	s_addc_u32 s19, s29, s29
	s_delay_alu instid0(SALU_CYCLE_1) | instskip(NEXT) | instid1(SALU_CYCLE_1)
	s_xor_b64 s[18:19], s[18:19], s[16:17]
	v_cvt_f32_u32_e32 v3, s18
	v_cvt_f32_u32_e32 v6, s19
	s_sub_u32 s0, 0, s18
	s_subb_u32 s20, 0, s19
	s_delay_alu instid0(VALU_DEP_1) | instskip(NEXT) | instid1(VALU_DEP_1)
	v_fmac_f32_e32 v3, 0x4f800000, v6
	v_rcp_f32_e32 v3, v3
	s_waitcnt_depctr 0xfff
	v_mul_f32_e32 v3, 0x5f7ffffc, v3
	s_delay_alu instid0(VALU_DEP_1) | instskip(NEXT) | instid1(VALU_DEP_1)
	v_mul_f32_e32 v6, 0x2f800000, v3
	v_trunc_f32_e32 v6, v6
	s_delay_alu instid0(VALU_DEP_1) | instskip(SKIP_1) | instid1(VALU_DEP_2)
	v_fmac_f32_e32 v3, 0xcf800000, v6
	v_cvt_u32_f32_e32 v6, v6
	v_cvt_u32_f32_e32 v3, v3
	s_delay_alu instid0(VALU_DEP_2) | instskip(NEXT) | instid1(VALU_DEP_2)
	v_mul_lo_u32 v7, s0, v6
	v_mul_hi_u32 v8, s0, v3
	v_mul_lo_u32 v9, s20, v3
	s_delay_alu instid0(VALU_DEP_2) | instskip(SKIP_1) | instid1(VALU_DEP_2)
	v_add_nc_u32_e32 v7, v8, v7
	v_mul_lo_u32 v8, s0, v3
	v_add_nc_u32_e32 v7, v7, v9
	s_delay_alu instid0(VALU_DEP_2) | instskip(NEXT) | instid1(VALU_DEP_2)
	v_mul_hi_u32 v9, v3, v8
	v_mul_lo_u32 v10, v3, v7
	v_mul_hi_u32 v11, v3, v7
	v_mul_hi_u32 v12, v6, v8
	v_mul_lo_u32 v8, v6, v8
	v_mul_hi_u32 v13, v6, v7
	v_mul_lo_u32 v7, v6, v7
	v_add_co_u32 v9, vcc_lo, v9, v10
	v_add_co_ci_u32_e32 v10, vcc_lo, 0, v11, vcc_lo
	s_delay_alu instid0(VALU_DEP_2) | instskip(NEXT) | instid1(VALU_DEP_2)
	v_add_co_u32 v8, vcc_lo, v9, v8
	v_add_co_ci_u32_e32 v8, vcc_lo, v10, v12, vcc_lo
	v_add_co_ci_u32_e32 v9, vcc_lo, 0, v13, vcc_lo
	v_ashrrev_i32_e32 v12, 31, v5
	s_delay_alu instid0(VALU_DEP_3) | instskip(NEXT) | instid1(VALU_DEP_3)
	v_add_co_u32 v7, vcc_lo, v8, v7
	v_add_co_ci_u32_e32 v8, vcc_lo, 0, v9, vcc_lo
	s_delay_alu instid0(VALU_DEP_2) | instskip(NEXT) | instid1(VALU_DEP_2)
	v_add_co_u32 v3, vcc_lo, v3, v7
	v_add_co_ci_u32_e32 v6, vcc_lo, v6, v8, vcc_lo
	s_delay_alu instid0(VALU_DEP_2) | instskip(SKIP_1) | instid1(VALU_DEP_3)
	v_mul_hi_u32 v7, s0, v3
	v_mul_lo_u32 v9, s20, v3
	v_mul_lo_u32 v8, s0, v6
	s_delay_alu instid0(VALU_DEP_1) | instskip(SKIP_1) | instid1(VALU_DEP_2)
	v_add_nc_u32_e32 v7, v7, v8
	v_mul_lo_u32 v8, s0, v3
	v_add_nc_u32_e32 v7, v7, v9
	s_delay_alu instid0(VALU_DEP_2) | instskip(NEXT) | instid1(VALU_DEP_2)
	v_mul_hi_u32 v9, v3, v8
	v_mul_lo_u32 v10, v3, v7
	v_mul_hi_u32 v11, v3, v7
	v_mul_hi_u32 v13, v6, v8
	v_mul_lo_u32 v8, v6, v8
	v_mul_hi_u32 v14, v6, v7
	v_mul_lo_u32 v7, v6, v7
	v_add_co_u32 v9, vcc_lo, v9, v10
	v_add_co_ci_u32_e32 v10, vcc_lo, 0, v11, vcc_lo
	s_delay_alu instid0(VALU_DEP_2) | instskip(NEXT) | instid1(VALU_DEP_2)
	v_add_co_u32 v8, vcc_lo, v9, v8
	v_add_co_ci_u32_e32 v8, vcc_lo, v10, v13, vcc_lo
	v_add_co_ci_u32_e32 v9, vcc_lo, 0, v14, vcc_lo
	v_add_co_u32 v10, vcc_lo, v4, v12
	v_add_co_ci_u32_e32 v5, vcc_lo, v5, v12, vcc_lo
	s_delay_alu instid0(VALU_DEP_4) | instskip(NEXT) | instid1(VALU_DEP_4)
	v_add_co_u32 v7, vcc_lo, v8, v7
	v_add_co_ci_u32_e32 v8, vcc_lo, 0, v9, vcc_lo
	s_delay_alu instid0(VALU_DEP_4) | instskip(NEXT) | instid1(VALU_DEP_3)
	v_xor_b32_e32 v11, v10, v12
	v_add_co_u32 v3, vcc_lo, v3, v7
	s_delay_alu instid0(VALU_DEP_3) | instskip(SKIP_1) | instid1(VALU_DEP_3)
	v_add_co_ci_u32_e32 v13, vcc_lo, v6, v8, vcc_lo
	v_xor_b32_e32 v14, v5, v12
	v_mul_hi_u32 v15, v11, v3
	s_delay_alu instid0(VALU_DEP_3) | instskip(NEXT) | instid1(VALU_DEP_3)
	v_mad_u64_u32 v[5:6], null, v11, v13, 0
	v_mad_u64_u32 v[7:8], null, v14, v3, 0
	;; [unrolled: 1-line block ×3, first 2 shown]
	s_delay_alu instid0(VALU_DEP_3) | instskip(NEXT) | instid1(VALU_DEP_4)
	v_add_co_u32 v3, vcc_lo, v15, v5
	v_add_co_ci_u32_e32 v5, vcc_lo, 0, v6, vcc_lo
	s_delay_alu instid0(VALU_DEP_2) | instskip(NEXT) | instid1(VALU_DEP_2)
	v_add_co_u32 v3, vcc_lo, v3, v7
	v_add_co_ci_u32_e32 v3, vcc_lo, v5, v8, vcc_lo
	v_add_co_ci_u32_e32 v5, vcc_lo, 0, v10, vcc_lo
	s_delay_alu instid0(VALU_DEP_2) | instskip(NEXT) | instid1(VALU_DEP_2)
	v_add_co_u32 v3, vcc_lo, v3, v9
	v_add_co_ci_u32_e32 v7, vcc_lo, 0, v5, vcc_lo
	s_delay_alu instid0(VALU_DEP_2) | instskip(SKIP_1) | instid1(VALU_DEP_3)
	v_mul_lo_u32 v8, s19, v3
	v_mad_u64_u32 v[5:6], null, s18, v3, 0
	v_mul_lo_u32 v9, s18, v7
	s_delay_alu instid0(VALU_DEP_2) | instskip(NEXT) | instid1(VALU_DEP_2)
	v_sub_co_u32 v5, vcc_lo, v11, v5
	v_add3_u32 v6, v6, v9, v8
	s_delay_alu instid0(VALU_DEP_1) | instskip(NEXT) | instid1(VALU_DEP_1)
	v_sub_nc_u32_e32 v8, v14, v6
	v_subrev_co_ci_u32_e64 v8, s0, s19, v8, vcc_lo
	v_add_co_u32 v9, s0, v3, 2
	s_delay_alu instid0(VALU_DEP_1) | instskip(SKIP_3) | instid1(VALU_DEP_3)
	v_add_co_ci_u32_e64 v10, s0, 0, v7, s0
	v_sub_co_u32 v11, s0, v5, s18
	v_sub_co_ci_u32_e32 v6, vcc_lo, v14, v6, vcc_lo
	v_subrev_co_ci_u32_e64 v8, s0, 0, v8, s0
	v_cmp_le_u32_e32 vcc_lo, s18, v11
	s_delay_alu instid0(VALU_DEP_3) | instskip(SKIP_1) | instid1(VALU_DEP_4)
	v_cmp_eq_u32_e64 s0, s19, v6
	v_cndmask_b32_e64 v11, 0, -1, vcc_lo
	v_cmp_le_u32_e32 vcc_lo, s19, v8
	v_cndmask_b32_e64 v13, 0, -1, vcc_lo
	v_cmp_le_u32_e32 vcc_lo, s18, v5
	;; [unrolled: 2-line block ×3, first 2 shown]
	v_cndmask_b32_e64 v14, 0, -1, vcc_lo
	v_cmp_eq_u32_e32 vcc_lo, s19, v8
	s_delay_alu instid0(VALU_DEP_2) | instskip(SKIP_3) | instid1(VALU_DEP_3)
	v_cndmask_b32_e64 v5, v14, v5, s0
	v_cndmask_b32_e32 v8, v13, v11, vcc_lo
	v_add_co_u32 v11, vcc_lo, v3, 1
	v_add_co_ci_u32_e32 v13, vcc_lo, 0, v7, vcc_lo
	v_cmp_ne_u32_e32 vcc_lo, 0, v8
	s_delay_alu instid0(VALU_DEP_3) | instskip(NEXT) | instid1(VALU_DEP_3)
	v_cndmask_b32_e32 v8, v11, v9, vcc_lo
	v_cndmask_b32_e32 v6, v13, v10, vcc_lo
	v_cmp_ne_u32_e32 vcc_lo, 0, v5
	v_xor_b32_e32 v5, s16, v12
	s_delay_alu instid0(VALU_DEP_4) | instskip(NEXT) | instid1(VALU_DEP_4)
	v_cndmask_b32_e32 v3, v3, v8, vcc_lo
	v_cndmask_b32_e32 v6, v7, v6, vcc_lo
	v_xor_b32_e32 v7, s17, v12
	s_delay_alu instid0(VALU_DEP_3) | instskip(NEXT) | instid1(VALU_DEP_2)
	v_xor_b32_e32 v3, v3, v5
	v_xor_b32_e32 v8, v6, v7
	s_delay_alu instid0(VALU_DEP_2) | instskip(NEXT) | instid1(VALU_DEP_2)
	v_sub_co_u32 v6, vcc_lo, v3, v5
	v_sub_co_ci_u32_e32 v7, vcc_lo, v8, v7, vcc_lo
.LBB56_9:                               ;   in Loop: Header=BB56_3 Depth=1
	s_and_not1_saveexec_b32 s0, s14
	s_cbranch_execz .LBB56_11
; %bb.10:                               ;   in Loop: Header=BB56_3 Depth=1
	v_cvt_f32_u32_e32 v3, s28
	s_sub_i32 s14, 0, s28
	s_delay_alu instid0(VALU_DEP_1) | instskip(SKIP_2) | instid1(VALU_DEP_1)
	v_rcp_iflag_f32_e32 v3, v3
	s_waitcnt_depctr 0xfff
	v_mul_f32_e32 v3, 0x4f7ffffe, v3
	v_cvt_u32_f32_e32 v3, v3
	s_delay_alu instid0(VALU_DEP_1) | instskip(NEXT) | instid1(VALU_DEP_1)
	v_mul_lo_u32 v5, s14, v3
	v_mul_hi_u32 v5, v3, v5
	s_delay_alu instid0(VALU_DEP_1) | instskip(NEXT) | instid1(VALU_DEP_1)
	v_add_nc_u32_e32 v3, v3, v5
	v_mul_hi_u32 v3, v4, v3
	s_delay_alu instid0(VALU_DEP_1) | instskip(SKIP_1) | instid1(VALU_DEP_2)
	v_mul_lo_u32 v5, v3, s28
	v_add_nc_u32_e32 v6, 1, v3
	v_sub_nc_u32_e32 v5, v4, v5
	s_delay_alu instid0(VALU_DEP_1) | instskip(SKIP_1) | instid1(VALU_DEP_2)
	v_subrev_nc_u32_e32 v7, s28, v5
	v_cmp_le_u32_e32 vcc_lo, s28, v5
	v_cndmask_b32_e32 v5, v5, v7, vcc_lo
	v_mov_b32_e32 v7, v2
	v_cndmask_b32_e32 v3, v3, v6, vcc_lo
	s_delay_alu instid0(VALU_DEP_3) | instskip(NEXT) | instid1(VALU_DEP_2)
	v_cmp_le_u32_e32 vcc_lo, s28, v5
	v_add_nc_u32_e32 v6, 1, v3
	s_delay_alu instid0(VALU_DEP_1)
	v_cndmask_b32_e32 v6, v3, v6, vcc_lo
.LBB56_11:                              ;   in Loop: Header=BB56_3 Depth=1
	s_or_b32 exec_lo, exec_lo, s0
	v_mad_u64_u32 v[8:9], null, v4, s24, 0
	s_delay_alu instid0(VALU_DEP_2) | instskip(SKIP_1) | instid1(VALU_DEP_2)
	v_mad_u64_u32 v[9:10], null, v6, s28, 0
	s_mov_b32 s39, exec_lo
	v_sub_co_u32 v26, null, v0, v8
	s_delay_alu instid0(VALU_DEP_2) | instskip(NEXT) | instid1(VALU_DEP_1)
	v_sub_co_u32 v25, null, v4, v9
	v_sub_nc_u32_e32 v3, v26, v25
	s_delay_alu instid0(VALU_DEP_1) | instskip(NEXT) | instid1(VALU_DEP_1)
	v_ashrrev_i32_e32 v4, 31, v3
	v_cmpx_gt_i64_e64 s[4:5], v[3:4]
	s_cbranch_execz .LBB56_2
; %bb.12:                               ;   in Loop: Header=BB56_3 Depth=1
	s_clause 0x1
	s_load_b32 s40, s[8:9], 0x0
	s_load_b32 s0, s[10:11], 0x0
	s_and_not1_b32 vcc_lo, exec_lo, s37
	s_waitcnt lgkmcnt(0)
	v_mul_lo_u32 v3, s40, v26
	s_delay_alu instid0(VALU_DEP_1)
	v_mad_u64_u32 v[4:5], null, s0, v25, v[3:4]
	s_cbranch_vccnz .LBB56_58
; %bb.13:                               ;   in Loop: Header=BB56_3 Depth=1
	s_and_not1_b32 vcc_lo, exec_lo, s35
	s_cbranch_vccnz .LBB56_21
; %bb.14:                               ;   in Loop: Header=BB56_3 Depth=1
	v_dual_mov_b32 v9, v7 :: v_dual_mov_b32 v8, v6
	s_mov_b32 s22, s33
	s_mov_b32 s14, s31
.LBB56_15:                              ;   Parent Loop BB56_3 Depth=1
                                        ; =>  This Inner Loop Header: Depth=2
	s_delay_alu instid0(SALU_CYCLE_1) | instskip(NEXT) | instid1(SALU_CYCLE_1)
	s_lshl_b64 s[16:17], s[14:15], 2
                                        ; implicit-def: $vgpr6_vgpr7
	s_add_u32 s18, s26, s16
	s_addc_u32 s19, s27, s17
	s_load_b32 s23, s[18:19], 0x0
	s_mov_b32 s18, exec_lo
	s_waitcnt lgkmcnt(0)
	s_ashr_i32 s0, s23, 31
	s_delay_alu instid0(SALU_CYCLE_1) | instskip(NEXT) | instid1(VALU_DEP_1)
	v_or_b32_e32 v3, s0, v9
	v_cmpx_ne_u64_e32 0, v[2:3]
	s_xor_b32 s41, exec_lo, s18
	s_cbranch_execz .LBB56_17
; %bb.16:                               ;   in Loop: Header=BB56_15 Depth=2
	s_add_u32 s20, s23, s0
	s_mov_b32 s18, s0
	s_mov_b32 s19, s0
	s_addc_u32 s21, s0, s0
	s_delay_alu instid0(SALU_CYCLE_1) | instskip(NEXT) | instid1(SALU_CYCLE_1)
	s_xor_b64 s[20:21], s[20:21], s[18:19]
	v_cvt_f32_u32_e32 v3, s20
	v_cvt_f32_u32_e32 v5, s21
	s_sub_u32 s0, 0, s20
	s_subb_u32 s42, 0, s21
	s_delay_alu instid0(VALU_DEP_1) | instskip(NEXT) | instid1(VALU_DEP_1)
	v_fmac_f32_e32 v3, 0x4f800000, v5
	v_rcp_f32_e32 v3, v3
	s_waitcnt_depctr 0xfff
	v_mul_f32_e32 v3, 0x5f7ffffc, v3
	s_delay_alu instid0(VALU_DEP_1) | instskip(NEXT) | instid1(VALU_DEP_1)
	v_mul_f32_e32 v5, 0x2f800000, v3
	v_trunc_f32_e32 v5, v5
	s_delay_alu instid0(VALU_DEP_1) | instskip(SKIP_1) | instid1(VALU_DEP_2)
	v_fmac_f32_e32 v3, 0xcf800000, v5
	v_cvt_u32_f32_e32 v5, v5
	v_cvt_u32_f32_e32 v3, v3
	s_delay_alu instid0(VALU_DEP_2) | instskip(NEXT) | instid1(VALU_DEP_2)
	v_mul_lo_u32 v6, s0, v5
	v_mul_hi_u32 v7, s0, v3
	v_mul_lo_u32 v10, s42, v3
	s_delay_alu instid0(VALU_DEP_2) | instskip(SKIP_1) | instid1(VALU_DEP_2)
	v_add_nc_u32_e32 v6, v7, v6
	v_mul_lo_u32 v7, s0, v3
	v_add_nc_u32_e32 v6, v6, v10
	s_delay_alu instid0(VALU_DEP_2) | instskip(NEXT) | instid1(VALU_DEP_2)
	v_mul_hi_u32 v10, v3, v7
	v_mul_lo_u32 v11, v3, v6
	v_mul_hi_u32 v12, v3, v6
	v_mul_hi_u32 v13, v5, v7
	v_mul_lo_u32 v7, v5, v7
	v_mul_hi_u32 v14, v5, v6
	v_mul_lo_u32 v6, v5, v6
	v_add_co_u32 v10, vcc_lo, v10, v11
	v_add_co_ci_u32_e32 v11, vcc_lo, 0, v12, vcc_lo
	s_delay_alu instid0(VALU_DEP_2) | instskip(NEXT) | instid1(VALU_DEP_2)
	v_add_co_u32 v7, vcc_lo, v10, v7
	v_add_co_ci_u32_e32 v7, vcc_lo, v11, v13, vcc_lo
	v_add_co_ci_u32_e32 v10, vcc_lo, 0, v14, vcc_lo
	v_ashrrev_i32_e32 v13, 31, v9
	s_delay_alu instid0(VALU_DEP_3) | instskip(NEXT) | instid1(VALU_DEP_3)
	v_add_co_u32 v6, vcc_lo, v7, v6
	v_add_co_ci_u32_e32 v7, vcc_lo, 0, v10, vcc_lo
	s_delay_alu instid0(VALU_DEP_2) | instskip(NEXT) | instid1(VALU_DEP_2)
	v_add_co_u32 v3, vcc_lo, v3, v6
	v_add_co_ci_u32_e32 v5, vcc_lo, v5, v7, vcc_lo
	s_delay_alu instid0(VALU_DEP_2) | instskip(SKIP_1) | instid1(VALU_DEP_3)
	v_mul_hi_u32 v6, s0, v3
	v_mul_lo_u32 v10, s42, v3
	v_mul_lo_u32 v7, s0, v5
	s_delay_alu instid0(VALU_DEP_1) | instskip(SKIP_1) | instid1(VALU_DEP_2)
	v_add_nc_u32_e32 v6, v6, v7
	v_mul_lo_u32 v7, s0, v3
	v_add_nc_u32_e32 v6, v6, v10
	s_delay_alu instid0(VALU_DEP_2) | instskip(NEXT) | instid1(VALU_DEP_2)
	v_mul_hi_u32 v10, v3, v7
	v_mul_lo_u32 v11, v3, v6
	v_mul_hi_u32 v12, v3, v6
	v_mul_hi_u32 v14, v5, v7
	v_mul_lo_u32 v7, v5, v7
	v_mul_hi_u32 v15, v5, v6
	v_mul_lo_u32 v6, v5, v6
	v_add_co_u32 v10, vcc_lo, v10, v11
	v_add_co_ci_u32_e32 v11, vcc_lo, 0, v12, vcc_lo
	s_delay_alu instid0(VALU_DEP_2) | instskip(NEXT) | instid1(VALU_DEP_2)
	v_add_co_u32 v7, vcc_lo, v10, v7
	v_add_co_ci_u32_e32 v7, vcc_lo, v11, v14, vcc_lo
	v_add_co_ci_u32_e32 v10, vcc_lo, 0, v15, vcc_lo
	v_add_co_u32 v11, vcc_lo, v8, v13
	v_add_co_ci_u32_e32 v9, vcc_lo, v9, v13, vcc_lo
	s_delay_alu instid0(VALU_DEP_4) | instskip(NEXT) | instid1(VALU_DEP_4)
	v_add_co_u32 v6, vcc_lo, v7, v6
	v_add_co_ci_u32_e32 v7, vcc_lo, 0, v10, vcc_lo
	s_delay_alu instid0(VALU_DEP_4) | instskip(NEXT) | instid1(VALU_DEP_3)
	v_xor_b32_e32 v14, v11, v13
	v_add_co_u32 v3, vcc_lo, v3, v6
	s_delay_alu instid0(VALU_DEP_3) | instskip(SKIP_1) | instid1(VALU_DEP_3)
	v_add_co_ci_u32_e32 v7, vcc_lo, v5, v7, vcc_lo
	v_xor_b32_e32 v15, v9, v13
	v_mul_hi_u32 v16, v14, v3
	s_delay_alu instid0(VALU_DEP_3) | instskip(NEXT) | instid1(VALU_DEP_3)
	v_mad_u64_u32 v[5:6], null, v14, v7, 0
	v_mad_u64_u32 v[9:10], null, v15, v3, 0
	;; [unrolled: 1-line block ×3, first 2 shown]
	s_delay_alu instid0(VALU_DEP_3) | instskip(NEXT) | instid1(VALU_DEP_4)
	v_add_co_u32 v3, vcc_lo, v16, v5
	v_add_co_ci_u32_e32 v5, vcc_lo, 0, v6, vcc_lo
	s_delay_alu instid0(VALU_DEP_2) | instskip(NEXT) | instid1(VALU_DEP_2)
	v_add_co_u32 v3, vcc_lo, v3, v9
	v_add_co_ci_u32_e32 v3, vcc_lo, v5, v10, vcc_lo
	v_add_co_ci_u32_e32 v5, vcc_lo, 0, v12, vcc_lo
	s_delay_alu instid0(VALU_DEP_2) | instskip(NEXT) | instid1(VALU_DEP_2)
	v_add_co_u32 v3, vcc_lo, v3, v11
	v_add_co_ci_u32_e32 v7, vcc_lo, 0, v5, vcc_lo
	s_delay_alu instid0(VALU_DEP_2) | instskip(SKIP_1) | instid1(VALU_DEP_3)
	v_mul_lo_u32 v9, s21, v3
	v_mad_u64_u32 v[5:6], null, s20, v3, 0
	v_mul_lo_u32 v10, s20, v7
	s_delay_alu instid0(VALU_DEP_2) | instskip(NEXT) | instid1(VALU_DEP_2)
	v_sub_co_u32 v5, vcc_lo, v14, v5
	v_add3_u32 v6, v6, v10, v9
	s_delay_alu instid0(VALU_DEP_1) | instskip(NEXT) | instid1(VALU_DEP_1)
	v_sub_nc_u32_e32 v9, v15, v6
	v_subrev_co_ci_u32_e64 v9, s0, s21, v9, vcc_lo
	v_add_co_u32 v10, s0, v3, 2
	s_delay_alu instid0(VALU_DEP_1) | instskip(SKIP_3) | instid1(VALU_DEP_3)
	v_add_co_ci_u32_e64 v11, s0, 0, v7, s0
	v_sub_co_u32 v12, s0, v5, s20
	v_sub_co_ci_u32_e32 v6, vcc_lo, v15, v6, vcc_lo
	v_subrev_co_ci_u32_e64 v9, s0, 0, v9, s0
	v_cmp_le_u32_e32 vcc_lo, s20, v12
	s_delay_alu instid0(VALU_DEP_3) | instskip(SKIP_1) | instid1(VALU_DEP_4)
	v_cmp_eq_u32_e64 s0, s21, v6
	v_cndmask_b32_e64 v12, 0, -1, vcc_lo
	v_cmp_le_u32_e32 vcc_lo, s21, v9
	v_cndmask_b32_e64 v14, 0, -1, vcc_lo
	v_cmp_le_u32_e32 vcc_lo, s20, v5
	;; [unrolled: 2-line block ×3, first 2 shown]
	v_cndmask_b32_e64 v15, 0, -1, vcc_lo
	v_cmp_eq_u32_e32 vcc_lo, s21, v9
	s_delay_alu instid0(VALU_DEP_2) | instskip(SKIP_3) | instid1(VALU_DEP_3)
	v_cndmask_b32_e64 v5, v15, v5, s0
	v_cndmask_b32_e32 v9, v14, v12, vcc_lo
	v_add_co_u32 v12, vcc_lo, v3, 1
	v_add_co_ci_u32_e32 v14, vcc_lo, 0, v7, vcc_lo
	v_cmp_ne_u32_e32 vcc_lo, 0, v9
	s_delay_alu instid0(VALU_DEP_2) | instskip(SKIP_2) | instid1(VALU_DEP_3)
	v_dual_cndmask_b32 v6, v14, v11 :: v_dual_cndmask_b32 v9, v12, v10
	v_cmp_ne_u32_e32 vcc_lo, 0, v5
	v_xor_b32_e32 v5, s18, v13
	v_cndmask_b32_e32 v3, v3, v9, vcc_lo
	s_delay_alu instid0(VALU_DEP_4) | instskip(SKIP_1) | instid1(VALU_DEP_3)
	v_cndmask_b32_e32 v6, v7, v6, vcc_lo
	v_xor_b32_e32 v7, s19, v13
	v_xor_b32_e32 v3, v3, v5
	s_delay_alu instid0(VALU_DEP_2) | instskip(NEXT) | instid1(VALU_DEP_2)
	v_xor_b32_e32 v9, v6, v7
	v_sub_co_u32 v6, vcc_lo, v3, v5
	s_delay_alu instid0(VALU_DEP_2)
	v_sub_co_ci_u32_e32 v7, vcc_lo, v9, v7, vcc_lo
.LBB56_17:                              ;   in Loop: Header=BB56_15 Depth=2
	s_and_not1_saveexec_b32 s0, s41
	s_cbranch_execz .LBB56_19
; %bb.18:                               ;   in Loop: Header=BB56_15 Depth=2
	v_cvt_f32_u32_e32 v3, s23
	s_sub_i32 s18, 0, s23
	s_delay_alu instid0(VALU_DEP_1) | instskip(SKIP_2) | instid1(VALU_DEP_1)
	v_rcp_iflag_f32_e32 v3, v3
	s_waitcnt_depctr 0xfff
	v_mul_f32_e32 v3, 0x4f7ffffe, v3
	v_cvt_u32_f32_e32 v3, v3
	s_delay_alu instid0(VALU_DEP_1) | instskip(NEXT) | instid1(VALU_DEP_1)
	v_mul_lo_u32 v5, s18, v3
	v_mul_hi_u32 v5, v3, v5
	s_delay_alu instid0(VALU_DEP_1) | instskip(NEXT) | instid1(VALU_DEP_1)
	v_add_nc_u32_e32 v3, v3, v5
	v_mul_hi_u32 v3, v8, v3
	s_delay_alu instid0(VALU_DEP_1) | instskip(SKIP_1) | instid1(VALU_DEP_2)
	v_mul_lo_u32 v5, v3, s23
	v_add_nc_u32_e32 v6, 1, v3
	v_sub_nc_u32_e32 v5, v8, v5
	s_delay_alu instid0(VALU_DEP_1) | instskip(SKIP_1) | instid1(VALU_DEP_2)
	v_subrev_nc_u32_e32 v7, s23, v5
	v_cmp_le_u32_e32 vcc_lo, s23, v5
	v_cndmask_b32_e32 v5, v5, v7, vcc_lo
	v_mov_b32_e32 v7, v2
	v_cndmask_b32_e32 v3, v3, v6, vcc_lo
	s_delay_alu instid0(VALU_DEP_3) | instskip(NEXT) | instid1(VALU_DEP_2)
	v_cmp_le_u32_e32 vcc_lo, s23, v5
	v_add_nc_u32_e32 v6, 1, v3
	s_delay_alu instid0(VALU_DEP_1)
	v_cndmask_b32_e32 v6, v3, v6, vcc_lo
.LBB56_19:                              ;   in Loop: Header=BB56_15 Depth=2
	s_or_b32 exec_lo, exec_lo, s0
	s_add_u32 s16, s30, s16
	s_addc_u32 s17, s1, s17
	s_delay_alu instid0(VALU_DEP_1) | instskip(SKIP_4) | instid1(VALU_DEP_1)
	v_mul_lo_u32 v3, v6, s23
	s_load_b32 s0, s[16:17], 0x0
	s_add_i32 s22, s22, -1
	s_add_i32 s14, s14, -1
	s_cmp_lg_u32 s22, 0
	v_sub_nc_u32_e32 v3, v8, v3
	s_waitcnt lgkmcnt(0)
	s_delay_alu instid0(VALU_DEP_1) | instskip(NEXT) | instid1(VALU_DEP_1)
	v_mad_u64_u32 v[8:9], null, s0, v3, v[4:5]
	v_mov_b32_e32 v4, v8
	s_cbranch_scc0 .LBB56_22
; %bb.20:                               ;   in Loop: Header=BB56_15 Depth=2
	v_dual_mov_b32 v9, v7 :: v_dual_mov_b32 v8, v6
	s_branch .LBB56_15
.LBB56_21:                              ;   in Loop: Header=BB56_3 Depth=1
	s_mov_b32 s14, s31
.LBB56_22:                              ;   in Loop: Header=BB56_3 Depth=1
	s_and_not1_b32 vcc_lo, exec_lo, s36
	s_cbranch_vccnz .LBB56_58
; %bb.23:                               ;   in Loop: Header=BB56_3 Depth=1
	s_add_i32 s16, s14, -7
.LBB56_24:                              ;   Parent Loop BB56_3 Depth=1
                                        ; =>  This Inner Loop Header: Depth=2
	s_delay_alu instid0(SALU_CYCLE_1) | instskip(NEXT) | instid1(SALU_CYCLE_1)
	s_add_i32 s14, s16, 7
                                        ; implicit-def: $vgpr8_vgpr9
	s_lshl_b64 s[18:19], s[14:15], 2
	s_mov_b32 s14, exec_lo
	s_add_u32 s20, s26, s18
	s_addc_u32 s21, s27, s19
	s_load_b32 s41, s[20:21], 0x0
	s_waitcnt lgkmcnt(0)
	s_ashr_i32 s0, s41, 31
	s_delay_alu instid0(SALU_CYCLE_1) | instskip(NEXT) | instid1(VALU_DEP_1)
	v_or_b32_e32 v3, s0, v7
	v_cmpx_ne_u64_e32 0, v[2:3]
	s_xor_b32 s14, exec_lo, s14
	s_cbranch_execz .LBB56_26
; %bb.25:                               ;   in Loop: Header=BB56_24 Depth=2
	s_add_u32 s22, s41, s0
	s_mov_b32 s20, s0
	s_mov_b32 s21, s0
	s_addc_u32 s23, s0, s0
	s_delay_alu instid0(SALU_CYCLE_1) | instskip(NEXT) | instid1(SALU_CYCLE_1)
	s_xor_b64 s[22:23], s[22:23], s[20:21]
	v_cvt_f32_u32_e32 v3, s22
	v_cvt_f32_u32_e32 v5, s23
	s_sub_u32 s0, 0, s22
	s_subb_u32 s17, 0, s23
	s_delay_alu instid0(VALU_DEP_1) | instskip(NEXT) | instid1(VALU_DEP_1)
	v_fmac_f32_e32 v3, 0x4f800000, v5
	v_rcp_f32_e32 v3, v3
	s_waitcnt_depctr 0xfff
	v_mul_f32_e32 v3, 0x5f7ffffc, v3
	s_delay_alu instid0(VALU_DEP_1) | instskip(NEXT) | instid1(VALU_DEP_1)
	v_mul_f32_e32 v5, 0x2f800000, v3
	v_trunc_f32_e32 v5, v5
	s_delay_alu instid0(VALU_DEP_1) | instskip(SKIP_1) | instid1(VALU_DEP_2)
	v_fmac_f32_e32 v3, 0xcf800000, v5
	v_cvt_u32_f32_e32 v5, v5
	v_cvt_u32_f32_e32 v3, v3
	s_delay_alu instid0(VALU_DEP_2) | instskip(NEXT) | instid1(VALU_DEP_2)
	v_mul_lo_u32 v8, s0, v5
	v_mul_hi_u32 v9, s0, v3
	v_mul_lo_u32 v10, s17, v3
	s_delay_alu instid0(VALU_DEP_2) | instskip(SKIP_1) | instid1(VALU_DEP_2)
	v_add_nc_u32_e32 v8, v9, v8
	v_mul_lo_u32 v9, s0, v3
	v_add_nc_u32_e32 v8, v8, v10
	s_delay_alu instid0(VALU_DEP_2) | instskip(NEXT) | instid1(VALU_DEP_2)
	v_mul_hi_u32 v10, v3, v9
	v_mul_lo_u32 v11, v3, v8
	v_mul_hi_u32 v12, v3, v8
	v_mul_hi_u32 v13, v5, v9
	v_mul_lo_u32 v9, v5, v9
	v_mul_hi_u32 v14, v5, v8
	v_mul_lo_u32 v8, v5, v8
	v_add_co_u32 v10, vcc_lo, v10, v11
	v_add_co_ci_u32_e32 v11, vcc_lo, 0, v12, vcc_lo
	s_delay_alu instid0(VALU_DEP_2) | instskip(NEXT) | instid1(VALU_DEP_2)
	v_add_co_u32 v9, vcc_lo, v10, v9
	v_add_co_ci_u32_e32 v9, vcc_lo, v11, v13, vcc_lo
	v_add_co_ci_u32_e32 v10, vcc_lo, 0, v14, vcc_lo
	v_ashrrev_i32_e32 v13, 31, v7
	s_delay_alu instid0(VALU_DEP_3) | instskip(NEXT) | instid1(VALU_DEP_3)
	v_add_co_u32 v8, vcc_lo, v9, v8
	v_add_co_ci_u32_e32 v9, vcc_lo, 0, v10, vcc_lo
	s_delay_alu instid0(VALU_DEP_2) | instskip(NEXT) | instid1(VALU_DEP_2)
	v_add_co_u32 v3, vcc_lo, v3, v8
	v_add_co_ci_u32_e32 v5, vcc_lo, v5, v9, vcc_lo
	s_delay_alu instid0(VALU_DEP_2) | instskip(SKIP_1) | instid1(VALU_DEP_3)
	v_mul_hi_u32 v8, s0, v3
	v_mul_lo_u32 v10, s17, v3
	v_mul_lo_u32 v9, s0, v5
	s_delay_alu instid0(VALU_DEP_1) | instskip(SKIP_1) | instid1(VALU_DEP_2)
	v_add_nc_u32_e32 v8, v8, v9
	v_mul_lo_u32 v9, s0, v3
	v_add_nc_u32_e32 v8, v8, v10
	s_delay_alu instid0(VALU_DEP_2) | instskip(NEXT) | instid1(VALU_DEP_2)
	v_mul_hi_u32 v10, v3, v9
	v_mul_lo_u32 v11, v3, v8
	v_mul_hi_u32 v12, v3, v8
	v_mul_hi_u32 v14, v5, v9
	v_mul_lo_u32 v9, v5, v9
	v_mul_hi_u32 v15, v5, v8
	v_mul_lo_u32 v8, v5, v8
	v_add_co_u32 v10, vcc_lo, v10, v11
	v_add_co_ci_u32_e32 v11, vcc_lo, 0, v12, vcc_lo
	s_delay_alu instid0(VALU_DEP_2) | instskip(NEXT) | instid1(VALU_DEP_2)
	v_add_co_u32 v9, vcc_lo, v10, v9
	v_add_co_ci_u32_e32 v9, vcc_lo, v11, v14, vcc_lo
	v_add_co_ci_u32_e32 v10, vcc_lo, 0, v15, vcc_lo
	v_add_co_u32 v11, vcc_lo, v6, v13
	v_add_co_ci_u32_e32 v7, vcc_lo, v7, v13, vcc_lo
	s_delay_alu instid0(VALU_DEP_4) | instskip(NEXT) | instid1(VALU_DEP_4)
	v_add_co_u32 v8, vcc_lo, v9, v8
	v_add_co_ci_u32_e32 v9, vcc_lo, 0, v10, vcc_lo
	s_delay_alu instid0(VALU_DEP_4) | instskip(NEXT) | instid1(VALU_DEP_3)
	v_xor_b32_e32 v14, v11, v13
	v_add_co_u32 v3, vcc_lo, v3, v8
	s_delay_alu instid0(VALU_DEP_3) | instskip(SKIP_1) | instid1(VALU_DEP_3)
	v_add_co_ci_u32_e32 v5, vcc_lo, v5, v9, vcc_lo
	v_xor_b32_e32 v15, v7, v13
	v_mul_hi_u32 v16, v14, v3
	s_delay_alu instid0(VALU_DEP_3) | instskip(NEXT) | instid1(VALU_DEP_3)
	v_mad_u64_u32 v[7:8], null, v14, v5, 0
	v_mad_u64_u32 v[9:10], null, v15, v3, 0
	v_mad_u64_u32 v[11:12], null, v15, v5, 0
	s_delay_alu instid0(VALU_DEP_3) | instskip(NEXT) | instid1(VALU_DEP_4)
	v_add_co_u32 v3, vcc_lo, v16, v7
	v_add_co_ci_u32_e32 v5, vcc_lo, 0, v8, vcc_lo
	s_delay_alu instid0(VALU_DEP_2) | instskip(NEXT) | instid1(VALU_DEP_2)
	v_add_co_u32 v3, vcc_lo, v3, v9
	v_add_co_ci_u32_e32 v3, vcc_lo, v5, v10, vcc_lo
	v_add_co_ci_u32_e32 v5, vcc_lo, 0, v12, vcc_lo
	s_delay_alu instid0(VALU_DEP_2) | instskip(NEXT) | instid1(VALU_DEP_2)
	v_add_co_u32 v3, vcc_lo, v3, v11
	v_add_co_ci_u32_e32 v5, vcc_lo, 0, v5, vcc_lo
	s_delay_alu instid0(VALU_DEP_2) | instskip(SKIP_1) | instid1(VALU_DEP_3)
	v_mul_lo_u32 v9, s23, v3
	v_mad_u64_u32 v[7:8], null, s22, v3, 0
	v_mul_lo_u32 v10, s22, v5
	s_delay_alu instid0(VALU_DEP_2) | instskip(NEXT) | instid1(VALU_DEP_2)
	v_sub_co_u32 v7, vcc_lo, v14, v7
	v_add3_u32 v8, v8, v10, v9
	s_delay_alu instid0(VALU_DEP_1) | instskip(NEXT) | instid1(VALU_DEP_1)
	v_sub_nc_u32_e32 v9, v15, v8
	v_subrev_co_ci_u32_e64 v9, s0, s23, v9, vcc_lo
	v_add_co_u32 v10, s0, v3, 2
	s_delay_alu instid0(VALU_DEP_1) | instskip(SKIP_3) | instid1(VALU_DEP_3)
	v_add_co_ci_u32_e64 v11, s0, 0, v5, s0
	v_sub_co_u32 v12, s0, v7, s22
	v_sub_co_ci_u32_e32 v8, vcc_lo, v15, v8, vcc_lo
	v_subrev_co_ci_u32_e64 v9, s0, 0, v9, s0
	v_cmp_le_u32_e32 vcc_lo, s22, v12
	s_delay_alu instid0(VALU_DEP_3) | instskip(SKIP_1) | instid1(VALU_DEP_4)
	v_cmp_eq_u32_e64 s0, s23, v8
	v_cndmask_b32_e64 v12, 0, -1, vcc_lo
	v_cmp_le_u32_e32 vcc_lo, s23, v9
	v_cndmask_b32_e64 v14, 0, -1, vcc_lo
	v_cmp_le_u32_e32 vcc_lo, s22, v7
	;; [unrolled: 2-line block ×3, first 2 shown]
	v_cndmask_b32_e64 v15, 0, -1, vcc_lo
	v_cmp_eq_u32_e32 vcc_lo, s23, v9
	s_delay_alu instid0(VALU_DEP_2) | instskip(SKIP_3) | instid1(VALU_DEP_3)
	v_cndmask_b32_e64 v7, v15, v7, s0
	v_cndmask_b32_e32 v9, v14, v12, vcc_lo
	v_add_co_u32 v12, vcc_lo, v3, 1
	v_add_co_ci_u32_e32 v14, vcc_lo, 0, v5, vcc_lo
	v_cmp_ne_u32_e32 vcc_lo, 0, v9
	s_delay_alu instid0(VALU_DEP_2) | instskip(SKIP_2) | instid1(VALU_DEP_3)
	v_dual_cndmask_b32 v8, v14, v11 :: v_dual_cndmask_b32 v9, v12, v10
	v_cmp_ne_u32_e32 vcc_lo, 0, v7
	v_xor_b32_e32 v7, s20, v13
	v_cndmask_b32_e32 v3, v3, v9, vcc_lo
	s_delay_alu instid0(VALU_DEP_4) | instskip(SKIP_1) | instid1(VALU_DEP_3)
	v_cndmask_b32_e32 v5, v5, v8, vcc_lo
	v_xor_b32_e32 v9, s21, v13
	v_xor_b32_e32 v3, v3, v7
	s_delay_alu instid0(VALU_DEP_2) | instskip(NEXT) | instid1(VALU_DEP_2)
	v_xor_b32_e32 v5, v5, v9
	v_sub_co_u32 v8, vcc_lo, v3, v7
	s_delay_alu instid0(VALU_DEP_2)
	v_sub_co_ci_u32_e32 v9, vcc_lo, v5, v9, vcc_lo
.LBB56_26:                              ;   in Loop: Header=BB56_24 Depth=2
	s_and_not1_saveexec_b32 s0, s14
	s_cbranch_execz .LBB56_28
; %bb.27:                               ;   in Loop: Header=BB56_24 Depth=2
	v_cvt_f32_u32_e32 v3, s41
	s_sub_i32 s14, 0, s41
	v_mov_b32_e32 v9, v2
	s_delay_alu instid0(VALU_DEP_2) | instskip(SKIP_2) | instid1(VALU_DEP_1)
	v_rcp_iflag_f32_e32 v3, v3
	s_waitcnt_depctr 0xfff
	v_mul_f32_e32 v3, 0x4f7ffffe, v3
	v_cvt_u32_f32_e32 v3, v3
	s_delay_alu instid0(VALU_DEP_1) | instskip(NEXT) | instid1(VALU_DEP_1)
	v_mul_lo_u32 v5, s14, v3
	v_mul_hi_u32 v5, v3, v5
	s_delay_alu instid0(VALU_DEP_1) | instskip(NEXT) | instid1(VALU_DEP_1)
	v_add_nc_u32_e32 v3, v3, v5
	v_mul_hi_u32 v3, v6, v3
	s_delay_alu instid0(VALU_DEP_1) | instskip(SKIP_1) | instid1(VALU_DEP_2)
	v_mul_lo_u32 v5, v3, s41
	v_add_nc_u32_e32 v7, 1, v3
	v_sub_nc_u32_e32 v5, v6, v5
	s_delay_alu instid0(VALU_DEP_1) | instskip(SKIP_1) | instid1(VALU_DEP_4)
	v_cmp_le_u32_e32 vcc_lo, s41, v5
	v_subrev_nc_u32_e32 v8, s41, v5
	v_cndmask_b32_e32 v3, v3, v7, vcc_lo
	s_delay_alu instid0(VALU_DEP_1) | instskip(NEXT) | instid1(VALU_DEP_3)
	v_add_nc_u32_e32 v7, 1, v3
	v_cndmask_b32_e32 v5, v5, v8, vcc_lo
	s_delay_alu instid0(VALU_DEP_1) | instskip(NEXT) | instid1(VALU_DEP_3)
	v_cmp_le_u32_e32 vcc_lo, s41, v5
	v_cndmask_b32_e32 v8, v3, v7, vcc_lo
.LBB56_28:                              ;   in Loop: Header=BB56_24 Depth=2
	s_or_b32 exec_lo, exec_lo, s0
	s_add_u32 s20, s30, s18
	s_addc_u32 s21, s1, s19
	s_add_i32 s14, s16, 6
                                        ; implicit-def: $vgpr10_vgpr11
	s_delay_alu instid0(SALU_CYCLE_1)
	s_lshl_b64 s[18:19], s[14:15], 2
	s_mov_b32 s14, exec_lo
	s_add_u32 s22, s26, s18
	s_addc_u32 s23, s27, s19
	s_clause 0x1
	s_load_b32 s43, s[22:23], 0x0
	s_load_b32 s42, s[20:21], 0x0
	s_waitcnt lgkmcnt(0)
	s_ashr_i32 s0, s43, 31
	s_delay_alu instid0(SALU_CYCLE_1) | instskip(NEXT) | instid1(VALU_DEP_1)
	v_or_b32_e32 v3, s0, v9
	v_cmpx_ne_u64_e32 0, v[2:3]
	s_xor_b32 s14, exec_lo, s14
	s_cbranch_execz .LBB56_30
; %bb.29:                               ;   in Loop: Header=BB56_24 Depth=2
	s_add_u32 s22, s43, s0
	s_mov_b32 s20, s0
	s_mov_b32 s21, s0
	s_addc_u32 s23, s0, s0
	s_delay_alu instid0(SALU_CYCLE_1) | instskip(NEXT) | instid1(SALU_CYCLE_1)
	s_xor_b64 s[22:23], s[22:23], s[20:21]
	v_cvt_f32_u32_e32 v3, s22
	v_cvt_f32_u32_e32 v5, s23
	s_sub_u32 s0, 0, s22
	s_subb_u32 s17, 0, s23
	s_delay_alu instid0(VALU_DEP_1) | instskip(NEXT) | instid1(VALU_DEP_1)
	v_fmac_f32_e32 v3, 0x4f800000, v5
	v_rcp_f32_e32 v3, v3
	s_waitcnt_depctr 0xfff
	v_mul_f32_e32 v3, 0x5f7ffffc, v3
	s_delay_alu instid0(VALU_DEP_1) | instskip(NEXT) | instid1(VALU_DEP_1)
	v_mul_f32_e32 v5, 0x2f800000, v3
	v_trunc_f32_e32 v5, v5
	s_delay_alu instid0(VALU_DEP_1) | instskip(SKIP_1) | instid1(VALU_DEP_2)
	v_fmac_f32_e32 v3, 0xcf800000, v5
	v_cvt_u32_f32_e32 v5, v5
	v_cvt_u32_f32_e32 v3, v3
	s_delay_alu instid0(VALU_DEP_2) | instskip(NEXT) | instid1(VALU_DEP_2)
	v_mul_lo_u32 v7, s0, v5
	v_mul_hi_u32 v10, s0, v3
	v_mul_lo_u32 v11, s17, v3
	s_delay_alu instid0(VALU_DEP_2) | instskip(SKIP_1) | instid1(VALU_DEP_2)
	v_add_nc_u32_e32 v7, v10, v7
	v_mul_lo_u32 v10, s0, v3
	v_add_nc_u32_e32 v7, v7, v11
	s_delay_alu instid0(VALU_DEP_2) | instskip(NEXT) | instid1(VALU_DEP_2)
	v_mul_hi_u32 v11, v3, v10
	v_mul_lo_u32 v12, v3, v7
	v_mul_hi_u32 v13, v3, v7
	v_mul_hi_u32 v14, v5, v10
	v_mul_lo_u32 v10, v5, v10
	v_mul_hi_u32 v15, v5, v7
	v_mul_lo_u32 v7, v5, v7
	v_add_co_u32 v11, vcc_lo, v11, v12
	v_add_co_ci_u32_e32 v12, vcc_lo, 0, v13, vcc_lo
	s_delay_alu instid0(VALU_DEP_2) | instskip(NEXT) | instid1(VALU_DEP_2)
	v_add_co_u32 v10, vcc_lo, v11, v10
	v_add_co_ci_u32_e32 v10, vcc_lo, v12, v14, vcc_lo
	v_add_co_ci_u32_e32 v11, vcc_lo, 0, v15, vcc_lo
	v_ashrrev_i32_e32 v15, 31, v9
	s_delay_alu instid0(VALU_DEP_3) | instskip(NEXT) | instid1(VALU_DEP_3)
	v_add_co_u32 v7, vcc_lo, v10, v7
	v_add_co_ci_u32_e32 v10, vcc_lo, 0, v11, vcc_lo
	s_delay_alu instid0(VALU_DEP_2) | instskip(NEXT) | instid1(VALU_DEP_2)
	v_add_co_u32 v3, vcc_lo, v3, v7
	v_add_co_ci_u32_e32 v5, vcc_lo, v5, v10, vcc_lo
	s_delay_alu instid0(VALU_DEP_2) | instskip(SKIP_1) | instid1(VALU_DEP_3)
	v_mul_hi_u32 v7, s0, v3
	v_mul_lo_u32 v11, s17, v3
	v_mul_lo_u32 v10, s0, v5
	s_delay_alu instid0(VALU_DEP_1) | instskip(SKIP_1) | instid1(VALU_DEP_2)
	v_add_nc_u32_e32 v7, v7, v10
	v_mul_lo_u32 v10, s0, v3
	v_add_nc_u32_e32 v7, v7, v11
	s_delay_alu instid0(VALU_DEP_2) | instskip(NEXT) | instid1(VALU_DEP_2)
	v_mul_hi_u32 v11, v3, v10
	v_mul_lo_u32 v12, v3, v7
	v_mul_hi_u32 v13, v3, v7
	v_mul_hi_u32 v14, v5, v10
	v_mul_lo_u32 v10, v5, v10
	v_mul_hi_u32 v16, v5, v7
	v_mul_lo_u32 v7, v5, v7
	v_add_co_u32 v11, vcc_lo, v11, v12
	v_add_co_ci_u32_e32 v12, vcc_lo, 0, v13, vcc_lo
	s_delay_alu instid0(VALU_DEP_2) | instskip(NEXT) | instid1(VALU_DEP_2)
	v_add_co_u32 v10, vcc_lo, v11, v10
	v_add_co_ci_u32_e32 v10, vcc_lo, v12, v14, vcc_lo
	v_add_co_ci_u32_e32 v11, vcc_lo, 0, v16, vcc_lo
	v_add_co_u32 v12, vcc_lo, v8, v15
	v_add_co_ci_u32_e32 v9, vcc_lo, v9, v15, vcc_lo
	s_delay_alu instid0(VALU_DEP_4) | instskip(NEXT) | instid1(VALU_DEP_4)
	v_add_co_u32 v7, vcc_lo, v10, v7
	v_add_co_ci_u32_e32 v10, vcc_lo, 0, v11, vcc_lo
	s_delay_alu instid0(VALU_DEP_4) | instskip(NEXT) | instid1(VALU_DEP_3)
	v_xor_b32_e32 v16, v12, v15
	v_add_co_u32 v3, vcc_lo, v3, v7
	s_delay_alu instid0(VALU_DEP_3) | instskip(SKIP_1) | instid1(VALU_DEP_3)
	v_add_co_ci_u32_e32 v5, vcc_lo, v5, v10, vcc_lo
	v_xor_b32_e32 v7, v9, v15
	v_mul_hi_u32 v17, v16, v3
	s_delay_alu instid0(VALU_DEP_3) | instskip(NEXT) | instid1(VALU_DEP_3)
	v_mad_u64_u32 v[9:10], null, v16, v5, 0
	v_mad_u64_u32 v[11:12], null, v7, v3, 0
	;; [unrolled: 1-line block ×3, first 2 shown]
	s_delay_alu instid0(VALU_DEP_3) | instskip(NEXT) | instid1(VALU_DEP_4)
	v_add_co_u32 v3, vcc_lo, v17, v9
	v_add_co_ci_u32_e32 v5, vcc_lo, 0, v10, vcc_lo
	s_delay_alu instid0(VALU_DEP_2) | instskip(NEXT) | instid1(VALU_DEP_2)
	v_add_co_u32 v3, vcc_lo, v3, v11
	v_add_co_ci_u32_e32 v3, vcc_lo, v5, v12, vcc_lo
	v_add_co_ci_u32_e32 v5, vcc_lo, 0, v14, vcc_lo
	s_delay_alu instid0(VALU_DEP_2) | instskip(NEXT) | instid1(VALU_DEP_2)
	v_add_co_u32 v3, vcc_lo, v3, v13
	v_add_co_ci_u32_e32 v5, vcc_lo, 0, v5, vcc_lo
	s_delay_alu instid0(VALU_DEP_2) | instskip(SKIP_1) | instid1(VALU_DEP_3)
	v_mul_lo_u32 v11, s23, v3
	v_mad_u64_u32 v[9:10], null, s22, v3, 0
	v_mul_lo_u32 v12, s22, v5
	s_delay_alu instid0(VALU_DEP_2) | instskip(NEXT) | instid1(VALU_DEP_2)
	v_sub_co_u32 v9, vcc_lo, v16, v9
	v_add3_u32 v10, v10, v12, v11
	s_delay_alu instid0(VALU_DEP_1) | instskip(NEXT) | instid1(VALU_DEP_1)
	v_sub_nc_u32_e32 v11, v7, v10
	v_subrev_co_ci_u32_e64 v11, s0, s23, v11, vcc_lo
	v_add_co_u32 v12, s0, v3, 2
	s_delay_alu instid0(VALU_DEP_1) | instskip(SKIP_3) | instid1(VALU_DEP_3)
	v_add_co_ci_u32_e64 v13, s0, 0, v5, s0
	v_sub_co_u32 v14, s0, v9, s22
	v_sub_co_ci_u32_e32 v7, vcc_lo, v7, v10, vcc_lo
	v_subrev_co_ci_u32_e64 v11, s0, 0, v11, s0
	v_cmp_le_u32_e32 vcc_lo, s22, v14
	s_delay_alu instid0(VALU_DEP_3) | instskip(SKIP_1) | instid1(VALU_DEP_4)
	v_cmp_eq_u32_e64 s0, s23, v7
	v_cndmask_b32_e64 v10, 0, -1, vcc_lo
	v_cmp_le_u32_e32 vcc_lo, s23, v11
	v_cndmask_b32_e64 v14, 0, -1, vcc_lo
	v_cmp_le_u32_e32 vcc_lo, s22, v9
	;; [unrolled: 2-line block ×3, first 2 shown]
	v_cndmask_b32_e64 v16, 0, -1, vcc_lo
	v_cmp_eq_u32_e32 vcc_lo, s23, v11
	s_delay_alu instid0(VALU_DEP_2) | instskip(SKIP_3) | instid1(VALU_DEP_3)
	v_cndmask_b32_e64 v7, v16, v9, s0
	v_cndmask_b32_e32 v10, v14, v10, vcc_lo
	v_add_co_u32 v11, vcc_lo, v3, 1
	v_add_co_ci_u32_e32 v14, vcc_lo, 0, v5, vcc_lo
	v_cmp_ne_u32_e32 vcc_lo, 0, v10
	s_delay_alu instid0(VALU_DEP_2) | instskip(SKIP_2) | instid1(VALU_DEP_3)
	v_dual_cndmask_b32 v10, v11, v12 :: v_dual_cndmask_b32 v9, v14, v13
	v_cmp_ne_u32_e32 vcc_lo, 0, v7
	v_xor_b32_e32 v7, s20, v15
	v_cndmask_b32_e32 v3, v3, v10, vcc_lo
	s_delay_alu instid0(VALU_DEP_4) | instskip(SKIP_1) | instid1(VALU_DEP_3)
	v_cndmask_b32_e32 v5, v5, v9, vcc_lo
	v_xor_b32_e32 v9, s21, v15
	v_xor_b32_e32 v3, v3, v7
	s_delay_alu instid0(VALU_DEP_2) | instskip(NEXT) | instid1(VALU_DEP_2)
	v_xor_b32_e32 v5, v5, v9
	v_sub_co_u32 v10, vcc_lo, v3, v7
	s_delay_alu instid0(VALU_DEP_2)
	v_sub_co_ci_u32_e32 v11, vcc_lo, v5, v9, vcc_lo
.LBB56_30:                              ;   in Loop: Header=BB56_24 Depth=2
	s_and_not1_saveexec_b32 s0, s14
	s_cbranch_execz .LBB56_32
; %bb.31:                               ;   in Loop: Header=BB56_24 Depth=2
	v_cvt_f32_u32_e32 v3, s43
	s_sub_i32 s14, 0, s43
	v_mov_b32_e32 v11, v2
	s_delay_alu instid0(VALU_DEP_2) | instskip(SKIP_2) | instid1(VALU_DEP_1)
	v_rcp_iflag_f32_e32 v3, v3
	s_waitcnt_depctr 0xfff
	v_mul_f32_e32 v3, 0x4f7ffffe, v3
	v_cvt_u32_f32_e32 v3, v3
	s_delay_alu instid0(VALU_DEP_1) | instskip(NEXT) | instid1(VALU_DEP_1)
	v_mul_lo_u32 v5, s14, v3
	v_mul_hi_u32 v5, v3, v5
	s_delay_alu instid0(VALU_DEP_1) | instskip(NEXT) | instid1(VALU_DEP_1)
	v_add_nc_u32_e32 v3, v3, v5
	v_mul_hi_u32 v3, v8, v3
	s_delay_alu instid0(VALU_DEP_1) | instskip(SKIP_1) | instid1(VALU_DEP_2)
	v_mul_lo_u32 v5, v3, s43
	v_add_nc_u32_e32 v7, 1, v3
	v_sub_nc_u32_e32 v5, v8, v5
	s_delay_alu instid0(VALU_DEP_1) | instskip(SKIP_1) | instid1(VALU_DEP_4)
	v_cmp_le_u32_e32 vcc_lo, s43, v5
	v_subrev_nc_u32_e32 v9, s43, v5
	v_cndmask_b32_e32 v3, v3, v7, vcc_lo
	s_delay_alu instid0(VALU_DEP_1) | instskip(NEXT) | instid1(VALU_DEP_3)
	v_add_nc_u32_e32 v7, 1, v3
	v_cndmask_b32_e32 v5, v5, v9, vcc_lo
	s_delay_alu instid0(VALU_DEP_1) | instskip(NEXT) | instid1(VALU_DEP_3)
	v_cmp_le_u32_e32 vcc_lo, s43, v5
	v_cndmask_b32_e32 v10, v3, v7, vcc_lo
.LBB56_32:                              ;   in Loop: Header=BB56_24 Depth=2
	s_or_b32 exec_lo, exec_lo, s0
	s_add_u32 s20, s30, s18
	s_addc_u32 s21, s1, s19
	s_add_i32 s14, s16, 5
                                        ; implicit-def: $vgpr12_vgpr13
	s_delay_alu instid0(SALU_CYCLE_1)
	s_lshl_b64 s[18:19], s[14:15], 2
	s_mov_b32 s14, exec_lo
	s_add_u32 s22, s26, s18
	s_addc_u32 s23, s27, s19
	s_clause 0x1
	s_load_b32 s45, s[22:23], 0x0
	s_load_b32 s44, s[20:21], 0x0
	s_waitcnt lgkmcnt(0)
	s_ashr_i32 s0, s45, 31
	s_delay_alu instid0(SALU_CYCLE_1) | instskip(NEXT) | instid1(VALU_DEP_1)
	v_or_b32_e32 v3, s0, v11
	v_cmpx_ne_u64_e32 0, v[2:3]
	s_xor_b32 s14, exec_lo, s14
	s_cbranch_execz .LBB56_34
; %bb.33:                               ;   in Loop: Header=BB56_24 Depth=2
	s_add_u32 s22, s45, s0
	s_mov_b32 s20, s0
	s_mov_b32 s21, s0
	s_addc_u32 s23, s0, s0
	v_ashrrev_i32_e32 v17, 31, v11
	s_xor_b64 s[22:23], s[22:23], s[20:21]
	s_delay_alu instid0(SALU_CYCLE_1) | instskip(SKIP_3) | instid1(VALU_DEP_1)
	v_cvt_f32_u32_e32 v3, s22
	v_cvt_f32_u32_e32 v5, s23
	s_sub_u32 s0, 0, s22
	s_subb_u32 s17, 0, s23
	v_fmac_f32_e32 v3, 0x4f800000, v5
	s_delay_alu instid0(VALU_DEP_1) | instskip(SKIP_2) | instid1(VALU_DEP_1)
	v_rcp_f32_e32 v3, v3
	s_waitcnt_depctr 0xfff
	v_mul_f32_e32 v3, 0x5f7ffffc, v3
	v_mul_f32_e32 v5, 0x2f800000, v3
	s_delay_alu instid0(VALU_DEP_1) | instskip(NEXT) | instid1(VALU_DEP_1)
	v_trunc_f32_e32 v5, v5
	v_fmac_f32_e32 v3, 0xcf800000, v5
	v_cvt_u32_f32_e32 v5, v5
	s_delay_alu instid0(VALU_DEP_2) | instskip(NEXT) | instid1(VALU_DEP_2)
	v_cvt_u32_f32_e32 v3, v3
	v_mul_lo_u32 v7, s0, v5
	s_delay_alu instid0(VALU_DEP_2) | instskip(SKIP_1) | instid1(VALU_DEP_2)
	v_mul_hi_u32 v9, s0, v3
	v_mul_lo_u32 v12, s17, v3
	v_add_nc_u32_e32 v7, v9, v7
	v_mul_lo_u32 v9, s0, v3
	s_delay_alu instid0(VALU_DEP_2) | instskip(NEXT) | instid1(VALU_DEP_2)
	v_add_nc_u32_e32 v7, v7, v12
	v_mul_hi_u32 v12, v3, v9
	s_delay_alu instid0(VALU_DEP_2)
	v_mul_lo_u32 v13, v3, v7
	v_mul_hi_u32 v14, v3, v7
	v_mul_hi_u32 v15, v5, v9
	v_mul_lo_u32 v9, v5, v9
	v_mul_hi_u32 v16, v5, v7
	v_mul_lo_u32 v7, v5, v7
	v_add_co_u32 v12, vcc_lo, v12, v13
	v_add_co_ci_u32_e32 v13, vcc_lo, 0, v14, vcc_lo
	s_delay_alu instid0(VALU_DEP_2) | instskip(NEXT) | instid1(VALU_DEP_2)
	v_add_co_u32 v9, vcc_lo, v12, v9
	v_add_co_ci_u32_e32 v9, vcc_lo, v13, v15, vcc_lo
	v_add_co_ci_u32_e32 v12, vcc_lo, 0, v16, vcc_lo
	s_delay_alu instid0(VALU_DEP_2) | instskip(NEXT) | instid1(VALU_DEP_2)
	v_add_co_u32 v7, vcc_lo, v9, v7
	v_add_co_ci_u32_e32 v9, vcc_lo, 0, v12, vcc_lo
	s_delay_alu instid0(VALU_DEP_2) | instskip(NEXT) | instid1(VALU_DEP_2)
	v_add_co_u32 v3, vcc_lo, v3, v7
	v_add_co_ci_u32_e32 v5, vcc_lo, v5, v9, vcc_lo
	s_delay_alu instid0(VALU_DEP_2) | instskip(SKIP_1) | instid1(VALU_DEP_3)
	v_mul_hi_u32 v7, s0, v3
	v_mul_lo_u32 v12, s17, v3
	v_mul_lo_u32 v9, s0, v5
	s_delay_alu instid0(VALU_DEP_1) | instskip(SKIP_1) | instid1(VALU_DEP_2)
	v_add_nc_u32_e32 v7, v7, v9
	v_mul_lo_u32 v9, s0, v3
	v_add_nc_u32_e32 v7, v7, v12
	s_delay_alu instid0(VALU_DEP_2) | instskip(NEXT) | instid1(VALU_DEP_2)
	v_mul_hi_u32 v12, v3, v9
	v_mul_lo_u32 v13, v3, v7
	v_mul_hi_u32 v14, v3, v7
	v_mul_hi_u32 v15, v5, v9
	v_mul_lo_u32 v9, v5, v9
	v_mul_hi_u32 v16, v5, v7
	v_mul_lo_u32 v7, v5, v7
	v_add_co_u32 v12, vcc_lo, v12, v13
	v_add_co_ci_u32_e32 v13, vcc_lo, 0, v14, vcc_lo
	s_delay_alu instid0(VALU_DEP_2) | instskip(NEXT) | instid1(VALU_DEP_2)
	v_add_co_u32 v9, vcc_lo, v12, v9
	v_add_co_ci_u32_e32 v9, vcc_lo, v13, v15, vcc_lo
	v_add_co_ci_u32_e32 v12, vcc_lo, 0, v16, vcc_lo
	v_add_co_u32 v13, vcc_lo, v10, v17
	v_add_co_ci_u32_e32 v11, vcc_lo, v11, v17, vcc_lo
	s_delay_alu instid0(VALU_DEP_4) | instskip(NEXT) | instid1(VALU_DEP_4)
	v_add_co_u32 v7, vcc_lo, v9, v7
	v_add_co_ci_u32_e32 v9, vcc_lo, 0, v12, vcc_lo
	s_delay_alu instid0(VALU_DEP_4) | instskip(NEXT) | instid1(VALU_DEP_3)
	v_xor_b32_e32 v18, v13, v17
	v_add_co_u32 v3, vcc_lo, v3, v7
	s_delay_alu instid0(VALU_DEP_3) | instskip(SKIP_1) | instid1(VALU_DEP_3)
	v_add_co_ci_u32_e32 v5, vcc_lo, v5, v9, vcc_lo
	v_xor_b32_e32 v7, v11, v17
	v_mul_hi_u32 v9, v18, v3
	s_delay_alu instid0(VALU_DEP_3) | instskip(NEXT) | instid1(VALU_DEP_3)
	v_mad_u64_u32 v[11:12], null, v18, v5, 0
	v_mad_u64_u32 v[13:14], null, v7, v3, 0
	;; [unrolled: 1-line block ×3, first 2 shown]
	s_delay_alu instid0(VALU_DEP_3) | instskip(NEXT) | instid1(VALU_DEP_4)
	v_add_co_u32 v3, vcc_lo, v9, v11
	v_add_co_ci_u32_e32 v5, vcc_lo, 0, v12, vcc_lo
	s_delay_alu instid0(VALU_DEP_2) | instskip(NEXT) | instid1(VALU_DEP_2)
	v_add_co_u32 v3, vcc_lo, v3, v13
	v_add_co_ci_u32_e32 v3, vcc_lo, v5, v14, vcc_lo
	v_add_co_ci_u32_e32 v5, vcc_lo, 0, v16, vcc_lo
	s_delay_alu instid0(VALU_DEP_2) | instskip(NEXT) | instid1(VALU_DEP_2)
	v_add_co_u32 v3, vcc_lo, v3, v15
	v_add_co_ci_u32_e32 v5, vcc_lo, 0, v5, vcc_lo
	s_delay_alu instid0(VALU_DEP_2) | instskip(SKIP_1) | instid1(VALU_DEP_3)
	v_mul_lo_u32 v9, s23, v3
	v_mad_u64_u32 v[11:12], null, s22, v3, 0
	v_mul_lo_u32 v13, s22, v5
	s_delay_alu instid0(VALU_DEP_2) | instskip(NEXT) | instid1(VALU_DEP_2)
	v_sub_co_u32 v11, vcc_lo, v18, v11
	v_add3_u32 v9, v12, v13, v9
	s_delay_alu instid0(VALU_DEP_1) | instskip(NEXT) | instid1(VALU_DEP_1)
	v_sub_nc_u32_e32 v12, v7, v9
	v_subrev_co_ci_u32_e64 v12, s0, s23, v12, vcc_lo
	v_add_co_u32 v13, s0, v3, 2
	s_delay_alu instid0(VALU_DEP_1) | instskip(SKIP_3) | instid1(VALU_DEP_3)
	v_add_co_ci_u32_e64 v14, s0, 0, v5, s0
	v_sub_co_u32 v15, s0, v11, s22
	v_sub_co_ci_u32_e32 v7, vcc_lo, v7, v9, vcc_lo
	v_subrev_co_ci_u32_e64 v12, s0, 0, v12, s0
	v_cmp_le_u32_e32 vcc_lo, s22, v15
	s_delay_alu instid0(VALU_DEP_3) | instskip(SKIP_1) | instid1(VALU_DEP_4)
	v_cmp_eq_u32_e64 s0, s23, v7
	v_cndmask_b32_e64 v9, 0, -1, vcc_lo
	v_cmp_le_u32_e32 vcc_lo, s23, v12
	v_cndmask_b32_e64 v15, 0, -1, vcc_lo
	v_cmp_le_u32_e32 vcc_lo, s22, v11
	;; [unrolled: 2-line block ×3, first 2 shown]
	v_cndmask_b32_e64 v16, 0, -1, vcc_lo
	v_cmp_eq_u32_e32 vcc_lo, s23, v12
	s_delay_alu instid0(VALU_DEP_2) | instskip(SKIP_3) | instid1(VALU_DEP_3)
	v_cndmask_b32_e64 v7, v16, v11, s0
	v_cndmask_b32_e32 v9, v15, v9, vcc_lo
	v_add_co_u32 v12, vcc_lo, v3, 1
	v_add_co_ci_u32_e32 v15, vcc_lo, 0, v5, vcc_lo
	v_cmp_ne_u32_e32 vcc_lo, 0, v9
	s_delay_alu instid0(VALU_DEP_2) | instskip(NEXT) | instid1(VALU_DEP_4)
	v_cndmask_b32_e32 v9, v15, v14, vcc_lo
	v_cndmask_b32_e32 v11, v12, v13, vcc_lo
	v_cmp_ne_u32_e32 vcc_lo, 0, v7
	v_xor_b32_e32 v7, s20, v17
	s_delay_alu instid0(VALU_DEP_3) | instskip(SKIP_2) | instid1(VALU_DEP_3)
	v_cndmask_b32_e32 v3, v3, v11, vcc_lo
	v_cndmask_b32_e32 v5, v5, v9, vcc_lo
	v_xor_b32_e32 v9, s21, v17
	v_xor_b32_e32 v3, v3, v7
	s_delay_alu instid0(VALU_DEP_2) | instskip(NEXT) | instid1(VALU_DEP_2)
	v_xor_b32_e32 v5, v5, v9
	v_sub_co_u32 v12, vcc_lo, v3, v7
	s_delay_alu instid0(VALU_DEP_2)
	v_sub_co_ci_u32_e32 v13, vcc_lo, v5, v9, vcc_lo
.LBB56_34:                              ;   in Loop: Header=BB56_24 Depth=2
	s_and_not1_saveexec_b32 s0, s14
	s_cbranch_execz .LBB56_36
; %bb.35:                               ;   in Loop: Header=BB56_24 Depth=2
	v_cvt_f32_u32_e32 v3, s45
	s_sub_i32 s14, 0, s45
	v_mov_b32_e32 v13, v2
	s_delay_alu instid0(VALU_DEP_2) | instskip(SKIP_2) | instid1(VALU_DEP_1)
	v_rcp_iflag_f32_e32 v3, v3
	s_waitcnt_depctr 0xfff
	v_mul_f32_e32 v3, 0x4f7ffffe, v3
	v_cvt_u32_f32_e32 v3, v3
	s_delay_alu instid0(VALU_DEP_1) | instskip(NEXT) | instid1(VALU_DEP_1)
	v_mul_lo_u32 v5, s14, v3
	v_mul_hi_u32 v5, v3, v5
	s_delay_alu instid0(VALU_DEP_1) | instskip(NEXT) | instid1(VALU_DEP_1)
	v_add_nc_u32_e32 v3, v3, v5
	v_mul_hi_u32 v3, v10, v3
	s_delay_alu instid0(VALU_DEP_1) | instskip(SKIP_1) | instid1(VALU_DEP_2)
	v_mul_lo_u32 v5, v3, s45
	v_add_nc_u32_e32 v7, 1, v3
	v_sub_nc_u32_e32 v5, v10, v5
	s_delay_alu instid0(VALU_DEP_1) | instskip(SKIP_1) | instid1(VALU_DEP_4)
	v_cmp_le_u32_e32 vcc_lo, s45, v5
	v_subrev_nc_u32_e32 v9, s45, v5
	v_cndmask_b32_e32 v3, v3, v7, vcc_lo
	s_delay_alu instid0(VALU_DEP_1) | instskip(NEXT) | instid1(VALU_DEP_3)
	v_add_nc_u32_e32 v7, 1, v3
	v_cndmask_b32_e32 v5, v5, v9, vcc_lo
	s_delay_alu instid0(VALU_DEP_1) | instskip(NEXT) | instid1(VALU_DEP_3)
	v_cmp_le_u32_e32 vcc_lo, s45, v5
	v_cndmask_b32_e32 v12, v3, v7, vcc_lo
.LBB56_36:                              ;   in Loop: Header=BB56_24 Depth=2
	s_or_b32 exec_lo, exec_lo, s0
	s_add_u32 s20, s30, s18
	s_addc_u32 s21, s1, s19
	s_add_i32 s14, s16, 4
                                        ; implicit-def: $vgpr14_vgpr15
	s_delay_alu instid0(SALU_CYCLE_1)
	s_lshl_b64 s[18:19], s[14:15], 2
	s_mov_b32 s14, exec_lo
	s_add_u32 s22, s26, s18
	s_addc_u32 s23, s27, s19
	s_clause 0x1
	s_load_b32 s47, s[22:23], 0x0
	s_load_b32 s46, s[20:21], 0x0
	s_waitcnt lgkmcnt(0)
	s_ashr_i32 s0, s47, 31
	s_delay_alu instid0(SALU_CYCLE_1) | instskip(NEXT) | instid1(VALU_DEP_1)
	v_or_b32_e32 v3, s0, v13
	v_cmpx_ne_u64_e32 0, v[2:3]
	s_xor_b32 s14, exec_lo, s14
	s_cbranch_execz .LBB56_38
; %bb.37:                               ;   in Loop: Header=BB56_24 Depth=2
	s_add_u32 s22, s47, s0
	s_mov_b32 s20, s0
	s_mov_b32 s21, s0
	s_addc_u32 s23, s0, s0
	v_ashrrev_i32_e32 v19, 31, v13
	s_xor_b64 s[22:23], s[22:23], s[20:21]
	s_delay_alu instid0(SALU_CYCLE_1) | instskip(SKIP_3) | instid1(VALU_DEP_1)
	v_cvt_f32_u32_e32 v3, s22
	v_cvt_f32_u32_e32 v5, s23
	s_sub_u32 s0, 0, s22
	s_subb_u32 s17, 0, s23
	v_fmac_f32_e32 v3, 0x4f800000, v5
	s_delay_alu instid0(VALU_DEP_1) | instskip(SKIP_2) | instid1(VALU_DEP_1)
	v_rcp_f32_e32 v3, v3
	s_waitcnt_depctr 0xfff
	v_mul_f32_e32 v3, 0x5f7ffffc, v3
	v_mul_f32_e32 v5, 0x2f800000, v3
	s_delay_alu instid0(VALU_DEP_1) | instskip(NEXT) | instid1(VALU_DEP_1)
	v_trunc_f32_e32 v5, v5
	v_fmac_f32_e32 v3, 0xcf800000, v5
	v_cvt_u32_f32_e32 v5, v5
	s_delay_alu instid0(VALU_DEP_2) | instskip(NEXT) | instid1(VALU_DEP_2)
	v_cvt_u32_f32_e32 v3, v3
	v_mul_lo_u32 v7, s0, v5
	s_delay_alu instid0(VALU_DEP_2) | instskip(SKIP_1) | instid1(VALU_DEP_2)
	v_mul_hi_u32 v9, s0, v3
	v_mul_lo_u32 v11, s17, v3
	v_add_nc_u32_e32 v7, v9, v7
	v_mul_lo_u32 v9, s0, v3
	s_delay_alu instid0(VALU_DEP_2) | instskip(NEXT) | instid1(VALU_DEP_2)
	v_add_nc_u32_e32 v7, v7, v11
	v_mul_hi_u32 v11, v3, v9
	s_delay_alu instid0(VALU_DEP_2)
	v_mul_lo_u32 v14, v3, v7
	v_mul_hi_u32 v15, v3, v7
	v_mul_hi_u32 v16, v5, v9
	v_mul_lo_u32 v9, v5, v9
	v_mul_hi_u32 v17, v5, v7
	v_mul_lo_u32 v7, v5, v7
	v_add_co_u32 v11, vcc_lo, v11, v14
	v_add_co_ci_u32_e32 v14, vcc_lo, 0, v15, vcc_lo
	s_delay_alu instid0(VALU_DEP_2) | instskip(NEXT) | instid1(VALU_DEP_2)
	v_add_co_u32 v9, vcc_lo, v11, v9
	v_add_co_ci_u32_e32 v9, vcc_lo, v14, v16, vcc_lo
	v_add_co_ci_u32_e32 v11, vcc_lo, 0, v17, vcc_lo
	s_delay_alu instid0(VALU_DEP_2) | instskip(NEXT) | instid1(VALU_DEP_2)
	v_add_co_u32 v7, vcc_lo, v9, v7
	v_add_co_ci_u32_e32 v9, vcc_lo, 0, v11, vcc_lo
	s_delay_alu instid0(VALU_DEP_2) | instskip(NEXT) | instid1(VALU_DEP_2)
	v_add_co_u32 v3, vcc_lo, v3, v7
	v_add_co_ci_u32_e32 v5, vcc_lo, v5, v9, vcc_lo
	s_delay_alu instid0(VALU_DEP_2) | instskip(SKIP_1) | instid1(VALU_DEP_3)
	v_mul_hi_u32 v7, s0, v3
	v_mul_lo_u32 v11, s17, v3
	v_mul_lo_u32 v9, s0, v5
	s_delay_alu instid0(VALU_DEP_1) | instskip(SKIP_1) | instid1(VALU_DEP_2)
	v_add_nc_u32_e32 v7, v7, v9
	v_mul_lo_u32 v9, s0, v3
	v_add_nc_u32_e32 v7, v7, v11
	s_delay_alu instid0(VALU_DEP_2) | instskip(NEXT) | instid1(VALU_DEP_2)
	v_mul_hi_u32 v11, v3, v9
	v_mul_lo_u32 v14, v3, v7
	v_mul_hi_u32 v15, v3, v7
	v_mul_hi_u32 v16, v5, v9
	v_mul_lo_u32 v9, v5, v9
	v_mul_hi_u32 v17, v5, v7
	v_mul_lo_u32 v7, v5, v7
	v_add_co_u32 v11, vcc_lo, v11, v14
	v_add_co_ci_u32_e32 v14, vcc_lo, 0, v15, vcc_lo
	s_delay_alu instid0(VALU_DEP_2) | instskip(NEXT) | instid1(VALU_DEP_2)
	v_add_co_u32 v9, vcc_lo, v11, v9
	v_add_co_ci_u32_e32 v9, vcc_lo, v14, v16, vcc_lo
	v_add_co_ci_u32_e32 v11, vcc_lo, 0, v17, vcc_lo
	v_add_co_u32 v14, vcc_lo, v12, v19
	v_add_co_ci_u32_e32 v13, vcc_lo, v13, v19, vcc_lo
	s_delay_alu instid0(VALU_DEP_4) | instskip(NEXT) | instid1(VALU_DEP_4)
	v_add_co_u32 v7, vcc_lo, v9, v7
	v_add_co_ci_u32_e32 v9, vcc_lo, 0, v11, vcc_lo
	s_delay_alu instid0(VALU_DEP_4) | instskip(NEXT) | instid1(VALU_DEP_3)
	v_xor_b32_e32 v11, v14, v19
	v_add_co_u32 v3, vcc_lo, v3, v7
	s_delay_alu instid0(VALU_DEP_3) | instskip(SKIP_1) | instid1(VALU_DEP_3)
	v_add_co_ci_u32_e32 v5, vcc_lo, v5, v9, vcc_lo
	v_xor_b32_e32 v7, v13, v19
	v_mul_hi_u32 v9, v11, v3
	s_delay_alu instid0(VALU_DEP_3) | instskip(NEXT) | instid1(VALU_DEP_3)
	v_mad_u64_u32 v[13:14], null, v11, v5, 0
	v_mad_u64_u32 v[15:16], null, v7, v3, 0
	;; [unrolled: 1-line block ×3, first 2 shown]
	s_delay_alu instid0(VALU_DEP_3) | instskip(NEXT) | instid1(VALU_DEP_4)
	v_add_co_u32 v3, vcc_lo, v9, v13
	v_add_co_ci_u32_e32 v5, vcc_lo, 0, v14, vcc_lo
	s_delay_alu instid0(VALU_DEP_2) | instskip(NEXT) | instid1(VALU_DEP_2)
	v_add_co_u32 v3, vcc_lo, v3, v15
	v_add_co_ci_u32_e32 v3, vcc_lo, v5, v16, vcc_lo
	v_add_co_ci_u32_e32 v5, vcc_lo, 0, v18, vcc_lo
	s_delay_alu instid0(VALU_DEP_2) | instskip(NEXT) | instid1(VALU_DEP_2)
	v_add_co_u32 v3, vcc_lo, v3, v17
	v_add_co_ci_u32_e32 v5, vcc_lo, 0, v5, vcc_lo
	s_delay_alu instid0(VALU_DEP_2) | instskip(SKIP_1) | instid1(VALU_DEP_3)
	v_mul_lo_u32 v9, s23, v3
	v_mad_u64_u32 v[13:14], null, s22, v3, 0
	v_mul_lo_u32 v15, s22, v5
	s_delay_alu instid0(VALU_DEP_2) | instskip(NEXT) | instid1(VALU_DEP_2)
	v_sub_co_u32 v11, vcc_lo, v11, v13
	v_add3_u32 v9, v14, v15, v9
	s_delay_alu instid0(VALU_DEP_1) | instskip(NEXT) | instid1(VALU_DEP_1)
	v_sub_nc_u32_e32 v14, v7, v9
	v_subrev_co_ci_u32_e64 v13, s0, s23, v14, vcc_lo
	v_add_co_u32 v14, s0, v3, 2
	s_delay_alu instid0(VALU_DEP_1) | instskip(SKIP_3) | instid1(VALU_DEP_3)
	v_add_co_ci_u32_e64 v15, s0, 0, v5, s0
	v_sub_co_u32 v16, s0, v11, s22
	v_sub_co_ci_u32_e32 v7, vcc_lo, v7, v9, vcc_lo
	v_subrev_co_ci_u32_e64 v13, s0, 0, v13, s0
	v_cmp_le_u32_e32 vcc_lo, s22, v16
	s_delay_alu instid0(VALU_DEP_3) | instskip(SKIP_1) | instid1(VALU_DEP_4)
	v_cmp_eq_u32_e64 s0, s23, v7
	v_cndmask_b32_e64 v9, 0, -1, vcc_lo
	v_cmp_le_u32_e32 vcc_lo, s23, v13
	v_cndmask_b32_e64 v16, 0, -1, vcc_lo
	v_cmp_le_u32_e32 vcc_lo, s22, v11
	;; [unrolled: 2-line block ×3, first 2 shown]
	v_cndmask_b32_e64 v17, 0, -1, vcc_lo
	v_cmp_eq_u32_e32 vcc_lo, s23, v13
	s_delay_alu instid0(VALU_DEP_2) | instskip(SKIP_3) | instid1(VALU_DEP_3)
	v_cndmask_b32_e64 v7, v17, v11, s0
	v_cndmask_b32_e32 v9, v16, v9, vcc_lo
	v_add_co_u32 v13, vcc_lo, v3, 1
	v_add_co_ci_u32_e32 v16, vcc_lo, 0, v5, vcc_lo
	v_cmp_ne_u32_e32 vcc_lo, 0, v9
	s_delay_alu instid0(VALU_DEP_2) | instskip(NEXT) | instid1(VALU_DEP_4)
	v_cndmask_b32_e32 v9, v16, v15, vcc_lo
	v_cndmask_b32_e32 v11, v13, v14, vcc_lo
	v_cmp_ne_u32_e32 vcc_lo, 0, v7
	v_xor_b32_e32 v7, s20, v19
	s_delay_alu instid0(VALU_DEP_3) | instskip(SKIP_2) | instid1(VALU_DEP_3)
	v_cndmask_b32_e32 v3, v3, v11, vcc_lo
	v_cndmask_b32_e32 v5, v5, v9, vcc_lo
	v_xor_b32_e32 v9, s21, v19
	v_xor_b32_e32 v3, v3, v7
	s_delay_alu instid0(VALU_DEP_2) | instskip(NEXT) | instid1(VALU_DEP_2)
	v_xor_b32_e32 v5, v5, v9
	v_sub_co_u32 v14, vcc_lo, v3, v7
	s_delay_alu instid0(VALU_DEP_2)
	v_sub_co_ci_u32_e32 v15, vcc_lo, v5, v9, vcc_lo
.LBB56_38:                              ;   in Loop: Header=BB56_24 Depth=2
	s_and_not1_saveexec_b32 s0, s14
	s_cbranch_execz .LBB56_40
; %bb.39:                               ;   in Loop: Header=BB56_24 Depth=2
	v_cvt_f32_u32_e32 v3, s47
	s_sub_i32 s14, 0, s47
	v_mov_b32_e32 v15, v2
	s_delay_alu instid0(VALU_DEP_2) | instskip(SKIP_2) | instid1(VALU_DEP_1)
	v_rcp_iflag_f32_e32 v3, v3
	s_waitcnt_depctr 0xfff
	v_mul_f32_e32 v3, 0x4f7ffffe, v3
	v_cvt_u32_f32_e32 v3, v3
	s_delay_alu instid0(VALU_DEP_1) | instskip(NEXT) | instid1(VALU_DEP_1)
	v_mul_lo_u32 v5, s14, v3
	v_mul_hi_u32 v5, v3, v5
	s_delay_alu instid0(VALU_DEP_1) | instskip(NEXT) | instid1(VALU_DEP_1)
	v_add_nc_u32_e32 v3, v3, v5
	v_mul_hi_u32 v3, v12, v3
	s_delay_alu instid0(VALU_DEP_1) | instskip(SKIP_1) | instid1(VALU_DEP_2)
	v_mul_lo_u32 v5, v3, s47
	v_add_nc_u32_e32 v7, 1, v3
	v_sub_nc_u32_e32 v5, v12, v5
	s_delay_alu instid0(VALU_DEP_1) | instskip(SKIP_1) | instid1(VALU_DEP_4)
	v_cmp_le_u32_e32 vcc_lo, s47, v5
	v_subrev_nc_u32_e32 v9, s47, v5
	v_cndmask_b32_e32 v3, v3, v7, vcc_lo
	s_delay_alu instid0(VALU_DEP_1) | instskip(NEXT) | instid1(VALU_DEP_3)
	v_add_nc_u32_e32 v7, 1, v3
	v_cndmask_b32_e32 v5, v5, v9, vcc_lo
	s_delay_alu instid0(VALU_DEP_1) | instskip(NEXT) | instid1(VALU_DEP_3)
	v_cmp_le_u32_e32 vcc_lo, s47, v5
	v_cndmask_b32_e32 v14, v3, v7, vcc_lo
.LBB56_40:                              ;   in Loop: Header=BB56_24 Depth=2
	s_or_b32 exec_lo, exec_lo, s0
	s_add_u32 s20, s30, s18
	s_addc_u32 s21, s1, s19
	s_add_i32 s14, s16, 3
                                        ; implicit-def: $vgpr16_vgpr17
	s_delay_alu instid0(SALU_CYCLE_1)
	s_lshl_b64 s[18:19], s[14:15], 2
	s_mov_b32 s14, exec_lo
	s_add_u32 s22, s26, s18
	s_addc_u32 s23, s27, s19
	s_clause 0x1
	s_load_b32 s49, s[22:23], 0x0
	s_load_b32 s48, s[20:21], 0x0
	s_waitcnt lgkmcnt(0)
	s_ashr_i32 s0, s49, 31
	s_delay_alu instid0(SALU_CYCLE_1) | instskip(NEXT) | instid1(VALU_DEP_1)
	v_or_b32_e32 v3, s0, v15
	v_cmpx_ne_u64_e32 0, v[2:3]
	s_xor_b32 s14, exec_lo, s14
	s_cbranch_execz .LBB56_42
; %bb.41:                               ;   in Loop: Header=BB56_24 Depth=2
	s_add_u32 s22, s49, s0
	s_mov_b32 s20, s0
	s_mov_b32 s21, s0
	s_addc_u32 s23, s0, s0
	v_ashrrev_i32_e32 v21, 31, v15
	s_xor_b64 s[22:23], s[22:23], s[20:21]
	s_delay_alu instid0(SALU_CYCLE_1) | instskip(SKIP_3) | instid1(VALU_DEP_1)
	v_cvt_f32_u32_e32 v3, s22
	v_cvt_f32_u32_e32 v5, s23
	s_sub_u32 s0, 0, s22
	s_subb_u32 s17, 0, s23
	v_fmac_f32_e32 v3, 0x4f800000, v5
	s_delay_alu instid0(VALU_DEP_1) | instskip(SKIP_2) | instid1(VALU_DEP_1)
	v_rcp_f32_e32 v3, v3
	s_waitcnt_depctr 0xfff
	v_mul_f32_e32 v3, 0x5f7ffffc, v3
	v_mul_f32_e32 v5, 0x2f800000, v3
	s_delay_alu instid0(VALU_DEP_1) | instskip(NEXT) | instid1(VALU_DEP_1)
	v_trunc_f32_e32 v5, v5
	v_fmac_f32_e32 v3, 0xcf800000, v5
	v_cvt_u32_f32_e32 v5, v5
	s_delay_alu instid0(VALU_DEP_2) | instskip(NEXT) | instid1(VALU_DEP_2)
	v_cvt_u32_f32_e32 v3, v3
	v_mul_lo_u32 v7, s0, v5
	s_delay_alu instid0(VALU_DEP_2) | instskip(SKIP_1) | instid1(VALU_DEP_2)
	v_mul_hi_u32 v9, s0, v3
	v_mul_lo_u32 v11, s17, v3
	v_add_nc_u32_e32 v7, v9, v7
	v_mul_lo_u32 v9, s0, v3
	s_delay_alu instid0(VALU_DEP_2) | instskip(NEXT) | instid1(VALU_DEP_2)
	v_add_nc_u32_e32 v7, v7, v11
	v_mul_hi_u32 v11, v3, v9
	s_delay_alu instid0(VALU_DEP_2)
	v_mul_lo_u32 v13, v3, v7
	v_mul_hi_u32 v16, v3, v7
	v_mul_hi_u32 v17, v5, v9
	v_mul_lo_u32 v9, v5, v9
	v_mul_hi_u32 v18, v5, v7
	v_mul_lo_u32 v7, v5, v7
	v_add_co_u32 v11, vcc_lo, v11, v13
	v_add_co_ci_u32_e32 v13, vcc_lo, 0, v16, vcc_lo
	s_delay_alu instid0(VALU_DEP_2) | instskip(NEXT) | instid1(VALU_DEP_2)
	v_add_co_u32 v9, vcc_lo, v11, v9
	v_add_co_ci_u32_e32 v9, vcc_lo, v13, v17, vcc_lo
	v_add_co_ci_u32_e32 v11, vcc_lo, 0, v18, vcc_lo
	s_delay_alu instid0(VALU_DEP_2) | instskip(NEXT) | instid1(VALU_DEP_2)
	v_add_co_u32 v7, vcc_lo, v9, v7
	v_add_co_ci_u32_e32 v9, vcc_lo, 0, v11, vcc_lo
	s_delay_alu instid0(VALU_DEP_2) | instskip(NEXT) | instid1(VALU_DEP_2)
	v_add_co_u32 v3, vcc_lo, v3, v7
	v_add_co_ci_u32_e32 v5, vcc_lo, v5, v9, vcc_lo
	s_delay_alu instid0(VALU_DEP_2) | instskip(SKIP_1) | instid1(VALU_DEP_3)
	v_mul_hi_u32 v7, s0, v3
	v_mul_lo_u32 v11, s17, v3
	v_mul_lo_u32 v9, s0, v5
	s_delay_alu instid0(VALU_DEP_1) | instskip(SKIP_1) | instid1(VALU_DEP_2)
	v_add_nc_u32_e32 v7, v7, v9
	v_mul_lo_u32 v9, s0, v3
	v_add_nc_u32_e32 v7, v7, v11
	s_delay_alu instid0(VALU_DEP_2) | instskip(NEXT) | instid1(VALU_DEP_2)
	v_mul_hi_u32 v11, v3, v9
	v_mul_lo_u32 v13, v3, v7
	v_mul_hi_u32 v16, v3, v7
	v_mul_hi_u32 v17, v5, v9
	v_mul_lo_u32 v9, v5, v9
	v_mul_hi_u32 v18, v5, v7
	v_mul_lo_u32 v7, v5, v7
	v_add_co_u32 v11, vcc_lo, v11, v13
	v_add_co_ci_u32_e32 v13, vcc_lo, 0, v16, vcc_lo
	s_delay_alu instid0(VALU_DEP_2) | instskip(NEXT) | instid1(VALU_DEP_2)
	v_add_co_u32 v9, vcc_lo, v11, v9
	v_add_co_ci_u32_e32 v9, vcc_lo, v13, v17, vcc_lo
	v_add_co_ci_u32_e32 v11, vcc_lo, 0, v18, vcc_lo
	v_add_co_u32 v13, vcc_lo, v14, v21
	v_add_co_ci_u32_e32 v15, vcc_lo, v15, v21, vcc_lo
	s_delay_alu instid0(VALU_DEP_4) | instskip(NEXT) | instid1(VALU_DEP_4)
	v_add_co_u32 v7, vcc_lo, v9, v7
	v_add_co_ci_u32_e32 v9, vcc_lo, 0, v11, vcc_lo
	s_delay_alu instid0(VALU_DEP_4) | instskip(NEXT) | instid1(VALU_DEP_3)
	v_xor_b32_e32 v11, v13, v21
	v_add_co_u32 v3, vcc_lo, v3, v7
	s_delay_alu instid0(VALU_DEP_3) | instskip(SKIP_1) | instid1(VALU_DEP_3)
	v_add_co_ci_u32_e32 v5, vcc_lo, v5, v9, vcc_lo
	v_xor_b32_e32 v7, v15, v21
	v_mul_hi_u32 v9, v11, v3
	s_delay_alu instid0(VALU_DEP_3) | instskip(NEXT) | instid1(VALU_DEP_3)
	v_mad_u64_u32 v[15:16], null, v11, v5, 0
	v_mad_u64_u32 v[17:18], null, v7, v3, 0
	;; [unrolled: 1-line block ×3, first 2 shown]
	s_delay_alu instid0(VALU_DEP_3) | instskip(NEXT) | instid1(VALU_DEP_4)
	v_add_co_u32 v3, vcc_lo, v9, v15
	v_add_co_ci_u32_e32 v5, vcc_lo, 0, v16, vcc_lo
	s_delay_alu instid0(VALU_DEP_2) | instskip(NEXT) | instid1(VALU_DEP_2)
	v_add_co_u32 v3, vcc_lo, v3, v17
	v_add_co_ci_u32_e32 v3, vcc_lo, v5, v18, vcc_lo
	v_add_co_ci_u32_e32 v5, vcc_lo, 0, v20, vcc_lo
	s_delay_alu instid0(VALU_DEP_2) | instskip(NEXT) | instid1(VALU_DEP_2)
	v_add_co_u32 v3, vcc_lo, v3, v19
	v_add_co_ci_u32_e32 v5, vcc_lo, 0, v5, vcc_lo
	s_delay_alu instid0(VALU_DEP_2) | instskip(SKIP_1) | instid1(VALU_DEP_3)
	v_mul_lo_u32 v9, s23, v3
	v_mad_u64_u32 v[15:16], null, s22, v3, 0
	v_mul_lo_u32 v13, s22, v5
	s_delay_alu instid0(VALU_DEP_2) | instskip(NEXT) | instid1(VALU_DEP_2)
	v_sub_co_u32 v11, vcc_lo, v11, v15
	v_add3_u32 v9, v16, v13, v9
	s_delay_alu instid0(VALU_DEP_1) | instskip(NEXT) | instid1(VALU_DEP_1)
	v_sub_nc_u32_e32 v13, v7, v9
	v_subrev_co_ci_u32_e64 v13, s0, s23, v13, vcc_lo
	v_add_co_u32 v15, s0, v3, 2
	s_delay_alu instid0(VALU_DEP_1) | instskip(SKIP_3) | instid1(VALU_DEP_3)
	v_add_co_ci_u32_e64 v16, s0, 0, v5, s0
	v_sub_co_u32 v17, s0, v11, s22
	v_sub_co_ci_u32_e32 v7, vcc_lo, v7, v9, vcc_lo
	v_subrev_co_ci_u32_e64 v13, s0, 0, v13, s0
	v_cmp_le_u32_e32 vcc_lo, s22, v17
	s_delay_alu instid0(VALU_DEP_3) | instskip(SKIP_1) | instid1(VALU_DEP_4)
	v_cmp_eq_u32_e64 s0, s23, v7
	v_cndmask_b32_e64 v9, 0, -1, vcc_lo
	v_cmp_le_u32_e32 vcc_lo, s23, v13
	v_cndmask_b32_e64 v17, 0, -1, vcc_lo
	v_cmp_le_u32_e32 vcc_lo, s22, v11
	;; [unrolled: 2-line block ×3, first 2 shown]
	v_cndmask_b32_e64 v18, 0, -1, vcc_lo
	v_cmp_eq_u32_e32 vcc_lo, s23, v13
	s_delay_alu instid0(VALU_DEP_2) | instskip(SKIP_3) | instid1(VALU_DEP_3)
	v_cndmask_b32_e64 v7, v18, v11, s0
	v_cndmask_b32_e32 v9, v17, v9, vcc_lo
	v_add_co_u32 v13, vcc_lo, v3, 1
	v_add_co_ci_u32_e32 v17, vcc_lo, 0, v5, vcc_lo
	v_cmp_ne_u32_e32 vcc_lo, 0, v9
	s_delay_alu instid0(VALU_DEP_2) | instskip(NEXT) | instid1(VALU_DEP_4)
	v_cndmask_b32_e32 v9, v17, v16, vcc_lo
	v_cndmask_b32_e32 v11, v13, v15, vcc_lo
	v_cmp_ne_u32_e32 vcc_lo, 0, v7
	v_xor_b32_e32 v7, s20, v21
	s_delay_alu instid0(VALU_DEP_3) | instskip(SKIP_2) | instid1(VALU_DEP_3)
	v_cndmask_b32_e32 v3, v3, v11, vcc_lo
	v_cndmask_b32_e32 v5, v5, v9, vcc_lo
	v_xor_b32_e32 v9, s21, v21
	v_xor_b32_e32 v3, v3, v7
	s_delay_alu instid0(VALU_DEP_2) | instskip(NEXT) | instid1(VALU_DEP_2)
	v_xor_b32_e32 v5, v5, v9
	v_sub_co_u32 v16, vcc_lo, v3, v7
	s_delay_alu instid0(VALU_DEP_2)
	v_sub_co_ci_u32_e32 v17, vcc_lo, v5, v9, vcc_lo
.LBB56_42:                              ;   in Loop: Header=BB56_24 Depth=2
	s_and_not1_saveexec_b32 s0, s14
	s_cbranch_execz .LBB56_44
; %bb.43:                               ;   in Loop: Header=BB56_24 Depth=2
	v_cvt_f32_u32_e32 v3, s49
	s_sub_i32 s14, 0, s49
	v_mov_b32_e32 v17, v2
	s_delay_alu instid0(VALU_DEP_2) | instskip(SKIP_2) | instid1(VALU_DEP_1)
	v_rcp_iflag_f32_e32 v3, v3
	s_waitcnt_depctr 0xfff
	v_mul_f32_e32 v3, 0x4f7ffffe, v3
	v_cvt_u32_f32_e32 v3, v3
	s_delay_alu instid0(VALU_DEP_1) | instskip(NEXT) | instid1(VALU_DEP_1)
	v_mul_lo_u32 v5, s14, v3
	v_mul_hi_u32 v5, v3, v5
	s_delay_alu instid0(VALU_DEP_1) | instskip(NEXT) | instid1(VALU_DEP_1)
	v_add_nc_u32_e32 v3, v3, v5
	v_mul_hi_u32 v3, v14, v3
	s_delay_alu instid0(VALU_DEP_1) | instskip(SKIP_1) | instid1(VALU_DEP_2)
	v_mul_lo_u32 v5, v3, s49
	v_add_nc_u32_e32 v7, 1, v3
	v_sub_nc_u32_e32 v5, v14, v5
	s_delay_alu instid0(VALU_DEP_1) | instskip(SKIP_1) | instid1(VALU_DEP_4)
	v_cmp_le_u32_e32 vcc_lo, s49, v5
	v_subrev_nc_u32_e32 v9, s49, v5
	v_cndmask_b32_e32 v3, v3, v7, vcc_lo
	s_delay_alu instid0(VALU_DEP_1) | instskip(NEXT) | instid1(VALU_DEP_3)
	v_add_nc_u32_e32 v7, 1, v3
	v_cndmask_b32_e32 v5, v5, v9, vcc_lo
	s_delay_alu instid0(VALU_DEP_1) | instskip(NEXT) | instid1(VALU_DEP_3)
	v_cmp_le_u32_e32 vcc_lo, s49, v5
	v_cndmask_b32_e32 v16, v3, v7, vcc_lo
.LBB56_44:                              ;   in Loop: Header=BB56_24 Depth=2
	s_or_b32 exec_lo, exec_lo, s0
	s_add_u32 s20, s30, s18
	s_addc_u32 s21, s1, s19
	s_add_i32 s14, s16, 2
                                        ; implicit-def: $vgpr18_vgpr19
	s_delay_alu instid0(SALU_CYCLE_1)
	s_lshl_b64 s[18:19], s[14:15], 2
	s_mov_b32 s14, exec_lo
	s_add_u32 s22, s26, s18
	s_addc_u32 s23, s27, s19
	s_clause 0x1
	s_load_b32 s51, s[22:23], 0x0
	s_load_b32 s50, s[20:21], 0x0
	s_waitcnt lgkmcnt(0)
	s_ashr_i32 s0, s51, 31
	s_delay_alu instid0(SALU_CYCLE_1) | instskip(NEXT) | instid1(VALU_DEP_1)
	v_or_b32_e32 v3, s0, v17
	v_cmpx_ne_u64_e32 0, v[2:3]
	s_xor_b32 s14, exec_lo, s14
	s_cbranch_execz .LBB56_46
; %bb.45:                               ;   in Loop: Header=BB56_24 Depth=2
	s_add_u32 s22, s51, s0
	s_mov_b32 s20, s0
	s_mov_b32 s21, s0
	s_addc_u32 s23, s0, s0
	v_ashrrev_i32_e32 v23, 31, v17
	s_xor_b64 s[22:23], s[22:23], s[20:21]
	s_delay_alu instid0(SALU_CYCLE_1) | instskip(SKIP_3) | instid1(VALU_DEP_1)
	v_cvt_f32_u32_e32 v3, s22
	v_cvt_f32_u32_e32 v5, s23
	s_sub_u32 s0, 0, s22
	s_subb_u32 s17, 0, s23
	v_fmac_f32_e32 v3, 0x4f800000, v5
	s_delay_alu instid0(VALU_DEP_1) | instskip(SKIP_2) | instid1(VALU_DEP_1)
	v_rcp_f32_e32 v3, v3
	s_waitcnt_depctr 0xfff
	v_mul_f32_e32 v3, 0x5f7ffffc, v3
	v_mul_f32_e32 v5, 0x2f800000, v3
	s_delay_alu instid0(VALU_DEP_1) | instskip(NEXT) | instid1(VALU_DEP_1)
	v_trunc_f32_e32 v5, v5
	v_fmac_f32_e32 v3, 0xcf800000, v5
	v_cvt_u32_f32_e32 v5, v5
	s_delay_alu instid0(VALU_DEP_2) | instskip(NEXT) | instid1(VALU_DEP_2)
	v_cvt_u32_f32_e32 v3, v3
	v_mul_lo_u32 v7, s0, v5
	s_delay_alu instid0(VALU_DEP_2) | instskip(SKIP_1) | instid1(VALU_DEP_2)
	v_mul_hi_u32 v9, s0, v3
	v_mul_lo_u32 v11, s17, v3
	v_add_nc_u32_e32 v7, v9, v7
	v_mul_lo_u32 v9, s0, v3
	s_delay_alu instid0(VALU_DEP_2) | instskip(NEXT) | instid1(VALU_DEP_2)
	v_add_nc_u32_e32 v7, v7, v11
	v_mul_hi_u32 v11, v3, v9
	s_delay_alu instid0(VALU_DEP_2)
	v_mul_lo_u32 v13, v3, v7
	v_mul_hi_u32 v15, v3, v7
	v_mul_hi_u32 v18, v5, v9
	v_mul_lo_u32 v9, v5, v9
	v_mul_hi_u32 v19, v5, v7
	v_mul_lo_u32 v7, v5, v7
	v_add_co_u32 v11, vcc_lo, v11, v13
	v_add_co_ci_u32_e32 v13, vcc_lo, 0, v15, vcc_lo
	s_delay_alu instid0(VALU_DEP_2) | instskip(NEXT) | instid1(VALU_DEP_2)
	v_add_co_u32 v9, vcc_lo, v11, v9
	v_add_co_ci_u32_e32 v9, vcc_lo, v13, v18, vcc_lo
	v_add_co_ci_u32_e32 v11, vcc_lo, 0, v19, vcc_lo
	s_delay_alu instid0(VALU_DEP_2) | instskip(NEXT) | instid1(VALU_DEP_2)
	v_add_co_u32 v7, vcc_lo, v9, v7
	v_add_co_ci_u32_e32 v9, vcc_lo, 0, v11, vcc_lo
	s_delay_alu instid0(VALU_DEP_2) | instskip(NEXT) | instid1(VALU_DEP_2)
	v_add_co_u32 v3, vcc_lo, v3, v7
	v_add_co_ci_u32_e32 v5, vcc_lo, v5, v9, vcc_lo
	s_delay_alu instid0(VALU_DEP_2) | instskip(SKIP_1) | instid1(VALU_DEP_3)
	v_mul_hi_u32 v7, s0, v3
	v_mul_lo_u32 v11, s17, v3
	v_mul_lo_u32 v9, s0, v5
	s_delay_alu instid0(VALU_DEP_1) | instskip(SKIP_1) | instid1(VALU_DEP_2)
	v_add_nc_u32_e32 v7, v7, v9
	v_mul_lo_u32 v9, s0, v3
	v_add_nc_u32_e32 v7, v7, v11
	s_delay_alu instid0(VALU_DEP_2) | instskip(NEXT) | instid1(VALU_DEP_2)
	v_mul_hi_u32 v11, v3, v9
	v_mul_lo_u32 v13, v3, v7
	v_mul_hi_u32 v15, v3, v7
	v_mul_hi_u32 v18, v5, v9
	v_mul_lo_u32 v9, v5, v9
	v_mul_hi_u32 v19, v5, v7
	v_mul_lo_u32 v7, v5, v7
	v_add_co_u32 v11, vcc_lo, v11, v13
	v_add_co_ci_u32_e32 v13, vcc_lo, 0, v15, vcc_lo
	s_delay_alu instid0(VALU_DEP_2) | instskip(NEXT) | instid1(VALU_DEP_2)
	v_add_co_u32 v9, vcc_lo, v11, v9
	v_add_co_ci_u32_e32 v9, vcc_lo, v13, v18, vcc_lo
	v_add_co_ci_u32_e32 v11, vcc_lo, 0, v19, vcc_lo
	v_add_co_u32 v13, vcc_lo, v16, v23
	v_add_co_ci_u32_e32 v15, vcc_lo, v17, v23, vcc_lo
	s_delay_alu instid0(VALU_DEP_4) | instskip(NEXT) | instid1(VALU_DEP_4)
	v_add_co_u32 v7, vcc_lo, v9, v7
	v_add_co_ci_u32_e32 v9, vcc_lo, 0, v11, vcc_lo
	s_delay_alu instid0(VALU_DEP_4) | instskip(NEXT) | instid1(VALU_DEP_3)
	v_xor_b32_e32 v11, v13, v23
	v_add_co_u32 v3, vcc_lo, v3, v7
	s_delay_alu instid0(VALU_DEP_3) | instskip(SKIP_1) | instid1(VALU_DEP_3)
	v_add_co_ci_u32_e32 v5, vcc_lo, v5, v9, vcc_lo
	v_xor_b32_e32 v7, v15, v23
	v_mul_hi_u32 v9, v11, v3
	s_delay_alu instid0(VALU_DEP_3) | instskip(NEXT) | instid1(VALU_DEP_3)
	v_mad_u64_u32 v[17:18], null, v11, v5, 0
	v_mad_u64_u32 v[19:20], null, v7, v3, 0
	;; [unrolled: 1-line block ×3, first 2 shown]
	s_delay_alu instid0(VALU_DEP_3) | instskip(NEXT) | instid1(VALU_DEP_4)
	v_add_co_u32 v3, vcc_lo, v9, v17
	v_add_co_ci_u32_e32 v5, vcc_lo, 0, v18, vcc_lo
	s_delay_alu instid0(VALU_DEP_2) | instskip(NEXT) | instid1(VALU_DEP_2)
	v_add_co_u32 v3, vcc_lo, v3, v19
	v_add_co_ci_u32_e32 v3, vcc_lo, v5, v20, vcc_lo
	v_add_co_ci_u32_e32 v5, vcc_lo, 0, v22, vcc_lo
	s_delay_alu instid0(VALU_DEP_2) | instskip(NEXT) | instid1(VALU_DEP_2)
	v_add_co_u32 v3, vcc_lo, v3, v21
	v_add_co_ci_u32_e32 v5, vcc_lo, 0, v5, vcc_lo
	s_delay_alu instid0(VALU_DEP_2) | instskip(SKIP_1) | instid1(VALU_DEP_3)
	v_mul_lo_u32 v9, s23, v3
	v_mad_u64_u32 v[17:18], null, s22, v3, 0
	v_mul_lo_u32 v13, s22, v5
	s_delay_alu instid0(VALU_DEP_2) | instskip(NEXT) | instid1(VALU_DEP_2)
	v_sub_co_u32 v11, vcc_lo, v11, v17
	v_add3_u32 v9, v18, v13, v9
	s_delay_alu instid0(VALU_DEP_1) | instskip(NEXT) | instid1(VALU_DEP_1)
	v_sub_nc_u32_e32 v13, v7, v9
	v_subrev_co_ci_u32_e64 v13, s0, s23, v13, vcc_lo
	v_add_co_u32 v15, s0, v3, 2
	s_delay_alu instid0(VALU_DEP_1) | instskip(SKIP_3) | instid1(VALU_DEP_3)
	v_add_co_ci_u32_e64 v17, s0, 0, v5, s0
	v_sub_co_u32 v18, s0, v11, s22
	v_sub_co_ci_u32_e32 v7, vcc_lo, v7, v9, vcc_lo
	v_subrev_co_ci_u32_e64 v13, s0, 0, v13, s0
	v_cmp_le_u32_e32 vcc_lo, s22, v18
	s_delay_alu instid0(VALU_DEP_3) | instskip(SKIP_1) | instid1(VALU_DEP_4)
	v_cmp_eq_u32_e64 s0, s23, v7
	v_cndmask_b32_e64 v9, 0, -1, vcc_lo
	v_cmp_le_u32_e32 vcc_lo, s23, v13
	v_cndmask_b32_e64 v18, 0, -1, vcc_lo
	v_cmp_le_u32_e32 vcc_lo, s22, v11
	;; [unrolled: 2-line block ×3, first 2 shown]
	v_cndmask_b32_e64 v19, 0, -1, vcc_lo
	v_cmp_eq_u32_e32 vcc_lo, s23, v13
	s_delay_alu instid0(VALU_DEP_2) | instskip(SKIP_3) | instid1(VALU_DEP_3)
	v_cndmask_b32_e64 v7, v19, v11, s0
	v_cndmask_b32_e32 v9, v18, v9, vcc_lo
	v_add_co_u32 v13, vcc_lo, v3, 1
	v_add_co_ci_u32_e32 v18, vcc_lo, 0, v5, vcc_lo
	v_cmp_ne_u32_e32 vcc_lo, 0, v9
	s_delay_alu instid0(VALU_DEP_2) | instskip(NEXT) | instid1(VALU_DEP_4)
	v_cndmask_b32_e32 v9, v18, v17, vcc_lo
	v_cndmask_b32_e32 v11, v13, v15, vcc_lo
	v_cmp_ne_u32_e32 vcc_lo, 0, v7
	v_xor_b32_e32 v7, s20, v23
	s_delay_alu instid0(VALU_DEP_3) | instskip(SKIP_2) | instid1(VALU_DEP_3)
	v_cndmask_b32_e32 v3, v3, v11, vcc_lo
	v_cndmask_b32_e32 v5, v5, v9, vcc_lo
	v_xor_b32_e32 v9, s21, v23
	v_xor_b32_e32 v3, v3, v7
	s_delay_alu instid0(VALU_DEP_2) | instskip(NEXT) | instid1(VALU_DEP_2)
	v_xor_b32_e32 v5, v5, v9
	v_sub_co_u32 v18, vcc_lo, v3, v7
	s_delay_alu instid0(VALU_DEP_2)
	v_sub_co_ci_u32_e32 v19, vcc_lo, v5, v9, vcc_lo
.LBB56_46:                              ;   in Loop: Header=BB56_24 Depth=2
	s_and_not1_saveexec_b32 s0, s14
	s_cbranch_execz .LBB56_48
; %bb.47:                               ;   in Loop: Header=BB56_24 Depth=2
	v_cvt_f32_u32_e32 v3, s51
	s_sub_i32 s14, 0, s51
	v_mov_b32_e32 v19, v2
	s_delay_alu instid0(VALU_DEP_2) | instskip(SKIP_2) | instid1(VALU_DEP_1)
	v_rcp_iflag_f32_e32 v3, v3
	s_waitcnt_depctr 0xfff
	v_mul_f32_e32 v3, 0x4f7ffffe, v3
	v_cvt_u32_f32_e32 v3, v3
	s_delay_alu instid0(VALU_DEP_1) | instskip(NEXT) | instid1(VALU_DEP_1)
	v_mul_lo_u32 v5, s14, v3
	v_mul_hi_u32 v5, v3, v5
	s_delay_alu instid0(VALU_DEP_1) | instskip(NEXT) | instid1(VALU_DEP_1)
	v_add_nc_u32_e32 v3, v3, v5
	v_mul_hi_u32 v3, v16, v3
	s_delay_alu instid0(VALU_DEP_1) | instskip(SKIP_1) | instid1(VALU_DEP_2)
	v_mul_lo_u32 v5, v3, s51
	v_add_nc_u32_e32 v7, 1, v3
	v_sub_nc_u32_e32 v5, v16, v5
	s_delay_alu instid0(VALU_DEP_1) | instskip(SKIP_1) | instid1(VALU_DEP_4)
	v_cmp_le_u32_e32 vcc_lo, s51, v5
	v_subrev_nc_u32_e32 v9, s51, v5
	v_cndmask_b32_e32 v3, v3, v7, vcc_lo
	s_delay_alu instid0(VALU_DEP_1) | instskip(NEXT) | instid1(VALU_DEP_3)
	v_add_nc_u32_e32 v7, 1, v3
	v_cndmask_b32_e32 v5, v5, v9, vcc_lo
	s_delay_alu instid0(VALU_DEP_1) | instskip(NEXT) | instid1(VALU_DEP_3)
	v_cmp_le_u32_e32 vcc_lo, s51, v5
	v_cndmask_b32_e32 v18, v3, v7, vcc_lo
.LBB56_48:                              ;   in Loop: Header=BB56_24 Depth=2
	s_or_b32 exec_lo, exec_lo, s0
	s_add_u32 s20, s30, s18
	s_addc_u32 s21, s1, s19
	s_add_i32 s14, s16, 1
	s_mov_b32 s17, exec_lo
	s_lshl_b64 s[18:19], s[14:15], 2
                                        ; implicit-def: $vgpr20_vgpr21
	s_delay_alu instid0(SALU_CYCLE_1)
	s_add_u32 s22, s26, s18
	s_addc_u32 s23, s27, s19
	s_clause 0x1
	s_load_b32 s52, s[22:23], 0x0
	s_load_b32 s14, s[20:21], 0x0
	s_waitcnt lgkmcnt(0)
	s_ashr_i32 s0, s52, 31
	s_delay_alu instid0(SALU_CYCLE_1) | instskip(NEXT) | instid1(VALU_DEP_1)
	v_or_b32_e32 v3, s0, v19
	v_cmpx_ne_u64_e32 0, v[2:3]
	s_xor_b32 s17, exec_lo, s17
	s_cbranch_execz .LBB56_50
; %bb.49:                               ;   in Loop: Header=BB56_24 Depth=2
	s_add_u32 s22, s52, s0
	s_mov_b32 s20, s0
	s_mov_b32 s21, s0
	s_addc_u32 s23, s0, s0
	s_delay_alu instid0(SALU_CYCLE_1) | instskip(NEXT) | instid1(SALU_CYCLE_1)
	s_xor_b64 s[22:23], s[22:23], s[20:21]
	v_cvt_f32_u32_e32 v3, s22
	v_cvt_f32_u32_e32 v5, s23
	s_sub_u32 s0, 0, s22
	s_subb_u32 s53, 0, s23
	s_delay_alu instid0(VALU_DEP_1) | instskip(NEXT) | instid1(VALU_DEP_1)
	v_fmac_f32_e32 v3, 0x4f800000, v5
	v_rcp_f32_e32 v3, v3
	s_waitcnt_depctr 0xfff
	v_mul_f32_e32 v3, 0x5f7ffffc, v3
	s_delay_alu instid0(VALU_DEP_1) | instskip(NEXT) | instid1(VALU_DEP_1)
	v_mul_f32_e32 v5, 0x2f800000, v3
	v_trunc_f32_e32 v5, v5
	s_delay_alu instid0(VALU_DEP_1) | instskip(SKIP_1) | instid1(VALU_DEP_2)
	v_fmac_f32_e32 v3, 0xcf800000, v5
	v_cvt_u32_f32_e32 v5, v5
	v_cvt_u32_f32_e32 v3, v3
	s_delay_alu instid0(VALU_DEP_2) | instskip(NEXT) | instid1(VALU_DEP_2)
	v_mul_lo_u32 v7, s0, v5
	v_mul_hi_u32 v9, s0, v3
	v_mul_lo_u32 v11, s53, v3
	s_delay_alu instid0(VALU_DEP_2) | instskip(SKIP_1) | instid1(VALU_DEP_2)
	v_add_nc_u32_e32 v7, v9, v7
	v_mul_lo_u32 v9, s0, v3
	v_add_nc_u32_e32 v7, v7, v11
	s_delay_alu instid0(VALU_DEP_2) | instskip(NEXT) | instid1(VALU_DEP_2)
	v_mul_hi_u32 v11, v3, v9
	v_mul_lo_u32 v13, v3, v7
	v_mul_hi_u32 v15, v3, v7
	v_mul_hi_u32 v17, v5, v9
	v_mul_lo_u32 v9, v5, v9
	v_mul_hi_u32 v20, v5, v7
	v_mul_lo_u32 v7, v5, v7
	v_add_co_u32 v11, vcc_lo, v11, v13
	v_add_co_ci_u32_e32 v13, vcc_lo, 0, v15, vcc_lo
	s_delay_alu instid0(VALU_DEP_2) | instskip(NEXT) | instid1(VALU_DEP_2)
	v_add_co_u32 v9, vcc_lo, v11, v9
	v_add_co_ci_u32_e32 v9, vcc_lo, v13, v17, vcc_lo
	v_add_co_ci_u32_e32 v11, vcc_lo, 0, v20, vcc_lo
	v_ashrrev_i32_e32 v17, 31, v19
	s_delay_alu instid0(VALU_DEP_3) | instskip(NEXT) | instid1(VALU_DEP_3)
	v_add_co_u32 v7, vcc_lo, v9, v7
	v_add_co_ci_u32_e32 v9, vcc_lo, 0, v11, vcc_lo
	s_delay_alu instid0(VALU_DEP_2) | instskip(NEXT) | instid1(VALU_DEP_2)
	v_add_co_u32 v3, vcc_lo, v3, v7
	v_add_co_ci_u32_e32 v5, vcc_lo, v5, v9, vcc_lo
	s_delay_alu instid0(VALU_DEP_2) | instskip(SKIP_1) | instid1(VALU_DEP_3)
	v_mul_hi_u32 v7, s0, v3
	v_mul_lo_u32 v11, s53, v3
	v_mul_lo_u32 v9, s0, v5
	s_delay_alu instid0(VALU_DEP_1) | instskip(SKIP_1) | instid1(VALU_DEP_2)
	v_add_nc_u32_e32 v7, v7, v9
	v_mul_lo_u32 v9, s0, v3
	v_add_nc_u32_e32 v7, v7, v11
	s_delay_alu instid0(VALU_DEP_2) | instskip(NEXT) | instid1(VALU_DEP_2)
	v_mul_hi_u32 v11, v3, v9
	v_mul_lo_u32 v13, v3, v7
	v_mul_hi_u32 v15, v3, v7
	v_mul_hi_u32 v20, v5, v9
	v_mul_lo_u32 v9, v5, v9
	v_mul_hi_u32 v21, v5, v7
	v_mul_lo_u32 v7, v5, v7
	v_add_co_u32 v11, vcc_lo, v11, v13
	v_add_co_ci_u32_e32 v13, vcc_lo, 0, v15, vcc_lo
	s_delay_alu instid0(VALU_DEP_2) | instskip(NEXT) | instid1(VALU_DEP_2)
	v_add_co_u32 v9, vcc_lo, v11, v9
	v_add_co_ci_u32_e32 v9, vcc_lo, v13, v20, vcc_lo
	v_add_co_ci_u32_e32 v11, vcc_lo, 0, v21, vcc_lo
	v_add_co_u32 v13, vcc_lo, v18, v17
	v_add_co_ci_u32_e32 v15, vcc_lo, v19, v17, vcc_lo
	s_delay_alu instid0(VALU_DEP_4) | instskip(NEXT) | instid1(VALU_DEP_4)
	v_add_co_u32 v7, vcc_lo, v9, v7
	v_add_co_ci_u32_e32 v9, vcc_lo, 0, v11, vcc_lo
	s_delay_alu instid0(VALU_DEP_4) | instskip(NEXT) | instid1(VALU_DEP_3)
	v_xor_b32_e32 v11, v13, v17
	v_add_co_u32 v3, vcc_lo, v3, v7
	s_delay_alu instid0(VALU_DEP_3) | instskip(SKIP_1) | instid1(VALU_DEP_3)
	v_add_co_ci_u32_e32 v5, vcc_lo, v5, v9, vcc_lo
	v_xor_b32_e32 v7, v15, v17
	v_mul_hi_u32 v9, v11, v3
	s_delay_alu instid0(VALU_DEP_3) | instskip(NEXT) | instid1(VALU_DEP_3)
	v_mad_u64_u32 v[19:20], null, v11, v5, 0
	v_mad_u64_u32 v[21:22], null, v7, v3, 0
	;; [unrolled: 1-line block ×3, first 2 shown]
	s_delay_alu instid0(VALU_DEP_3) | instskip(NEXT) | instid1(VALU_DEP_4)
	v_add_co_u32 v3, vcc_lo, v9, v19
	v_add_co_ci_u32_e32 v5, vcc_lo, 0, v20, vcc_lo
	s_delay_alu instid0(VALU_DEP_2) | instskip(NEXT) | instid1(VALU_DEP_2)
	v_add_co_u32 v3, vcc_lo, v3, v21
	v_add_co_ci_u32_e32 v3, vcc_lo, v5, v22, vcc_lo
	v_add_co_ci_u32_e32 v5, vcc_lo, 0, v28, vcc_lo
	s_delay_alu instid0(VALU_DEP_2) | instskip(NEXT) | instid1(VALU_DEP_2)
	v_add_co_u32 v3, vcc_lo, v3, v27
	v_add_co_ci_u32_e32 v5, vcc_lo, 0, v5, vcc_lo
	s_delay_alu instid0(VALU_DEP_2) | instskip(SKIP_1) | instid1(VALU_DEP_3)
	v_mul_lo_u32 v9, s23, v3
	v_mad_u64_u32 v[19:20], null, s22, v3, 0
	v_mul_lo_u32 v13, s22, v5
	s_delay_alu instid0(VALU_DEP_2) | instskip(NEXT) | instid1(VALU_DEP_2)
	v_sub_co_u32 v11, vcc_lo, v11, v19
	v_add3_u32 v9, v20, v13, v9
	s_delay_alu instid0(VALU_DEP_1) | instskip(NEXT) | instid1(VALU_DEP_1)
	v_sub_nc_u32_e32 v13, v7, v9
	v_subrev_co_ci_u32_e64 v13, s0, s23, v13, vcc_lo
	v_add_co_u32 v15, s0, v3, 2
	s_delay_alu instid0(VALU_DEP_1) | instskip(SKIP_3) | instid1(VALU_DEP_3)
	v_add_co_ci_u32_e64 v19, s0, 0, v5, s0
	v_sub_co_u32 v20, s0, v11, s22
	v_sub_co_ci_u32_e32 v7, vcc_lo, v7, v9, vcc_lo
	v_subrev_co_ci_u32_e64 v13, s0, 0, v13, s0
	v_cmp_le_u32_e32 vcc_lo, s22, v20
	s_delay_alu instid0(VALU_DEP_3) | instskip(SKIP_1) | instid1(VALU_DEP_4)
	v_cmp_eq_u32_e64 s0, s23, v7
	v_cndmask_b32_e64 v9, 0, -1, vcc_lo
	v_cmp_le_u32_e32 vcc_lo, s23, v13
	v_cndmask_b32_e64 v20, 0, -1, vcc_lo
	v_cmp_le_u32_e32 vcc_lo, s22, v11
	;; [unrolled: 2-line block ×3, first 2 shown]
	v_cndmask_b32_e64 v21, 0, -1, vcc_lo
	v_cmp_eq_u32_e32 vcc_lo, s23, v13
	s_delay_alu instid0(VALU_DEP_2) | instskip(SKIP_3) | instid1(VALU_DEP_3)
	v_cndmask_b32_e64 v7, v21, v11, s0
	v_cndmask_b32_e32 v9, v20, v9, vcc_lo
	v_add_co_u32 v13, vcc_lo, v3, 1
	v_add_co_ci_u32_e32 v20, vcc_lo, 0, v5, vcc_lo
	v_cmp_ne_u32_e32 vcc_lo, 0, v9
	s_delay_alu instid0(VALU_DEP_2) | instskip(NEXT) | instid1(VALU_DEP_4)
	v_cndmask_b32_e32 v9, v20, v19, vcc_lo
	v_cndmask_b32_e32 v11, v13, v15, vcc_lo
	v_cmp_ne_u32_e32 vcc_lo, 0, v7
	v_xor_b32_e32 v7, s20, v17
	s_delay_alu instid0(VALU_DEP_3) | instskip(SKIP_2) | instid1(VALU_DEP_3)
	v_cndmask_b32_e32 v3, v3, v11, vcc_lo
	v_cndmask_b32_e32 v5, v5, v9, vcc_lo
	v_xor_b32_e32 v9, s21, v17
	v_xor_b32_e32 v3, v3, v7
	s_delay_alu instid0(VALU_DEP_2) | instskip(NEXT) | instid1(VALU_DEP_2)
	v_xor_b32_e32 v5, v5, v9
	v_sub_co_u32 v20, vcc_lo, v3, v7
	s_delay_alu instid0(VALU_DEP_2)
	v_sub_co_ci_u32_e32 v21, vcc_lo, v5, v9, vcc_lo
.LBB56_50:                              ;   in Loop: Header=BB56_24 Depth=2
	s_and_not1_saveexec_b32 s0, s17
	s_cbranch_execz .LBB56_52
; %bb.51:                               ;   in Loop: Header=BB56_24 Depth=2
	v_cvt_f32_u32_e32 v3, s52
	s_sub_i32 s17, 0, s52
	v_mov_b32_e32 v21, v2
	s_delay_alu instid0(VALU_DEP_2) | instskip(SKIP_2) | instid1(VALU_DEP_1)
	v_rcp_iflag_f32_e32 v3, v3
	s_waitcnt_depctr 0xfff
	v_mul_f32_e32 v3, 0x4f7ffffe, v3
	v_cvt_u32_f32_e32 v3, v3
	s_delay_alu instid0(VALU_DEP_1) | instskip(NEXT) | instid1(VALU_DEP_1)
	v_mul_lo_u32 v5, s17, v3
	v_mul_hi_u32 v5, v3, v5
	s_delay_alu instid0(VALU_DEP_1) | instskip(NEXT) | instid1(VALU_DEP_1)
	v_add_nc_u32_e32 v3, v3, v5
	v_mul_hi_u32 v3, v18, v3
	s_delay_alu instid0(VALU_DEP_1) | instskip(SKIP_1) | instid1(VALU_DEP_2)
	v_mul_lo_u32 v5, v3, s52
	v_add_nc_u32_e32 v7, 1, v3
	v_sub_nc_u32_e32 v5, v18, v5
	s_delay_alu instid0(VALU_DEP_1) | instskip(SKIP_1) | instid1(VALU_DEP_4)
	v_cmp_le_u32_e32 vcc_lo, s52, v5
	v_subrev_nc_u32_e32 v9, s52, v5
	v_cndmask_b32_e32 v3, v3, v7, vcc_lo
	s_delay_alu instid0(VALU_DEP_1) | instskip(NEXT) | instid1(VALU_DEP_3)
	v_add_nc_u32_e32 v7, 1, v3
	v_cndmask_b32_e32 v5, v5, v9, vcc_lo
	s_delay_alu instid0(VALU_DEP_1) | instskip(NEXT) | instid1(VALU_DEP_3)
	v_cmp_le_u32_e32 vcc_lo, s52, v5
	v_cndmask_b32_e32 v20, v3, v7, vcc_lo
.LBB56_52:                              ;   in Loop: Header=BB56_24 Depth=2
	s_or_b32 exec_lo, exec_lo, s0
	s_mov_b32 s17, s15
	s_add_u32 s20, s30, s18
	s_addc_u32 s21, s1, s19
	s_lshl_b64 s[18:19], s[16:17], 2
                                        ; implicit-def: $vgpr22_vgpr23
	s_delay_alu instid0(SALU_CYCLE_1)
	s_add_u32 s22, s26, s18
	s_addc_u32 s23, s27, s19
	s_clause 0x1
	s_load_b32 s53, s[22:23], 0x0
	s_load_b32 s17, s[20:21], 0x0
	s_mov_b32 s20, exec_lo
	s_waitcnt lgkmcnt(0)
	s_ashr_i32 s0, s53, 31
	s_delay_alu instid0(SALU_CYCLE_1) | instskip(NEXT) | instid1(VALU_DEP_1)
	v_or_b32_e32 v3, s0, v21
	v_cmpx_ne_u64_e32 0, v[2:3]
	s_xor_b32 s54, exec_lo, s20
	s_cbranch_execz .LBB56_54
; %bb.53:                               ;   in Loop: Header=BB56_24 Depth=2
	s_add_u32 s22, s53, s0
	s_mov_b32 s20, s0
	s_mov_b32 s21, s0
	s_addc_u32 s23, s0, s0
	s_delay_alu instid0(SALU_CYCLE_1) | instskip(NEXT) | instid1(SALU_CYCLE_1)
	s_xor_b64 s[22:23], s[22:23], s[20:21]
	v_cvt_f32_u32_e32 v3, s22
	v_cvt_f32_u32_e32 v5, s23
	s_sub_u32 s0, 0, s22
	s_subb_u32 s55, 0, s23
	s_delay_alu instid0(VALU_DEP_1) | instskip(NEXT) | instid1(VALU_DEP_1)
	v_fmac_f32_e32 v3, 0x4f800000, v5
	v_rcp_f32_e32 v3, v3
	s_waitcnt_depctr 0xfff
	v_mul_f32_e32 v3, 0x5f7ffffc, v3
	s_delay_alu instid0(VALU_DEP_1) | instskip(NEXT) | instid1(VALU_DEP_1)
	v_mul_f32_e32 v5, 0x2f800000, v3
	v_trunc_f32_e32 v5, v5
	s_delay_alu instid0(VALU_DEP_1) | instskip(SKIP_1) | instid1(VALU_DEP_2)
	v_fmac_f32_e32 v3, 0xcf800000, v5
	v_cvt_u32_f32_e32 v5, v5
	v_cvt_u32_f32_e32 v3, v3
	s_delay_alu instid0(VALU_DEP_2) | instskip(NEXT) | instid1(VALU_DEP_2)
	v_mul_lo_u32 v7, s0, v5
	v_mul_hi_u32 v9, s0, v3
	v_mul_lo_u32 v11, s55, v3
	s_delay_alu instid0(VALU_DEP_2) | instskip(SKIP_1) | instid1(VALU_DEP_2)
	v_add_nc_u32_e32 v7, v9, v7
	v_mul_lo_u32 v9, s0, v3
	v_add_nc_u32_e32 v7, v7, v11
	s_delay_alu instid0(VALU_DEP_2) | instskip(NEXT) | instid1(VALU_DEP_2)
	v_mul_hi_u32 v11, v3, v9
	v_mul_lo_u32 v13, v3, v7
	v_mul_hi_u32 v15, v3, v7
	v_mul_hi_u32 v17, v5, v9
	v_mul_lo_u32 v9, v5, v9
	v_mul_hi_u32 v19, v5, v7
	v_mul_lo_u32 v7, v5, v7
	v_add_co_u32 v11, vcc_lo, v11, v13
	v_add_co_ci_u32_e32 v13, vcc_lo, 0, v15, vcc_lo
	s_delay_alu instid0(VALU_DEP_2) | instskip(NEXT) | instid1(VALU_DEP_2)
	v_add_co_u32 v9, vcc_lo, v11, v9
	v_add_co_ci_u32_e32 v9, vcc_lo, v13, v17, vcc_lo
	v_add_co_ci_u32_e32 v11, vcc_lo, 0, v19, vcc_lo
	v_ashrrev_i32_e32 v17, 31, v21
	s_delay_alu instid0(VALU_DEP_3) | instskip(NEXT) | instid1(VALU_DEP_3)
	v_add_co_u32 v7, vcc_lo, v9, v7
	v_add_co_ci_u32_e32 v9, vcc_lo, 0, v11, vcc_lo
	s_delay_alu instid0(VALU_DEP_2) | instskip(NEXT) | instid1(VALU_DEP_2)
	v_add_co_u32 v3, vcc_lo, v3, v7
	v_add_co_ci_u32_e32 v5, vcc_lo, v5, v9, vcc_lo
	s_delay_alu instid0(VALU_DEP_2) | instskip(SKIP_1) | instid1(VALU_DEP_3)
	v_mul_hi_u32 v7, s0, v3
	v_mul_lo_u32 v11, s55, v3
	v_mul_lo_u32 v9, s0, v5
	s_delay_alu instid0(VALU_DEP_1) | instskip(SKIP_1) | instid1(VALU_DEP_2)
	v_add_nc_u32_e32 v7, v7, v9
	v_mul_lo_u32 v9, s0, v3
	v_add_nc_u32_e32 v7, v7, v11
	s_delay_alu instid0(VALU_DEP_2) | instskip(NEXT) | instid1(VALU_DEP_2)
	v_mul_hi_u32 v11, v3, v9
	v_mul_lo_u32 v13, v3, v7
	v_mul_hi_u32 v15, v3, v7
	v_mul_hi_u32 v19, v5, v9
	v_mul_lo_u32 v9, v5, v9
	v_mul_hi_u32 v22, v5, v7
	v_mul_lo_u32 v7, v5, v7
	v_add_co_u32 v11, vcc_lo, v11, v13
	v_add_co_ci_u32_e32 v13, vcc_lo, 0, v15, vcc_lo
	s_delay_alu instid0(VALU_DEP_2) | instskip(NEXT) | instid1(VALU_DEP_2)
	v_add_co_u32 v9, vcc_lo, v11, v9
	v_add_co_ci_u32_e32 v9, vcc_lo, v13, v19, vcc_lo
	v_add_co_ci_u32_e32 v11, vcc_lo, 0, v22, vcc_lo
	v_add_co_u32 v13, vcc_lo, v20, v17
	v_add_co_ci_u32_e32 v15, vcc_lo, v21, v17, vcc_lo
	s_delay_alu instid0(VALU_DEP_4) | instskip(NEXT) | instid1(VALU_DEP_4)
	v_add_co_u32 v7, vcc_lo, v9, v7
	v_add_co_ci_u32_e32 v9, vcc_lo, 0, v11, vcc_lo
	s_delay_alu instid0(VALU_DEP_4) | instskip(NEXT) | instid1(VALU_DEP_3)
	v_xor_b32_e32 v11, v13, v17
	v_add_co_u32 v3, vcc_lo, v3, v7
	s_delay_alu instid0(VALU_DEP_3) | instskip(SKIP_1) | instid1(VALU_DEP_3)
	v_add_co_ci_u32_e32 v5, vcc_lo, v5, v9, vcc_lo
	v_xor_b32_e32 v7, v15, v17
	v_mul_hi_u32 v9, v11, v3
	s_delay_alu instid0(VALU_DEP_3) | instskip(NEXT) | instid1(VALU_DEP_3)
	v_mad_u64_u32 v[21:22], null, v11, v5, 0
	v_mad_u64_u32 v[27:28], null, v7, v3, 0
	;; [unrolled: 1-line block ×3, first 2 shown]
	s_delay_alu instid0(VALU_DEP_3) | instskip(NEXT) | instid1(VALU_DEP_4)
	v_add_co_u32 v3, vcc_lo, v9, v21
	v_add_co_ci_u32_e32 v5, vcc_lo, 0, v22, vcc_lo
	s_delay_alu instid0(VALU_DEP_2) | instskip(NEXT) | instid1(VALU_DEP_2)
	v_add_co_u32 v3, vcc_lo, v3, v27
	v_add_co_ci_u32_e32 v3, vcc_lo, v5, v28, vcc_lo
	v_add_co_ci_u32_e32 v5, vcc_lo, 0, v30, vcc_lo
	s_delay_alu instid0(VALU_DEP_2) | instskip(NEXT) | instid1(VALU_DEP_2)
	v_add_co_u32 v3, vcc_lo, v3, v29
	v_add_co_ci_u32_e32 v5, vcc_lo, 0, v5, vcc_lo
	s_delay_alu instid0(VALU_DEP_2) | instskip(SKIP_1) | instid1(VALU_DEP_3)
	v_mul_lo_u32 v9, s23, v3
	v_mad_u64_u32 v[21:22], null, s22, v3, 0
	v_mul_lo_u32 v13, s22, v5
	s_delay_alu instid0(VALU_DEP_2) | instskip(NEXT) | instid1(VALU_DEP_2)
	v_sub_co_u32 v11, vcc_lo, v11, v21
	v_add3_u32 v9, v22, v13, v9
	s_delay_alu instid0(VALU_DEP_1) | instskip(NEXT) | instid1(VALU_DEP_1)
	v_sub_nc_u32_e32 v13, v7, v9
	v_subrev_co_ci_u32_e64 v13, s0, s23, v13, vcc_lo
	v_add_co_u32 v15, s0, v3, 2
	s_delay_alu instid0(VALU_DEP_1) | instskip(SKIP_3) | instid1(VALU_DEP_3)
	v_add_co_ci_u32_e64 v19, s0, 0, v5, s0
	v_sub_co_u32 v21, s0, v11, s22
	v_sub_co_ci_u32_e32 v7, vcc_lo, v7, v9, vcc_lo
	v_subrev_co_ci_u32_e64 v13, s0, 0, v13, s0
	v_cmp_le_u32_e32 vcc_lo, s22, v21
	s_delay_alu instid0(VALU_DEP_3) | instskip(SKIP_1) | instid1(VALU_DEP_4)
	v_cmp_eq_u32_e64 s0, s23, v7
	v_cndmask_b32_e64 v9, 0, -1, vcc_lo
	v_cmp_le_u32_e32 vcc_lo, s23, v13
	v_cndmask_b32_e64 v21, 0, -1, vcc_lo
	v_cmp_le_u32_e32 vcc_lo, s22, v11
	;; [unrolled: 2-line block ×3, first 2 shown]
	v_cndmask_b32_e64 v22, 0, -1, vcc_lo
	v_cmp_eq_u32_e32 vcc_lo, s23, v13
	s_delay_alu instid0(VALU_DEP_2) | instskip(SKIP_3) | instid1(VALU_DEP_3)
	v_cndmask_b32_e64 v7, v22, v11, s0
	v_cndmask_b32_e32 v9, v21, v9, vcc_lo
	v_add_co_u32 v13, vcc_lo, v3, 1
	v_add_co_ci_u32_e32 v21, vcc_lo, 0, v5, vcc_lo
	v_cmp_ne_u32_e32 vcc_lo, 0, v9
	s_delay_alu instid0(VALU_DEP_2) | instskip(NEXT) | instid1(VALU_DEP_4)
	v_cndmask_b32_e32 v9, v21, v19, vcc_lo
	v_cndmask_b32_e32 v11, v13, v15, vcc_lo
	v_cmp_ne_u32_e32 vcc_lo, 0, v7
	v_xor_b32_e32 v7, s20, v17
	s_delay_alu instid0(VALU_DEP_3) | instskip(SKIP_2) | instid1(VALU_DEP_3)
	v_cndmask_b32_e32 v3, v3, v11, vcc_lo
	v_cndmask_b32_e32 v5, v5, v9, vcc_lo
	v_xor_b32_e32 v9, s21, v17
	v_xor_b32_e32 v3, v3, v7
	s_delay_alu instid0(VALU_DEP_2) | instskip(NEXT) | instid1(VALU_DEP_2)
	v_xor_b32_e32 v5, v5, v9
	v_sub_co_u32 v22, vcc_lo, v3, v7
	s_delay_alu instid0(VALU_DEP_2)
	v_sub_co_ci_u32_e32 v23, vcc_lo, v5, v9, vcc_lo
.LBB56_54:                              ;   in Loop: Header=BB56_24 Depth=2
	s_and_not1_saveexec_b32 s0, s54
	s_cbranch_execz .LBB56_56
; %bb.55:                               ;   in Loop: Header=BB56_24 Depth=2
	v_cvt_f32_u32_e32 v3, s53
	s_sub_i32 s20, 0, s53
	v_mov_b32_e32 v23, v2
	s_delay_alu instid0(VALU_DEP_2) | instskip(SKIP_2) | instid1(VALU_DEP_1)
	v_rcp_iflag_f32_e32 v3, v3
	s_waitcnt_depctr 0xfff
	v_mul_f32_e32 v3, 0x4f7ffffe, v3
	v_cvt_u32_f32_e32 v3, v3
	s_delay_alu instid0(VALU_DEP_1) | instskip(NEXT) | instid1(VALU_DEP_1)
	v_mul_lo_u32 v5, s20, v3
	v_mul_hi_u32 v5, v3, v5
	s_delay_alu instid0(VALU_DEP_1) | instskip(NEXT) | instid1(VALU_DEP_1)
	v_add_nc_u32_e32 v3, v3, v5
	v_mul_hi_u32 v3, v20, v3
	s_delay_alu instid0(VALU_DEP_1) | instskip(SKIP_1) | instid1(VALU_DEP_2)
	v_mul_lo_u32 v5, v3, s53
	v_add_nc_u32_e32 v7, 1, v3
	v_sub_nc_u32_e32 v5, v20, v5
	s_delay_alu instid0(VALU_DEP_1) | instskip(SKIP_1) | instid1(VALU_DEP_4)
	v_cmp_le_u32_e32 vcc_lo, s53, v5
	v_subrev_nc_u32_e32 v9, s53, v5
	v_cndmask_b32_e32 v3, v3, v7, vcc_lo
	s_delay_alu instid0(VALU_DEP_1) | instskip(NEXT) | instid1(VALU_DEP_3)
	v_add_nc_u32_e32 v7, 1, v3
	v_cndmask_b32_e32 v5, v5, v9, vcc_lo
	s_delay_alu instid0(VALU_DEP_1) | instskip(NEXT) | instid1(VALU_DEP_3)
	v_cmp_le_u32_e32 vcc_lo, s53, v5
	v_cndmask_b32_e32 v22, v3, v7, vcc_lo
.LBB56_56:                              ;   in Loop: Header=BB56_24 Depth=2
	s_or_b32 exec_lo, exec_lo, s0
	v_mul_lo_u32 v3, v8, s41
	v_mul_lo_u32 v5, v10, s43
	;; [unrolled: 1-line block ×4, first 2 shown]
	s_add_u32 s18, s30, s18
	s_addc_u32 s19, s1, s19
	v_mul_lo_u32 v11, v16, s49
	s_load_b32 s0, s[18:19], 0x0
	v_sub_nc_u32_e32 v3, v6, v3
	v_sub_nc_u32_e32 v5, v8, v5
	v_mul_lo_u32 v6, v18, s51
	v_sub_nc_u32_e32 v7, v10, v7
	v_sub_nc_u32_e32 v9, v12, v9
	v_mul_lo_u32 v3, s42, v3
	v_mul_lo_u32 v5, s44, v5
	;; [unrolled: 1-line block ×4, first 2 shown]
	v_sub_nc_u32_e32 v11, v14, v11
	v_sub_nc_u32_e32 v6, v16, v6
	v_mul_lo_u32 v7, s46, v7
	v_mul_lo_u32 v9, s48, v9
	s_add_i32 s16, s16, -8
	v_add3_u32 v3, v3, v4, v5
	v_mul_lo_u32 v4, s50, v11
	v_sub_nc_u32_e32 v5, v18, v8
	v_sub_nc_u32_e32 v8, v20, v10
	v_mul_lo_u32 v6, s14, v6
	s_cmp_eq_u32 s16, -8
	v_add3_u32 v3, v7, v3, v9
	v_mul_lo_u32 v5, s17, v5
	s_waitcnt lgkmcnt(0)
	v_mul_lo_u32 v7, s0, v8
	s_delay_alu instid0(VALU_DEP_3) | instskip(NEXT) | instid1(VALU_DEP_1)
	v_add3_u32 v3, v4, v3, v6
	v_add3_u32 v4, v5, v3, v7
	s_cbranch_scc1 .LBB56_58
; %bb.57:                               ;   in Loop: Header=BB56_24 Depth=2
	v_dual_mov_b32 v6, v22 :: v_dual_mov_b32 v7, v23
	s_branch .LBB56_24
.LBB56_58:                              ;   in Loop: Header=BB56_3 Depth=1
	s_load_b32 s0, s[12:13], 0x0
	s_waitcnt lgkmcnt(0)
	v_cmp_gt_i32_e32 vcc_lo, s0, v26
	s_and_b32 exec_lo, exec_lo, vcc_lo
	s_cbranch_execz .LBB56_2
; %bb.59:                               ;   in Loop: Header=BB56_3 Depth=1
	s_delay_alu instid0(VALU_DEP_2) | instskip(SKIP_2) | instid1(VALU_DEP_3)
	v_ashrrev_i32_e32 v6, 31, v4
	v_add_nc_u32_e32 v3, 1, v26
	v_add_co_u32 v5, vcc_lo, s2, v4
	v_add_co_ci_u32_e32 v6, vcc_lo, s3, v6, vcc_lo
	s_delay_alu instid0(VALU_DEP_3)
	v_cmp_gt_i32_e32 vcc_lo, s0, v3
	global_store_b8 v[5:6], v2, off
	s_and_b32 exec_lo, exec_lo, vcc_lo
	s_cbranch_execz .LBB56_2
; %bb.60:                               ;   in Loop: Header=BB56_3 Depth=1
	v_sub_nc_u32_e32 v5, v3, v25
	s_mov_b32 s14, exec_lo
	s_delay_alu instid0(VALU_DEP_1) | instskip(NEXT) | instid1(VALU_DEP_1)
	v_ashrrev_i32_e32 v6, 31, v5
	v_cmpx_gt_i64_e64 s[4:5], v[5:6]
	s_cbranch_execz .LBB56_62
; %bb.61:                               ;   in Loop: Header=BB56_3 Depth=1
	v_add_nc_u32_e32 v3, s40, v4
	s_delay_alu instid0(VALU_DEP_1) | instskip(SKIP_1) | instid1(VALU_DEP_2)
	v_ashrrev_i32_e32 v6, 31, v3
	v_add_co_u32 v5, vcc_lo, s2, v3
	v_add_co_ci_u32_e32 v6, vcc_lo, s3, v6, vcc_lo
	global_store_b8 v[5:6], v2, off
.LBB56_62:                              ;   in Loop: Header=BB56_3 Depth=1
	s_or_b32 exec_lo, exec_lo, s14
	v_add_nc_u32_e32 v3, 2, v26
	s_delay_alu instid0(VALU_DEP_1)
	v_cmp_gt_i32_e32 vcc_lo, s0, v3
	s_and_b32 exec_lo, exec_lo, vcc_lo
	s_cbranch_execz .LBB56_2
; %bb.63:                               ;   in Loop: Header=BB56_3 Depth=1
	v_sub_nc_u32_e32 v5, v3, v25
	s_mov_b32 s14, exec_lo
	s_delay_alu instid0(VALU_DEP_1) | instskip(NEXT) | instid1(VALU_DEP_1)
	v_ashrrev_i32_e32 v6, 31, v5
	v_cmpx_gt_i64_e64 s[4:5], v[5:6]
	s_cbranch_execz .LBB56_65
; %bb.64:                               ;   in Loop: Header=BB56_3 Depth=1
	v_lshl_add_u32 v3, s40, 1, v4
	s_delay_alu instid0(VALU_DEP_1) | instskip(SKIP_1) | instid1(VALU_DEP_2)
	v_ashrrev_i32_e32 v6, 31, v3
	v_add_co_u32 v5, vcc_lo, s2, v3
	v_add_co_ci_u32_e32 v6, vcc_lo, s3, v6, vcc_lo
	global_store_b8 v[5:6], v2, off
.LBB56_65:                              ;   in Loop: Header=BB56_3 Depth=1
	s_or_b32 exec_lo, exec_lo, s14
	v_add_nc_u32_e32 v3, 3, v26
	s_delay_alu instid0(VALU_DEP_1)
	v_cmp_gt_i32_e32 vcc_lo, s0, v3
	s_and_b32 exec_lo, exec_lo, vcc_lo
	s_cbranch_execz .LBB56_2
; %bb.66:                               ;   in Loop: Header=BB56_3 Depth=1
	v_sub_nc_u32_e32 v5, v3, v25
	s_delay_alu instid0(VALU_DEP_1) | instskip(NEXT) | instid1(VALU_DEP_1)
	v_ashrrev_i32_e32 v6, 31, v5
	v_cmp_gt_i64_e32 vcc_lo, s[4:5], v[5:6]
	s_and_b32 exec_lo, exec_lo, vcc_lo
	s_cbranch_execz .LBB56_2
; %bb.67:                               ;   in Loop: Header=BB56_3 Depth=1
	v_mad_u64_u32 v[5:6], null, s40, 3, v[4:5]
	s_delay_alu instid0(VALU_DEP_1) | instskip(SKIP_1) | instid1(VALU_DEP_2)
	v_ashrrev_i32_e32 v4, 31, v5
	v_add_co_u32 v3, vcc_lo, s2, v5
	v_add_co_ci_u32_e32 v4, vcc_lo, s3, v4, vcc_lo
	global_store_b8 v[3:4], v2, off
	s_branch .LBB56_2
.LBB56_68:
	s_nop 0
	s_sendmsg sendmsg(MSG_DEALLOC_VGPRS)
	s_endpgm
	.section	.rodata,"a",@progbits
	.p2align	6, 0x0
	.amdhsa_kernel _ZN2at6native16triu_tril_kernelIaiLb1ELi4ELb1EEEvNS_4cuda6detail10TensorInfoIT_T0_EENS4_IKS5_S6_EEllS6_
		.amdhsa_group_segment_fixed_size 0
		.amdhsa_private_segment_fixed_size 0
		.amdhsa_kernarg_size 712
		.amdhsa_user_sgpr_count 15
		.amdhsa_user_sgpr_dispatch_ptr 0
		.amdhsa_user_sgpr_queue_ptr 0
		.amdhsa_user_sgpr_kernarg_segment_ptr 1
		.amdhsa_user_sgpr_dispatch_id 0
		.amdhsa_user_sgpr_private_segment_size 0
		.amdhsa_wavefront_size32 1
		.amdhsa_uses_dynamic_stack 0
		.amdhsa_enable_private_segment 0
		.amdhsa_system_sgpr_workgroup_id_x 1
		.amdhsa_system_sgpr_workgroup_id_y 0
		.amdhsa_system_sgpr_workgroup_id_z 0
		.amdhsa_system_sgpr_workgroup_info 0
		.amdhsa_system_vgpr_workitem_id 0
		.amdhsa_next_free_vgpr 31
		.amdhsa_next_free_sgpr 56
		.amdhsa_reserve_vcc 1
		.amdhsa_float_round_mode_32 0
		.amdhsa_float_round_mode_16_64 0
		.amdhsa_float_denorm_mode_32 3
		.amdhsa_float_denorm_mode_16_64 3
		.amdhsa_dx10_clamp 1
		.amdhsa_ieee_mode 1
		.amdhsa_fp16_overflow 0
		.amdhsa_workgroup_processor_mode 1
		.amdhsa_memory_ordered 1
		.amdhsa_forward_progress 0
		.amdhsa_shared_vgpr_count 0
		.amdhsa_exception_fp_ieee_invalid_op 0
		.amdhsa_exception_fp_denorm_src 0
		.amdhsa_exception_fp_ieee_div_zero 0
		.amdhsa_exception_fp_ieee_overflow 0
		.amdhsa_exception_fp_ieee_underflow 0
		.amdhsa_exception_fp_ieee_inexact 0
		.amdhsa_exception_int_div_zero 0
	.end_amdhsa_kernel
	.section	.text._ZN2at6native16triu_tril_kernelIaiLb1ELi4ELb1EEEvNS_4cuda6detail10TensorInfoIT_T0_EENS4_IKS5_S6_EEllS6_,"axG",@progbits,_ZN2at6native16triu_tril_kernelIaiLb1ELi4ELb1EEEvNS_4cuda6detail10TensorInfoIT_T0_EENS4_IKS5_S6_EEllS6_,comdat
.Lfunc_end56:
	.size	_ZN2at6native16triu_tril_kernelIaiLb1ELi4ELb1EEEvNS_4cuda6detail10TensorInfoIT_T0_EENS4_IKS5_S6_EEllS6_, .Lfunc_end56-_ZN2at6native16triu_tril_kernelIaiLb1ELi4ELb1EEEvNS_4cuda6detail10TensorInfoIT_T0_EENS4_IKS5_S6_EEllS6_
                                        ; -- End function
	.section	.AMDGPU.csdata,"",@progbits
; Kernel info:
; codeLenInByte = 12532
; NumSgprs: 58
; NumVgprs: 31
; ScratchSize: 0
; MemoryBound: 0
; FloatMode: 240
; IeeeMode: 1
; LDSByteSize: 0 bytes/workgroup (compile time only)
; SGPRBlocks: 7
; VGPRBlocks: 3
; NumSGPRsForWavesPerEU: 58
; NumVGPRsForWavesPerEU: 31
; Occupancy: 16
; WaveLimiterHint : 0
; COMPUTE_PGM_RSRC2:SCRATCH_EN: 0
; COMPUTE_PGM_RSRC2:USER_SGPR: 15
; COMPUTE_PGM_RSRC2:TRAP_HANDLER: 0
; COMPUTE_PGM_RSRC2:TGID_X_EN: 1
; COMPUTE_PGM_RSRC2:TGID_Y_EN: 0
; COMPUTE_PGM_RSRC2:TGID_Z_EN: 0
; COMPUTE_PGM_RSRC2:TIDIG_COMP_CNT: 0
	.section	.text._ZN2at6native16triu_tril_kernelIaiLb1ELi4ELb0EEEvNS_4cuda6detail10TensorInfoIT_T0_EENS4_IKS5_S6_EEllS6_,"axG",@progbits,_ZN2at6native16triu_tril_kernelIaiLb1ELi4ELb0EEEvNS_4cuda6detail10TensorInfoIT_T0_EENS4_IKS5_S6_EEllS6_,comdat
	.protected	_ZN2at6native16triu_tril_kernelIaiLb1ELi4ELb0EEEvNS_4cuda6detail10TensorInfoIT_T0_EENS4_IKS5_S6_EEllS6_ ; -- Begin function _ZN2at6native16triu_tril_kernelIaiLb1ELi4ELb0EEEvNS_4cuda6detail10TensorInfoIT_T0_EENS4_IKS5_S6_EEllS6_
	.globl	_ZN2at6native16triu_tril_kernelIaiLb1ELi4ELb0EEEvNS_4cuda6detail10TensorInfoIT_T0_EENS4_IKS5_S6_EEllS6_
	.p2align	8
	.type	_ZN2at6native16triu_tril_kernelIaiLb1ELi4ELb0EEEvNS_4cuda6detail10TensorInfoIT_T0_EENS4_IKS5_S6_EEllS6_,@function
_ZN2at6native16triu_tril_kernelIaiLb1ELi4ELb0EEEvNS_4cuda6detail10TensorInfoIT_T0_EENS4_IKS5_S6_EEllS6_: ; @_ZN2at6native16triu_tril_kernelIaiLb1ELi4ELb0EEEvNS_4cuda6detail10TensorInfoIT_T0_EENS4_IKS5_S6_EEllS6_
; %bb.0:
	s_clause 0x1
	s_load_b32 s2, s[0:1], 0x1d4
	s_load_b128 s[4:7], s[0:1], 0x1b0
	v_mov_b32_e32 v2, 0
	s_add_u32 s8, s0, 0x1c8
	s_addc_u32 s9, s1, 0
	s_delay_alu instid0(VALU_DEP_1) | instskip(SKIP_3) | instid1(VALU_DEP_1)
	v_mov_b32_e32 v1, v2
	s_waitcnt lgkmcnt(0)
	s_and_b32 s10, s2, 0xffff
	s_mov_b32 s2, exec_lo
	v_mad_u64_u32 v[3:4], null, s10, s15, v[0:1]
	s_delay_alu instid0(VALU_DEP_1) | instskip(NEXT) | instid1(VALU_DEP_1)
	v_lshlrev_b64 v[0:1], 2, v[3:4]
	v_cmpx_gt_i64_e64 s[6:7], v[0:1]
	s_cbranch_execz .LBB57_55
; %bb.1:
	s_clause 0x1
	s_load_b32 s16, s[0:1], 0x1a8
	s_load_b32 s26, s[0:1], 0x1c0
	s_add_u32 s27, s0, 0xd8
	s_addc_u32 s28, s1, 0
	s_load_b32 s11, s[8:9], 0x0
	s_load_b64 s[2:3], s[0:1], 0xd8
	s_mov_b32 s41, 0
	s_waitcnt lgkmcnt(0)
	s_ashr_i32 s17, s16, 31
	s_ashr_i32 s29, s26, 31
	s_lshl_b64 s[8:9], s[16:17], 2
	v_cvt_f32_u32_e32 v3, s26
	s_add_u32 s14, s8, -8
	s_addc_u32 s15, s9, -1
	s_add_u32 s12, s27, s14
	s_addc_u32 s13, s28, s15
	v_rcp_iflag_f32_e32 v3, v3
	s_load_b64 s[8:9], s[12:13], 0x8
	s_mul_i32 s18, s11, s10
	s_load_b64 s[10:11], s[12:13], 0x6c
	s_waitcnt_depctr 0xfff
	v_mul_f32_e32 v3, 0x4f7ffffe, v3
	s_delay_alu instid0(VALU_DEP_1)
	v_cvt_u32_f32_e32 v3, v3
	s_waitcnt lgkmcnt(0)
	s_ashr_i32 s30, s8, 31
	s_add_u32 s31, s0, 0x6c
	s_addc_u32 s33, s1, 0
	s_add_u32 s12, s31, s14
	s_addc_u32 s13, s33, s15
	s_and_b32 s35, s16, 3
	s_add_i32 s34, s16, -3
	s_lshl_b32 s36, s18, 2
	s_cmp_lg_u32 s35, 2
	s_load_b64 s[12:13], s[12:13], 0x0
	s_cselect_b32 s37, -1, 0
	s_cmp_gt_u32 s34, 2
	s_cselect_b32 s38, -1, 0
	s_sub_i32 s14, 0, s26
	s_ashr_i32 s39, s11, 31
	v_mul_lo_u32 v4, s14, v3
	s_load_b64 s[14:15], s[0:1], 0x0
	v_cmp_gt_i64_e64 s1, s[16:17], 2
	s_mov_b32 s17, 0
	s_delay_alu instid0(VALU_DEP_2) | instskip(SKIP_2) | instid1(VALU_DEP_1)
	v_mul_hi_u32 v4, v3, v4
	s_waitcnt lgkmcnt(0)
	s_ashr_i32 s40, s13, 31
	v_add_nc_u32_e32 v18, v3, v4
	s_branch .LBB57_3
.LBB57_2:                               ;   in Loop: Header=BB57_3 Depth=1
	s_or_b32 exec_lo, exec_lo, s0
	v_add_co_u32 v0, vcc_lo, v0, s36
	v_add_co_ci_u32_e32 v1, vcc_lo, 0, v1, vcc_lo
	s_delay_alu instid0(VALU_DEP_1) | instskip(SKIP_1) | instid1(SALU_CYCLE_1)
	v_cmp_le_i64_e32 vcc_lo, s[6:7], v[0:1]
	s_or_b32 s41, vcc_lo, s41
	s_and_not1_b32 exec_lo, exec_lo, s41
	s_cbranch_execz .LBB57_55
.LBB57_3:                               ; =>This Loop Header: Depth=1
                                        ;     Child Loop BB57_14 Depth 2
                                        ;     Child Loop BB57_22 Depth 2
	v_or_b32_e32 v3, s29, v1
                                        ; implicit-def: $vgpr4_vgpr5
	s_mov_b32 s0, exec_lo
	s_delay_alu instid0(VALU_DEP_1)
	v_cmpx_ne_u64_e32 0, v[2:3]
	s_xor_b32 s16, exec_lo, s0
	s_cbranch_execz .LBB57_5
; %bb.4:                                ;   in Loop: Header=BB57_3 Depth=1
	s_add_u32 s20, s26, s29
	s_mov_b32 s18, s29
	s_mov_b32 s19, s29
	s_addc_u32 s21, s29, s29
	s_delay_alu instid0(SALU_CYCLE_1) | instskip(NEXT) | instid1(SALU_CYCLE_1)
	s_xor_b64 s[20:21], s[20:21], s[18:19]
	v_cvt_f32_u32_e32 v3, s20
	v_cvt_f32_u32_e32 v4, s21
	s_sub_u32 s0, 0, s20
	s_subb_u32 s22, 0, s21
	s_delay_alu instid0(VALU_DEP_1) | instskip(NEXT) | instid1(VALU_DEP_1)
	v_fmac_f32_e32 v3, 0x4f800000, v4
	v_rcp_f32_e32 v3, v3
	s_waitcnt_depctr 0xfff
	v_mul_f32_e32 v3, 0x5f7ffffc, v3
	s_delay_alu instid0(VALU_DEP_1) | instskip(NEXT) | instid1(VALU_DEP_1)
	v_mul_f32_e32 v4, 0x2f800000, v3
	v_trunc_f32_e32 v4, v4
	s_delay_alu instid0(VALU_DEP_1) | instskip(SKIP_1) | instid1(VALU_DEP_2)
	v_fmac_f32_e32 v3, 0xcf800000, v4
	v_cvt_u32_f32_e32 v4, v4
	v_cvt_u32_f32_e32 v3, v3
	s_delay_alu instid0(VALU_DEP_2) | instskip(NEXT) | instid1(VALU_DEP_2)
	v_mul_lo_u32 v5, s0, v4
	v_mul_hi_u32 v6, s0, v3
	v_mul_lo_u32 v7, s22, v3
	s_delay_alu instid0(VALU_DEP_2) | instskip(SKIP_1) | instid1(VALU_DEP_2)
	v_add_nc_u32_e32 v5, v6, v5
	v_mul_lo_u32 v6, s0, v3
	v_add_nc_u32_e32 v5, v5, v7
	s_delay_alu instid0(VALU_DEP_2) | instskip(NEXT) | instid1(VALU_DEP_2)
	v_mul_hi_u32 v7, v3, v6
	v_mul_lo_u32 v8, v3, v5
	v_mul_hi_u32 v9, v3, v5
	v_mul_hi_u32 v10, v4, v6
	v_mul_lo_u32 v6, v4, v6
	v_mul_hi_u32 v11, v4, v5
	v_mul_lo_u32 v5, v4, v5
	v_add_co_u32 v7, vcc_lo, v7, v8
	v_add_co_ci_u32_e32 v8, vcc_lo, 0, v9, vcc_lo
	s_delay_alu instid0(VALU_DEP_2) | instskip(NEXT) | instid1(VALU_DEP_2)
	v_add_co_u32 v6, vcc_lo, v7, v6
	v_add_co_ci_u32_e32 v6, vcc_lo, v8, v10, vcc_lo
	v_add_co_ci_u32_e32 v7, vcc_lo, 0, v11, vcc_lo
	v_ashrrev_i32_e32 v10, 31, v1
	s_delay_alu instid0(VALU_DEP_3) | instskip(NEXT) | instid1(VALU_DEP_3)
	v_add_co_u32 v5, vcc_lo, v6, v5
	v_add_co_ci_u32_e32 v6, vcc_lo, 0, v7, vcc_lo
	s_delay_alu instid0(VALU_DEP_2) | instskip(NEXT) | instid1(VALU_DEP_2)
	v_add_co_u32 v3, vcc_lo, v3, v5
	v_add_co_ci_u32_e32 v4, vcc_lo, v4, v6, vcc_lo
	s_delay_alu instid0(VALU_DEP_2) | instskip(SKIP_1) | instid1(VALU_DEP_3)
	v_mul_hi_u32 v5, s0, v3
	v_mul_lo_u32 v7, s22, v3
	v_mul_lo_u32 v6, s0, v4
	s_delay_alu instid0(VALU_DEP_1) | instskip(SKIP_1) | instid1(VALU_DEP_2)
	v_add_nc_u32_e32 v5, v5, v6
	v_mul_lo_u32 v6, s0, v3
	v_add_nc_u32_e32 v5, v5, v7
	s_delay_alu instid0(VALU_DEP_2) | instskip(NEXT) | instid1(VALU_DEP_2)
	v_mul_hi_u32 v7, v3, v6
	v_mul_lo_u32 v8, v3, v5
	v_mul_hi_u32 v9, v3, v5
	v_mul_hi_u32 v11, v4, v6
	v_mul_lo_u32 v6, v4, v6
	v_mul_hi_u32 v12, v4, v5
	v_mul_lo_u32 v5, v4, v5
	v_add_co_u32 v7, vcc_lo, v7, v8
	v_add_co_ci_u32_e32 v8, vcc_lo, 0, v9, vcc_lo
	s_delay_alu instid0(VALU_DEP_2) | instskip(NEXT) | instid1(VALU_DEP_2)
	v_add_co_u32 v6, vcc_lo, v7, v6
	v_add_co_ci_u32_e32 v6, vcc_lo, v8, v11, vcc_lo
	v_add_co_ci_u32_e32 v7, vcc_lo, 0, v12, vcc_lo
	v_add_co_u32 v8, vcc_lo, v0, v10
	v_add_co_ci_u32_e32 v9, vcc_lo, v1, v10, vcc_lo
	s_delay_alu instid0(VALU_DEP_4) | instskip(NEXT) | instid1(VALU_DEP_4)
	v_add_co_u32 v5, vcc_lo, v6, v5
	v_add_co_ci_u32_e32 v6, vcc_lo, 0, v7, vcc_lo
	s_delay_alu instid0(VALU_DEP_4) | instskip(NEXT) | instid1(VALU_DEP_3)
	v_xor_b32_e32 v11, v8, v10
	v_add_co_u32 v7, vcc_lo, v3, v5
	s_delay_alu instid0(VALU_DEP_3) | instskip(SKIP_1) | instid1(VALU_DEP_3)
	v_add_co_ci_u32_e32 v12, vcc_lo, v4, v6, vcc_lo
	v_xor_b32_e32 v9, v9, v10
	v_mul_hi_u32 v13, v11, v7
	s_delay_alu instid0(VALU_DEP_3) | instskip(NEXT) | instid1(VALU_DEP_3)
	v_mad_u64_u32 v[3:4], null, v11, v12, 0
	v_mad_u64_u32 v[5:6], null, v9, v7, 0
	;; [unrolled: 1-line block ×3, first 2 shown]
	s_delay_alu instid0(VALU_DEP_3) | instskip(NEXT) | instid1(VALU_DEP_4)
	v_add_co_u32 v3, vcc_lo, v13, v3
	v_add_co_ci_u32_e32 v4, vcc_lo, 0, v4, vcc_lo
	s_delay_alu instid0(VALU_DEP_2) | instskip(NEXT) | instid1(VALU_DEP_2)
	v_add_co_u32 v3, vcc_lo, v3, v5
	v_add_co_ci_u32_e32 v3, vcc_lo, v4, v6, vcc_lo
	v_add_co_ci_u32_e32 v4, vcc_lo, 0, v8, vcc_lo
	s_delay_alu instid0(VALU_DEP_2) | instskip(NEXT) | instid1(VALU_DEP_2)
	v_add_co_u32 v5, vcc_lo, v3, v7
	v_add_co_ci_u32_e32 v6, vcc_lo, 0, v4, vcc_lo
	s_delay_alu instid0(VALU_DEP_2) | instskip(SKIP_1) | instid1(VALU_DEP_3)
	v_mul_lo_u32 v7, s21, v5
	v_mad_u64_u32 v[3:4], null, s20, v5, 0
	v_mul_lo_u32 v8, s20, v6
	s_delay_alu instid0(VALU_DEP_2) | instskip(NEXT) | instid1(VALU_DEP_2)
	v_sub_co_u32 v3, vcc_lo, v11, v3
	v_add3_u32 v4, v4, v8, v7
	s_delay_alu instid0(VALU_DEP_1) | instskip(NEXT) | instid1(VALU_DEP_1)
	v_sub_nc_u32_e32 v7, v9, v4
	v_subrev_co_ci_u32_e64 v7, s0, s21, v7, vcc_lo
	v_add_co_u32 v8, s0, v5, 2
	s_delay_alu instid0(VALU_DEP_1) | instskip(SKIP_3) | instid1(VALU_DEP_3)
	v_add_co_ci_u32_e64 v11, s0, 0, v6, s0
	v_sub_co_u32 v12, s0, v3, s20
	v_sub_co_ci_u32_e32 v4, vcc_lo, v9, v4, vcc_lo
	v_subrev_co_ci_u32_e64 v7, s0, 0, v7, s0
	v_cmp_le_u32_e32 vcc_lo, s20, v12
	s_delay_alu instid0(VALU_DEP_3) | instskip(SKIP_1) | instid1(VALU_DEP_4)
	v_cmp_eq_u32_e64 s0, s21, v4
	v_cndmask_b32_e64 v9, 0, -1, vcc_lo
	v_cmp_le_u32_e32 vcc_lo, s21, v7
	v_cndmask_b32_e64 v12, 0, -1, vcc_lo
	v_cmp_le_u32_e32 vcc_lo, s20, v3
	;; [unrolled: 2-line block ×3, first 2 shown]
	v_cndmask_b32_e64 v13, 0, -1, vcc_lo
	v_cmp_eq_u32_e32 vcc_lo, s21, v7
	s_delay_alu instid0(VALU_DEP_2) | instskip(SKIP_3) | instid1(VALU_DEP_3)
	v_cndmask_b32_e64 v3, v13, v3, s0
	v_cndmask_b32_e32 v7, v12, v9, vcc_lo
	v_add_co_u32 v9, vcc_lo, v5, 1
	v_add_co_ci_u32_e32 v12, vcc_lo, 0, v6, vcc_lo
	v_cmp_ne_u32_e32 vcc_lo, 0, v7
	s_delay_alu instid0(VALU_DEP_2) | instskip(SKIP_2) | instid1(VALU_DEP_3)
	v_dual_cndmask_b32 v4, v12, v11 :: v_dual_cndmask_b32 v7, v9, v8
	v_cmp_ne_u32_e32 vcc_lo, 0, v3
	v_xor_b32_e32 v3, s18, v10
	v_dual_cndmask_b32 v5, v5, v7 :: v_dual_cndmask_b32 v4, v6, v4
	v_xor_b32_e32 v6, s19, v10
	s_delay_alu instid0(VALU_DEP_2) | instskip(NEXT) | instid1(VALU_DEP_2)
	v_xor_b32_e32 v5, v5, v3
	v_xor_b32_e32 v7, v4, v6
	s_delay_alu instid0(VALU_DEP_2) | instskip(NEXT) | instid1(VALU_DEP_2)
	v_sub_co_u32 v4, vcc_lo, v5, v3
	v_sub_co_ci_u32_e32 v5, vcc_lo, v7, v6, vcc_lo
.LBB57_5:                               ;   in Loop: Header=BB57_3 Depth=1
	s_and_not1_saveexec_b32 s0, s16
; %bb.6:                                ;   in Loop: Header=BB57_3 Depth=1
	v_mul_hi_u32 v3, v0, v18
	s_delay_alu instid0(VALU_DEP_1) | instskip(NEXT) | instid1(VALU_DEP_1)
	v_mul_lo_u32 v4, v3, s26
	v_sub_nc_u32_e32 v4, v0, v4
	s_delay_alu instid0(VALU_DEP_1) | instskip(SKIP_1) | instid1(VALU_DEP_2)
	v_subrev_nc_u32_e32 v6, s26, v4
	v_cmp_le_u32_e32 vcc_lo, s26, v4
	v_dual_cndmask_b32 v4, v4, v6 :: v_dual_add_nc_u32 v5, 1, v3
	s_delay_alu instid0(VALU_DEP_1) | instskip(NEXT) | instid1(VALU_DEP_2)
	v_cndmask_b32_e32 v3, v3, v5, vcc_lo
	v_cmp_le_u32_e32 vcc_lo, s26, v4
	s_delay_alu instid0(VALU_DEP_2) | instskip(NEXT) | instid1(VALU_DEP_1)
	v_add_nc_u32_e32 v5, 1, v3
	v_dual_cndmask_b32 v4, v3, v5 :: v_dual_mov_b32 v5, v2
; %bb.7:                                ;   in Loop: Header=BB57_3 Depth=1
	s_or_b32 exec_lo, exec_lo, s0
	s_delay_alu instid0(VALU_DEP_1) | instskip(SKIP_1) | instid1(VALU_DEP_1)
	v_or_b32_e32 v3, s30, v5
                                        ; implicit-def: $vgpr8_vgpr9
	s_mov_b32 s0, exec_lo
	v_cmpx_ne_u64_e32 0, v[2:3]
	s_xor_b32 s16, exec_lo, s0
	s_cbranch_execz .LBB57_9
; %bb.8:                                ;   in Loop: Header=BB57_3 Depth=1
	s_add_u32 s20, s8, s30
	s_mov_b32 s18, s30
	s_mov_b32 s19, s30
	s_addc_u32 s21, s30, s30
	s_delay_alu instid0(SALU_CYCLE_1) | instskip(NEXT) | instid1(SALU_CYCLE_1)
	s_xor_b64 s[20:21], s[20:21], s[18:19]
	v_cvt_f32_u32_e32 v3, s20
	v_cvt_f32_u32_e32 v6, s21
	s_sub_u32 s0, 0, s20
	s_subb_u32 s22, 0, s21
	s_delay_alu instid0(VALU_DEP_1) | instskip(NEXT) | instid1(VALU_DEP_1)
	v_fmac_f32_e32 v3, 0x4f800000, v6
	v_rcp_f32_e32 v3, v3
	s_waitcnt_depctr 0xfff
	v_mul_f32_e32 v3, 0x5f7ffffc, v3
	s_delay_alu instid0(VALU_DEP_1) | instskip(NEXT) | instid1(VALU_DEP_1)
	v_mul_f32_e32 v6, 0x2f800000, v3
	v_trunc_f32_e32 v6, v6
	s_delay_alu instid0(VALU_DEP_1) | instskip(SKIP_1) | instid1(VALU_DEP_2)
	v_fmac_f32_e32 v3, 0xcf800000, v6
	v_cvt_u32_f32_e32 v6, v6
	v_cvt_u32_f32_e32 v3, v3
	s_delay_alu instid0(VALU_DEP_2) | instskip(NEXT) | instid1(VALU_DEP_2)
	v_mul_lo_u32 v7, s0, v6
	v_mul_hi_u32 v8, s0, v3
	v_mul_lo_u32 v9, s22, v3
	s_delay_alu instid0(VALU_DEP_2) | instskip(SKIP_1) | instid1(VALU_DEP_2)
	v_add_nc_u32_e32 v7, v8, v7
	v_mul_lo_u32 v8, s0, v3
	v_add_nc_u32_e32 v7, v7, v9
	s_delay_alu instid0(VALU_DEP_2) | instskip(NEXT) | instid1(VALU_DEP_2)
	v_mul_hi_u32 v9, v3, v8
	v_mul_lo_u32 v10, v3, v7
	v_mul_hi_u32 v11, v3, v7
	v_mul_hi_u32 v12, v6, v8
	v_mul_lo_u32 v8, v6, v8
	v_mul_hi_u32 v13, v6, v7
	v_mul_lo_u32 v7, v6, v7
	v_add_co_u32 v9, vcc_lo, v9, v10
	v_add_co_ci_u32_e32 v10, vcc_lo, 0, v11, vcc_lo
	s_delay_alu instid0(VALU_DEP_2) | instskip(NEXT) | instid1(VALU_DEP_2)
	v_add_co_u32 v8, vcc_lo, v9, v8
	v_add_co_ci_u32_e32 v8, vcc_lo, v10, v12, vcc_lo
	v_add_co_ci_u32_e32 v9, vcc_lo, 0, v13, vcc_lo
	v_ashrrev_i32_e32 v12, 31, v5
	s_delay_alu instid0(VALU_DEP_3) | instskip(NEXT) | instid1(VALU_DEP_3)
	v_add_co_u32 v7, vcc_lo, v8, v7
	v_add_co_ci_u32_e32 v8, vcc_lo, 0, v9, vcc_lo
	s_delay_alu instid0(VALU_DEP_2) | instskip(NEXT) | instid1(VALU_DEP_2)
	v_add_co_u32 v3, vcc_lo, v3, v7
	v_add_co_ci_u32_e32 v6, vcc_lo, v6, v8, vcc_lo
	s_delay_alu instid0(VALU_DEP_2) | instskip(SKIP_1) | instid1(VALU_DEP_3)
	v_mul_hi_u32 v7, s0, v3
	v_mul_lo_u32 v9, s22, v3
	v_mul_lo_u32 v8, s0, v6
	s_delay_alu instid0(VALU_DEP_1) | instskip(SKIP_1) | instid1(VALU_DEP_2)
	v_add_nc_u32_e32 v7, v7, v8
	v_mul_lo_u32 v8, s0, v3
	v_add_nc_u32_e32 v7, v7, v9
	s_delay_alu instid0(VALU_DEP_2) | instskip(NEXT) | instid1(VALU_DEP_2)
	v_mul_hi_u32 v9, v3, v8
	v_mul_lo_u32 v10, v3, v7
	v_mul_hi_u32 v11, v3, v7
	v_mul_hi_u32 v13, v6, v8
	v_mul_lo_u32 v8, v6, v8
	v_mul_hi_u32 v14, v6, v7
	v_mul_lo_u32 v7, v6, v7
	v_add_co_u32 v9, vcc_lo, v9, v10
	v_add_co_ci_u32_e32 v10, vcc_lo, 0, v11, vcc_lo
	s_delay_alu instid0(VALU_DEP_2) | instskip(NEXT) | instid1(VALU_DEP_2)
	v_add_co_u32 v8, vcc_lo, v9, v8
	v_add_co_ci_u32_e32 v8, vcc_lo, v10, v13, vcc_lo
	v_add_co_ci_u32_e32 v9, vcc_lo, 0, v14, vcc_lo
	v_add_co_u32 v10, vcc_lo, v4, v12
	v_add_co_ci_u32_e32 v5, vcc_lo, v5, v12, vcc_lo
	s_delay_alu instid0(VALU_DEP_4) | instskip(NEXT) | instid1(VALU_DEP_4)
	v_add_co_u32 v7, vcc_lo, v8, v7
	v_add_co_ci_u32_e32 v8, vcc_lo, 0, v9, vcc_lo
	s_delay_alu instid0(VALU_DEP_4) | instskip(NEXT) | instid1(VALU_DEP_3)
	v_xor_b32_e32 v11, v10, v12
	v_add_co_u32 v3, vcc_lo, v3, v7
	s_delay_alu instid0(VALU_DEP_3) | instskip(SKIP_1) | instid1(VALU_DEP_3)
	v_add_co_ci_u32_e32 v13, vcc_lo, v6, v8, vcc_lo
	v_xor_b32_e32 v14, v5, v12
	v_mul_hi_u32 v15, v11, v3
	s_delay_alu instid0(VALU_DEP_3) | instskip(NEXT) | instid1(VALU_DEP_3)
	v_mad_u64_u32 v[5:6], null, v11, v13, 0
	v_mad_u64_u32 v[7:8], null, v14, v3, 0
	;; [unrolled: 1-line block ×3, first 2 shown]
	s_delay_alu instid0(VALU_DEP_3) | instskip(NEXT) | instid1(VALU_DEP_4)
	v_add_co_u32 v3, vcc_lo, v15, v5
	v_add_co_ci_u32_e32 v5, vcc_lo, 0, v6, vcc_lo
	s_delay_alu instid0(VALU_DEP_2) | instskip(NEXT) | instid1(VALU_DEP_2)
	v_add_co_u32 v3, vcc_lo, v3, v7
	v_add_co_ci_u32_e32 v3, vcc_lo, v5, v8, vcc_lo
	v_add_co_ci_u32_e32 v5, vcc_lo, 0, v10, vcc_lo
	s_delay_alu instid0(VALU_DEP_2) | instskip(NEXT) | instid1(VALU_DEP_2)
	v_add_co_u32 v3, vcc_lo, v3, v9
	v_add_co_ci_u32_e32 v7, vcc_lo, 0, v5, vcc_lo
	s_delay_alu instid0(VALU_DEP_2) | instskip(SKIP_1) | instid1(VALU_DEP_3)
	v_mul_lo_u32 v8, s21, v3
	v_mad_u64_u32 v[5:6], null, s20, v3, 0
	v_mul_lo_u32 v9, s20, v7
	s_delay_alu instid0(VALU_DEP_2) | instskip(NEXT) | instid1(VALU_DEP_2)
	v_sub_co_u32 v5, vcc_lo, v11, v5
	v_add3_u32 v6, v6, v9, v8
	s_delay_alu instid0(VALU_DEP_1) | instskip(NEXT) | instid1(VALU_DEP_1)
	v_sub_nc_u32_e32 v8, v14, v6
	v_subrev_co_ci_u32_e64 v8, s0, s21, v8, vcc_lo
	v_add_co_u32 v9, s0, v3, 2
	s_delay_alu instid0(VALU_DEP_1) | instskip(SKIP_3) | instid1(VALU_DEP_3)
	v_add_co_ci_u32_e64 v10, s0, 0, v7, s0
	v_sub_co_u32 v11, s0, v5, s20
	v_sub_co_ci_u32_e32 v6, vcc_lo, v14, v6, vcc_lo
	v_subrev_co_ci_u32_e64 v8, s0, 0, v8, s0
	v_cmp_le_u32_e32 vcc_lo, s20, v11
	s_delay_alu instid0(VALU_DEP_3) | instskip(SKIP_1) | instid1(VALU_DEP_4)
	v_cmp_eq_u32_e64 s0, s21, v6
	v_cndmask_b32_e64 v11, 0, -1, vcc_lo
	v_cmp_le_u32_e32 vcc_lo, s21, v8
	v_cndmask_b32_e64 v13, 0, -1, vcc_lo
	v_cmp_le_u32_e32 vcc_lo, s20, v5
	v_cndmask_b32_e64 v5, 0, -1, vcc_lo
	v_cmp_le_u32_e32 vcc_lo, s21, v6
	v_cndmask_b32_e64 v14, 0, -1, vcc_lo
	v_cmp_eq_u32_e32 vcc_lo, s21, v8
	s_delay_alu instid0(VALU_DEP_2) | instskip(SKIP_3) | instid1(VALU_DEP_3)
	v_cndmask_b32_e64 v5, v14, v5, s0
	v_cndmask_b32_e32 v8, v13, v11, vcc_lo
	v_add_co_u32 v11, vcc_lo, v3, 1
	v_add_co_ci_u32_e32 v13, vcc_lo, 0, v7, vcc_lo
	v_cmp_ne_u32_e32 vcc_lo, 0, v8
	s_delay_alu instid0(VALU_DEP_3) | instskip(NEXT) | instid1(VALU_DEP_3)
	v_cndmask_b32_e32 v8, v11, v9, vcc_lo
	v_cndmask_b32_e32 v6, v13, v10, vcc_lo
	v_cmp_ne_u32_e32 vcc_lo, 0, v5
	v_xor_b32_e32 v5, s18, v12
	s_delay_alu instid0(VALU_DEP_4) | instskip(NEXT) | instid1(VALU_DEP_4)
	v_cndmask_b32_e32 v3, v3, v8, vcc_lo
	v_cndmask_b32_e32 v6, v7, v6, vcc_lo
	v_xor_b32_e32 v7, s19, v12
	s_delay_alu instid0(VALU_DEP_3) | instskip(NEXT) | instid1(VALU_DEP_2)
	v_xor_b32_e32 v3, v3, v5
	v_xor_b32_e32 v6, v6, v7
	s_delay_alu instid0(VALU_DEP_2) | instskip(NEXT) | instid1(VALU_DEP_2)
	v_sub_co_u32 v8, vcc_lo, v3, v5
	v_sub_co_ci_u32_e32 v9, vcc_lo, v6, v7, vcc_lo
.LBB57_9:                               ;   in Loop: Header=BB57_3 Depth=1
	s_and_not1_saveexec_b32 s0, s16
	s_cbranch_execz .LBB57_11
; %bb.10:                               ;   in Loop: Header=BB57_3 Depth=1
	v_cvt_f32_u32_e32 v3, s8
	s_sub_i32 s16, 0, s8
	v_mov_b32_e32 v9, v2
	s_delay_alu instid0(VALU_DEP_2) | instskip(SKIP_2) | instid1(VALU_DEP_1)
	v_rcp_iflag_f32_e32 v3, v3
	s_waitcnt_depctr 0xfff
	v_mul_f32_e32 v3, 0x4f7ffffe, v3
	v_cvt_u32_f32_e32 v3, v3
	s_delay_alu instid0(VALU_DEP_1) | instskip(NEXT) | instid1(VALU_DEP_1)
	v_mul_lo_u32 v5, s16, v3
	v_mul_hi_u32 v5, v3, v5
	s_delay_alu instid0(VALU_DEP_1) | instskip(NEXT) | instid1(VALU_DEP_1)
	v_add_nc_u32_e32 v3, v3, v5
	v_mul_hi_u32 v3, v4, v3
	s_delay_alu instid0(VALU_DEP_1) | instskip(SKIP_1) | instid1(VALU_DEP_2)
	v_mul_lo_u32 v5, v3, s8
	v_add_nc_u32_e32 v6, 1, v3
	v_sub_nc_u32_e32 v5, v4, v5
	s_delay_alu instid0(VALU_DEP_1) | instskip(SKIP_1) | instid1(VALU_DEP_4)
	v_cmp_le_u32_e32 vcc_lo, s8, v5
	v_subrev_nc_u32_e32 v7, s8, v5
	v_cndmask_b32_e32 v3, v3, v6, vcc_lo
	s_delay_alu instid0(VALU_DEP_1) | instskip(NEXT) | instid1(VALU_DEP_3)
	v_add_nc_u32_e32 v6, 1, v3
	v_cndmask_b32_e32 v5, v5, v7, vcc_lo
	s_delay_alu instid0(VALU_DEP_1) | instskip(NEXT) | instid1(VALU_DEP_3)
	v_cmp_le_u32_e32 vcc_lo, s8, v5
	v_cndmask_b32_e32 v8, v3, v6, vcc_lo
.LBB57_11:                              ;   in Loop: Header=BB57_3 Depth=1
	s_or_b32 exec_lo, exec_lo, s0
	v_mad_u64_u32 v[5:6], null, v4, s26, 0
	s_delay_alu instid0(VALU_DEP_2) | instskip(SKIP_1) | instid1(VALU_DEP_2)
	v_mad_u64_u32 v[6:7], null, v8, s8, 0
	s_and_not1_b32 vcc_lo, exec_lo, s1
	v_sub_co_u32 v19, null, v0, v5
	s_delay_alu instid0(VALU_DEP_2) | instskip(NEXT) | instid1(VALU_DEP_2)
	v_sub_co_u32 v20, null, v4, v6
	v_mul_lo_u32 v3, s11, v19
	v_mul_lo_u32 v10, s13, v19
	s_delay_alu instid0(VALU_DEP_2) | instskip(NEXT) | instid1(VALU_DEP_2)
	v_mad_u64_u32 v[6:7], null, s10, v20, v[3:4]
	v_mad_u64_u32 v[4:5], null, s12, v20, v[10:11]
	s_cbranch_vccnz .LBB57_40
; %bb.12:                               ;   in Loop: Header=BB57_3 Depth=1
	s_and_not1_b32 vcc_lo, exec_lo, s37
	s_mov_b32 s42, 1
	s_cbranch_vccnz .LBB57_20
; %bb.13:                               ;   in Loop: Header=BB57_3 Depth=1
	v_dual_mov_b32 v11, v9 :: v_dual_mov_b32 v10, v8
	s_mov_b32 s16, s34
.LBB57_14:                              ;   Parent Loop BB57_3 Depth=1
                                        ; =>  This Inner Loop Header: Depth=2
	s_delay_alu instid0(SALU_CYCLE_1)
	s_lshl_b64 s[20:21], s[16:17], 2
                                        ; implicit-def: $vgpr8_vgpr9
	s_mov_b32 s22, exec_lo
	s_add_u32 s18, s27, s20
	s_addc_u32 s19, s28, s21
	s_load_b32 s43, s[18:19], 0x8
	s_waitcnt lgkmcnt(0)
	s_ashr_i32 s0, s43, 31
	s_delay_alu instid0(SALU_CYCLE_1) | instskip(NEXT) | instid1(VALU_DEP_1)
	v_or_b32_e32 v3, s0, v11
	v_cmpx_ne_u64_e32 0, v[2:3]
	s_xor_b32 s44, exec_lo, s22
	s_cbranch_execz .LBB57_16
; %bb.15:                               ;   in Loop: Header=BB57_14 Depth=2
	s_add_u32 s24, s43, s0
	s_mov_b32 s22, s0
	s_mov_b32 s23, s0
	s_addc_u32 s25, s0, s0
	s_delay_alu instid0(SALU_CYCLE_1) | instskip(NEXT) | instid1(SALU_CYCLE_1)
	s_xor_b64 s[24:25], s[24:25], s[22:23]
	v_cvt_f32_u32_e32 v3, s24
	v_cvt_f32_u32_e32 v5, s25
	s_sub_u32 s0, 0, s24
	s_subb_u32 s45, 0, s25
	s_delay_alu instid0(VALU_DEP_1) | instskip(NEXT) | instid1(VALU_DEP_1)
	v_fmac_f32_e32 v3, 0x4f800000, v5
	v_rcp_f32_e32 v3, v3
	s_waitcnt_depctr 0xfff
	v_mul_f32_e32 v3, 0x5f7ffffc, v3
	s_delay_alu instid0(VALU_DEP_1) | instskip(NEXT) | instid1(VALU_DEP_1)
	v_mul_f32_e32 v5, 0x2f800000, v3
	v_trunc_f32_e32 v5, v5
	s_delay_alu instid0(VALU_DEP_1) | instskip(SKIP_1) | instid1(VALU_DEP_2)
	v_fmac_f32_e32 v3, 0xcf800000, v5
	v_cvt_u32_f32_e32 v5, v5
	v_cvt_u32_f32_e32 v3, v3
	s_delay_alu instid0(VALU_DEP_2) | instskip(NEXT) | instid1(VALU_DEP_2)
	v_mul_lo_u32 v7, s0, v5
	v_mul_hi_u32 v8, s0, v3
	v_mul_lo_u32 v9, s45, v3
	s_delay_alu instid0(VALU_DEP_2) | instskip(SKIP_1) | instid1(VALU_DEP_2)
	v_add_nc_u32_e32 v7, v8, v7
	v_mul_lo_u32 v8, s0, v3
	v_add_nc_u32_e32 v7, v7, v9
	s_delay_alu instid0(VALU_DEP_2) | instskip(NEXT) | instid1(VALU_DEP_2)
	v_mul_hi_u32 v9, v3, v8
	v_mul_lo_u32 v12, v3, v7
	v_mul_hi_u32 v13, v3, v7
	v_mul_hi_u32 v14, v5, v8
	v_mul_lo_u32 v8, v5, v8
	v_mul_hi_u32 v15, v5, v7
	v_mul_lo_u32 v7, v5, v7
	v_add_co_u32 v9, vcc_lo, v9, v12
	v_add_co_ci_u32_e32 v12, vcc_lo, 0, v13, vcc_lo
	s_delay_alu instid0(VALU_DEP_2) | instskip(NEXT) | instid1(VALU_DEP_2)
	v_add_co_u32 v8, vcc_lo, v9, v8
	v_add_co_ci_u32_e32 v8, vcc_lo, v12, v14, vcc_lo
	v_add_co_ci_u32_e32 v9, vcc_lo, 0, v15, vcc_lo
	v_ashrrev_i32_e32 v15, 31, v11
	s_delay_alu instid0(VALU_DEP_3) | instskip(NEXT) | instid1(VALU_DEP_3)
	v_add_co_u32 v7, vcc_lo, v8, v7
	v_add_co_ci_u32_e32 v8, vcc_lo, 0, v9, vcc_lo
	s_delay_alu instid0(VALU_DEP_2) | instskip(NEXT) | instid1(VALU_DEP_2)
	v_add_co_u32 v3, vcc_lo, v3, v7
	v_add_co_ci_u32_e32 v5, vcc_lo, v5, v8, vcc_lo
	s_delay_alu instid0(VALU_DEP_2) | instskip(SKIP_1) | instid1(VALU_DEP_3)
	v_mul_hi_u32 v7, s0, v3
	v_mul_lo_u32 v9, s45, v3
	v_mul_lo_u32 v8, s0, v5
	s_delay_alu instid0(VALU_DEP_1) | instskip(SKIP_1) | instid1(VALU_DEP_2)
	v_add_nc_u32_e32 v7, v7, v8
	v_mul_lo_u32 v8, s0, v3
	v_add_nc_u32_e32 v7, v7, v9
	s_delay_alu instid0(VALU_DEP_2) | instskip(NEXT) | instid1(VALU_DEP_2)
	v_mul_hi_u32 v9, v3, v8
	v_mul_lo_u32 v12, v3, v7
	v_mul_hi_u32 v13, v3, v7
	v_mul_hi_u32 v14, v5, v8
	v_mul_lo_u32 v8, v5, v8
	v_mul_hi_u32 v16, v5, v7
	v_mul_lo_u32 v7, v5, v7
	v_add_co_u32 v9, vcc_lo, v9, v12
	v_add_co_ci_u32_e32 v12, vcc_lo, 0, v13, vcc_lo
	s_delay_alu instid0(VALU_DEP_2) | instskip(NEXT) | instid1(VALU_DEP_2)
	v_add_co_u32 v8, vcc_lo, v9, v8
	v_add_co_ci_u32_e32 v8, vcc_lo, v12, v14, vcc_lo
	v_add_co_ci_u32_e32 v9, vcc_lo, 0, v16, vcc_lo
	v_add_co_u32 v12, vcc_lo, v10, v15
	v_add_co_ci_u32_e32 v11, vcc_lo, v11, v15, vcc_lo
	s_delay_alu instid0(VALU_DEP_4) | instskip(NEXT) | instid1(VALU_DEP_4)
	v_add_co_u32 v7, vcc_lo, v8, v7
	v_add_co_ci_u32_e32 v8, vcc_lo, 0, v9, vcc_lo
	s_delay_alu instid0(VALU_DEP_4) | instskip(NEXT) | instid1(VALU_DEP_3)
	v_xor_b32_e32 v9, v12, v15
	v_add_co_u32 v3, vcc_lo, v3, v7
	s_delay_alu instid0(VALU_DEP_3) | instskip(SKIP_1) | instid1(VALU_DEP_3)
	v_add_co_ci_u32_e32 v5, vcc_lo, v5, v8, vcc_lo
	v_xor_b32_e32 v16, v11, v15
	v_mul_hi_u32 v17, v9, v3
	s_delay_alu instid0(VALU_DEP_3) | instskip(NEXT) | instid1(VALU_DEP_3)
	v_mad_u64_u32 v[7:8], null, v9, v5, 0
	v_mad_u64_u32 v[11:12], null, v16, v3, 0
	;; [unrolled: 1-line block ×3, first 2 shown]
	s_delay_alu instid0(VALU_DEP_3) | instskip(NEXT) | instid1(VALU_DEP_4)
	v_add_co_u32 v3, vcc_lo, v17, v7
	v_add_co_ci_u32_e32 v5, vcc_lo, 0, v8, vcc_lo
	s_delay_alu instid0(VALU_DEP_2) | instskip(NEXT) | instid1(VALU_DEP_2)
	v_add_co_u32 v3, vcc_lo, v3, v11
	v_add_co_ci_u32_e32 v3, vcc_lo, v5, v12, vcc_lo
	v_add_co_ci_u32_e32 v5, vcc_lo, 0, v14, vcc_lo
	s_delay_alu instid0(VALU_DEP_2) | instskip(NEXT) | instid1(VALU_DEP_2)
	v_add_co_u32 v3, vcc_lo, v3, v13
	v_add_co_ci_u32_e32 v5, vcc_lo, 0, v5, vcc_lo
	s_delay_alu instid0(VALU_DEP_2) | instskip(SKIP_1) | instid1(VALU_DEP_3)
	v_mul_lo_u32 v11, s25, v3
	v_mad_u64_u32 v[7:8], null, s24, v3, 0
	v_mul_lo_u32 v12, s24, v5
	s_delay_alu instid0(VALU_DEP_2) | instskip(NEXT) | instid1(VALU_DEP_2)
	v_sub_co_u32 v7, vcc_lo, v9, v7
	v_add3_u32 v8, v8, v12, v11
	s_delay_alu instid0(VALU_DEP_1) | instskip(NEXT) | instid1(VALU_DEP_1)
	v_sub_nc_u32_e32 v11, v16, v8
	v_subrev_co_ci_u32_e64 v9, s0, s25, v11, vcc_lo
	v_add_co_u32 v11, s0, v3, 2
	s_delay_alu instid0(VALU_DEP_1) | instskip(SKIP_3) | instid1(VALU_DEP_3)
	v_add_co_ci_u32_e64 v12, s0, 0, v5, s0
	v_sub_co_u32 v13, s0, v7, s24
	v_sub_co_ci_u32_e32 v8, vcc_lo, v16, v8, vcc_lo
	v_subrev_co_ci_u32_e64 v9, s0, 0, v9, s0
	v_cmp_le_u32_e32 vcc_lo, s24, v13
	s_delay_alu instid0(VALU_DEP_3) | instskip(SKIP_1) | instid1(VALU_DEP_4)
	v_cmp_eq_u32_e64 s0, s25, v8
	v_cndmask_b32_e64 v13, 0, -1, vcc_lo
	v_cmp_le_u32_e32 vcc_lo, s25, v9
	v_cndmask_b32_e64 v14, 0, -1, vcc_lo
	v_cmp_le_u32_e32 vcc_lo, s24, v7
	;; [unrolled: 2-line block ×3, first 2 shown]
	v_cndmask_b32_e64 v16, 0, -1, vcc_lo
	v_cmp_eq_u32_e32 vcc_lo, s25, v9
	s_delay_alu instid0(VALU_DEP_2) | instskip(SKIP_3) | instid1(VALU_DEP_3)
	v_cndmask_b32_e64 v7, v16, v7, s0
	v_cndmask_b32_e32 v9, v14, v13, vcc_lo
	v_add_co_u32 v13, vcc_lo, v3, 1
	v_add_co_ci_u32_e32 v14, vcc_lo, 0, v5, vcc_lo
	v_cmp_ne_u32_e32 vcc_lo, 0, v9
	s_delay_alu instid0(VALU_DEP_2) | instskip(SKIP_2) | instid1(VALU_DEP_3)
	v_dual_cndmask_b32 v8, v14, v12 :: v_dual_cndmask_b32 v9, v13, v11
	v_cmp_ne_u32_e32 vcc_lo, 0, v7
	v_xor_b32_e32 v7, s22, v15
	v_cndmask_b32_e32 v3, v3, v9, vcc_lo
	s_delay_alu instid0(VALU_DEP_4) | instskip(SKIP_1) | instid1(VALU_DEP_3)
	v_cndmask_b32_e32 v5, v5, v8, vcc_lo
	v_xor_b32_e32 v9, s23, v15
	v_xor_b32_e32 v3, v3, v7
	s_delay_alu instid0(VALU_DEP_2) | instskip(NEXT) | instid1(VALU_DEP_2)
	v_xor_b32_e32 v5, v5, v9
	v_sub_co_u32 v8, vcc_lo, v3, v7
	s_delay_alu instid0(VALU_DEP_2)
	v_sub_co_ci_u32_e32 v9, vcc_lo, v5, v9, vcc_lo
.LBB57_16:                              ;   in Loop: Header=BB57_14 Depth=2
	s_and_not1_saveexec_b32 s0, s44
	s_cbranch_execz .LBB57_18
; %bb.17:                               ;   in Loop: Header=BB57_14 Depth=2
	v_cvt_f32_u32_e32 v3, s43
	s_sub_i32 s22, 0, s43
	v_mov_b32_e32 v9, v2
	s_delay_alu instid0(VALU_DEP_2) | instskip(SKIP_2) | instid1(VALU_DEP_1)
	v_rcp_iflag_f32_e32 v3, v3
	s_waitcnt_depctr 0xfff
	v_mul_f32_e32 v3, 0x4f7ffffe, v3
	v_cvt_u32_f32_e32 v3, v3
	s_delay_alu instid0(VALU_DEP_1) | instskip(NEXT) | instid1(VALU_DEP_1)
	v_mul_lo_u32 v5, s22, v3
	v_mul_hi_u32 v5, v3, v5
	s_delay_alu instid0(VALU_DEP_1) | instskip(NEXT) | instid1(VALU_DEP_1)
	v_add_nc_u32_e32 v3, v3, v5
	v_mul_hi_u32 v3, v10, v3
	s_delay_alu instid0(VALU_DEP_1) | instskip(SKIP_1) | instid1(VALU_DEP_2)
	v_mul_lo_u32 v5, v3, s43
	v_add_nc_u32_e32 v7, 1, v3
	v_sub_nc_u32_e32 v5, v10, v5
	s_delay_alu instid0(VALU_DEP_1) | instskip(SKIP_1) | instid1(VALU_DEP_4)
	v_cmp_le_u32_e32 vcc_lo, s43, v5
	v_subrev_nc_u32_e32 v8, s43, v5
	v_cndmask_b32_e32 v3, v3, v7, vcc_lo
	s_delay_alu instid0(VALU_DEP_1) | instskip(NEXT) | instid1(VALU_DEP_3)
	v_add_nc_u32_e32 v7, 1, v3
	v_cndmask_b32_e32 v5, v5, v8, vcc_lo
	s_delay_alu instid0(VALU_DEP_1) | instskip(NEXT) | instid1(VALU_DEP_3)
	v_cmp_le_u32_e32 vcc_lo, s43, v5
	v_cndmask_b32_e32 v8, v3, v7, vcc_lo
.LBB57_18:                              ;   in Loop: Header=BB57_14 Depth=2
	s_or_b32 exec_lo, exec_lo, s0
	s_add_u32 s20, s31, s20
	s_addc_u32 s21, s33, s21
	s_clause 0x1
	s_load_b32 s0, s[18:19], 0x6c
	s_load_b32 s18, s[20:21], 0x0
	v_mul_lo_u32 v3, v8, s43
	s_add_i32 s16, s16, -1
	s_delay_alu instid0(VALU_DEP_1) | instskip(SKIP_1) | instid1(VALU_DEP_1)
	v_sub_nc_u32_e32 v3, v10, v3
	s_waitcnt lgkmcnt(0)
	v_mad_u64_u32 v[10:11], null, s0, v3, v[6:7]
	v_mad_u64_u32 v[5:6], null, s18, v3, v[4:5]
	s_xor_b32 s0, s35, s42
	s_add_i32 s42, s42, 1
	s_cmp_lg_u32 s0, 2
	s_delay_alu instid0(VALU_DEP_2) | instskip(NEXT) | instid1(VALU_DEP_2)
	v_mov_b32_e32 v6, v10
	v_mov_b32_e32 v4, v5
	s_cbranch_scc0 .LBB57_21
; %bb.19:                               ;   in Loop: Header=BB57_14 Depth=2
	v_dual_mov_b32 v11, v9 :: v_dual_mov_b32 v10, v8
	s_branch .LBB57_14
.LBB57_20:                              ;   in Loop: Header=BB57_3 Depth=1
	s_mov_b32 s16, s34
.LBB57_21:                              ;   in Loop: Header=BB57_3 Depth=1
	s_and_b32 vcc_lo, exec_lo, s38
	s_cbranch_vccz .LBB57_40
.LBB57_22:                              ;   Parent Loop BB57_3 Depth=1
                                        ; =>  This Inner Loop Header: Depth=2
	s_lshl_b64 s[18:19], s[16:17], 2
                                        ; implicit-def: $vgpr10_vgpr11
	s_mov_b32 s22, exec_lo
	s_add_u32 s20, s27, s18
	s_addc_u32 s21, s28, s19
	s_load_b32 s42, s[20:21], 0x8
	s_waitcnt lgkmcnt(0)
	s_ashr_i32 s0, s42, 31
	s_delay_alu instid0(SALU_CYCLE_1) | instskip(NEXT) | instid1(VALU_DEP_1)
	v_or_b32_e32 v3, s0, v9
	v_cmpx_ne_u64_e32 0, v[2:3]
	s_xor_b32 s43, exec_lo, s22
	s_cbranch_execz .LBB57_24
; %bb.23:                               ;   in Loop: Header=BB57_22 Depth=2
	s_add_u32 s24, s42, s0
	s_mov_b32 s22, s0
	s_mov_b32 s23, s0
	s_addc_u32 s25, s0, s0
	s_delay_alu instid0(SALU_CYCLE_1) | instskip(NEXT) | instid1(SALU_CYCLE_1)
	s_xor_b64 s[24:25], s[24:25], s[22:23]
	v_cvt_f32_u32_e32 v3, s24
	v_cvt_f32_u32_e32 v5, s25
	s_sub_u32 s0, 0, s24
	s_subb_u32 s44, 0, s25
	s_delay_alu instid0(VALU_DEP_1) | instskip(NEXT) | instid1(VALU_DEP_1)
	v_fmac_f32_e32 v3, 0x4f800000, v5
	v_rcp_f32_e32 v3, v3
	s_waitcnt_depctr 0xfff
	v_mul_f32_e32 v3, 0x5f7ffffc, v3
	s_delay_alu instid0(VALU_DEP_1) | instskip(NEXT) | instid1(VALU_DEP_1)
	v_mul_f32_e32 v5, 0x2f800000, v3
	v_trunc_f32_e32 v5, v5
	s_delay_alu instid0(VALU_DEP_1) | instskip(SKIP_1) | instid1(VALU_DEP_2)
	v_fmac_f32_e32 v3, 0xcf800000, v5
	v_cvt_u32_f32_e32 v5, v5
	v_cvt_u32_f32_e32 v3, v3
	s_delay_alu instid0(VALU_DEP_2) | instskip(NEXT) | instid1(VALU_DEP_2)
	v_mul_lo_u32 v7, s0, v5
	v_mul_hi_u32 v10, s0, v3
	v_mul_lo_u32 v11, s44, v3
	s_delay_alu instid0(VALU_DEP_2) | instskip(SKIP_1) | instid1(VALU_DEP_2)
	v_add_nc_u32_e32 v7, v10, v7
	v_mul_lo_u32 v10, s0, v3
	v_add_nc_u32_e32 v7, v7, v11
	s_delay_alu instid0(VALU_DEP_2) | instskip(NEXT) | instid1(VALU_DEP_2)
	v_mul_hi_u32 v11, v3, v10
	v_mul_lo_u32 v12, v3, v7
	v_mul_hi_u32 v13, v3, v7
	v_mul_hi_u32 v14, v5, v10
	v_mul_lo_u32 v10, v5, v10
	v_mul_hi_u32 v15, v5, v7
	v_mul_lo_u32 v7, v5, v7
	v_add_co_u32 v11, vcc_lo, v11, v12
	v_add_co_ci_u32_e32 v12, vcc_lo, 0, v13, vcc_lo
	s_delay_alu instid0(VALU_DEP_2) | instskip(NEXT) | instid1(VALU_DEP_2)
	v_add_co_u32 v10, vcc_lo, v11, v10
	v_add_co_ci_u32_e32 v10, vcc_lo, v12, v14, vcc_lo
	v_add_co_ci_u32_e32 v11, vcc_lo, 0, v15, vcc_lo
	v_ashrrev_i32_e32 v15, 31, v9
	s_delay_alu instid0(VALU_DEP_3) | instskip(NEXT) | instid1(VALU_DEP_3)
	v_add_co_u32 v7, vcc_lo, v10, v7
	v_add_co_ci_u32_e32 v10, vcc_lo, 0, v11, vcc_lo
	s_delay_alu instid0(VALU_DEP_2) | instskip(NEXT) | instid1(VALU_DEP_2)
	v_add_co_u32 v3, vcc_lo, v3, v7
	v_add_co_ci_u32_e32 v5, vcc_lo, v5, v10, vcc_lo
	s_delay_alu instid0(VALU_DEP_2) | instskip(SKIP_1) | instid1(VALU_DEP_3)
	v_mul_hi_u32 v7, s0, v3
	v_mul_lo_u32 v11, s44, v3
	v_mul_lo_u32 v10, s0, v5
	s_delay_alu instid0(VALU_DEP_1) | instskip(SKIP_1) | instid1(VALU_DEP_2)
	v_add_nc_u32_e32 v7, v7, v10
	v_mul_lo_u32 v10, s0, v3
	v_add_nc_u32_e32 v7, v7, v11
	s_delay_alu instid0(VALU_DEP_2) | instskip(NEXT) | instid1(VALU_DEP_2)
	v_mul_hi_u32 v11, v3, v10
	v_mul_lo_u32 v12, v3, v7
	v_mul_hi_u32 v13, v3, v7
	v_mul_hi_u32 v14, v5, v10
	v_mul_lo_u32 v10, v5, v10
	v_mul_hi_u32 v16, v5, v7
	v_mul_lo_u32 v7, v5, v7
	v_add_co_u32 v11, vcc_lo, v11, v12
	v_add_co_ci_u32_e32 v12, vcc_lo, 0, v13, vcc_lo
	s_delay_alu instid0(VALU_DEP_2) | instskip(NEXT) | instid1(VALU_DEP_2)
	v_add_co_u32 v10, vcc_lo, v11, v10
	v_add_co_ci_u32_e32 v10, vcc_lo, v12, v14, vcc_lo
	v_add_co_ci_u32_e32 v11, vcc_lo, 0, v16, vcc_lo
	v_add_co_u32 v12, vcc_lo, v8, v15
	v_add_co_ci_u32_e32 v9, vcc_lo, v9, v15, vcc_lo
	s_delay_alu instid0(VALU_DEP_4) | instskip(NEXT) | instid1(VALU_DEP_4)
	v_add_co_u32 v7, vcc_lo, v10, v7
	v_add_co_ci_u32_e32 v10, vcc_lo, 0, v11, vcc_lo
	s_delay_alu instid0(VALU_DEP_4) | instskip(NEXT) | instid1(VALU_DEP_3)
	v_xor_b32_e32 v16, v12, v15
	v_add_co_u32 v3, vcc_lo, v3, v7
	s_delay_alu instid0(VALU_DEP_3) | instskip(SKIP_1) | instid1(VALU_DEP_3)
	v_add_co_ci_u32_e32 v5, vcc_lo, v5, v10, vcc_lo
	v_xor_b32_e32 v7, v9, v15
	v_mul_hi_u32 v17, v16, v3
	s_delay_alu instid0(VALU_DEP_3) | instskip(NEXT) | instid1(VALU_DEP_3)
	v_mad_u64_u32 v[9:10], null, v16, v5, 0
	v_mad_u64_u32 v[11:12], null, v7, v3, 0
	;; [unrolled: 1-line block ×3, first 2 shown]
	s_delay_alu instid0(VALU_DEP_3) | instskip(NEXT) | instid1(VALU_DEP_4)
	v_add_co_u32 v3, vcc_lo, v17, v9
	v_add_co_ci_u32_e32 v5, vcc_lo, 0, v10, vcc_lo
	s_delay_alu instid0(VALU_DEP_2) | instskip(NEXT) | instid1(VALU_DEP_2)
	v_add_co_u32 v3, vcc_lo, v3, v11
	v_add_co_ci_u32_e32 v3, vcc_lo, v5, v12, vcc_lo
	v_add_co_ci_u32_e32 v5, vcc_lo, 0, v14, vcc_lo
	s_delay_alu instid0(VALU_DEP_2) | instskip(NEXT) | instid1(VALU_DEP_2)
	v_add_co_u32 v3, vcc_lo, v3, v13
	v_add_co_ci_u32_e32 v5, vcc_lo, 0, v5, vcc_lo
	s_delay_alu instid0(VALU_DEP_2) | instskip(SKIP_1) | instid1(VALU_DEP_3)
	v_mul_lo_u32 v11, s25, v3
	v_mad_u64_u32 v[9:10], null, s24, v3, 0
	v_mul_lo_u32 v12, s24, v5
	s_delay_alu instid0(VALU_DEP_2) | instskip(NEXT) | instid1(VALU_DEP_2)
	v_sub_co_u32 v9, vcc_lo, v16, v9
	v_add3_u32 v10, v10, v12, v11
	s_delay_alu instid0(VALU_DEP_1) | instskip(NEXT) | instid1(VALU_DEP_1)
	v_sub_nc_u32_e32 v11, v7, v10
	v_subrev_co_ci_u32_e64 v11, s0, s25, v11, vcc_lo
	v_add_co_u32 v12, s0, v3, 2
	s_delay_alu instid0(VALU_DEP_1) | instskip(SKIP_3) | instid1(VALU_DEP_3)
	v_add_co_ci_u32_e64 v13, s0, 0, v5, s0
	v_sub_co_u32 v14, s0, v9, s24
	v_sub_co_ci_u32_e32 v7, vcc_lo, v7, v10, vcc_lo
	v_subrev_co_ci_u32_e64 v11, s0, 0, v11, s0
	v_cmp_le_u32_e32 vcc_lo, s24, v14
	s_delay_alu instid0(VALU_DEP_3) | instskip(SKIP_1) | instid1(VALU_DEP_4)
	v_cmp_eq_u32_e64 s0, s25, v7
	v_cndmask_b32_e64 v10, 0, -1, vcc_lo
	v_cmp_le_u32_e32 vcc_lo, s25, v11
	v_cndmask_b32_e64 v14, 0, -1, vcc_lo
	v_cmp_le_u32_e32 vcc_lo, s24, v9
	;; [unrolled: 2-line block ×3, first 2 shown]
	v_cndmask_b32_e64 v16, 0, -1, vcc_lo
	v_cmp_eq_u32_e32 vcc_lo, s25, v11
	s_delay_alu instid0(VALU_DEP_2) | instskip(SKIP_3) | instid1(VALU_DEP_3)
	v_cndmask_b32_e64 v7, v16, v9, s0
	v_cndmask_b32_e32 v10, v14, v10, vcc_lo
	v_add_co_u32 v11, vcc_lo, v3, 1
	v_add_co_ci_u32_e32 v14, vcc_lo, 0, v5, vcc_lo
	v_cmp_ne_u32_e32 vcc_lo, 0, v10
	s_delay_alu instid0(VALU_DEP_2) | instskip(SKIP_2) | instid1(VALU_DEP_3)
	v_dual_cndmask_b32 v10, v11, v12 :: v_dual_cndmask_b32 v9, v14, v13
	v_cmp_ne_u32_e32 vcc_lo, 0, v7
	v_xor_b32_e32 v7, s22, v15
	v_cndmask_b32_e32 v3, v3, v10, vcc_lo
	s_delay_alu instid0(VALU_DEP_4) | instskip(SKIP_1) | instid1(VALU_DEP_3)
	v_cndmask_b32_e32 v5, v5, v9, vcc_lo
	v_xor_b32_e32 v9, s23, v15
	v_xor_b32_e32 v3, v3, v7
	s_delay_alu instid0(VALU_DEP_2) | instskip(NEXT) | instid1(VALU_DEP_2)
	v_xor_b32_e32 v5, v5, v9
	v_sub_co_u32 v10, vcc_lo, v3, v7
	s_delay_alu instid0(VALU_DEP_2)
	v_sub_co_ci_u32_e32 v11, vcc_lo, v5, v9, vcc_lo
.LBB57_24:                              ;   in Loop: Header=BB57_22 Depth=2
	s_and_not1_saveexec_b32 s0, s43
	s_cbranch_execz .LBB57_26
; %bb.25:                               ;   in Loop: Header=BB57_22 Depth=2
	v_cvt_f32_u32_e32 v3, s42
	s_sub_i32 s22, 0, s42
	v_mov_b32_e32 v11, v2
	s_delay_alu instid0(VALU_DEP_2) | instskip(SKIP_2) | instid1(VALU_DEP_1)
	v_rcp_iflag_f32_e32 v3, v3
	s_waitcnt_depctr 0xfff
	v_mul_f32_e32 v3, 0x4f7ffffe, v3
	v_cvt_u32_f32_e32 v3, v3
	s_delay_alu instid0(VALU_DEP_1) | instskip(NEXT) | instid1(VALU_DEP_1)
	v_mul_lo_u32 v5, s22, v3
	v_mul_hi_u32 v5, v3, v5
	s_delay_alu instid0(VALU_DEP_1) | instskip(NEXT) | instid1(VALU_DEP_1)
	v_add_nc_u32_e32 v3, v3, v5
	v_mul_hi_u32 v3, v8, v3
	s_delay_alu instid0(VALU_DEP_1) | instskip(SKIP_1) | instid1(VALU_DEP_2)
	v_mul_lo_u32 v5, v3, s42
	v_add_nc_u32_e32 v7, 1, v3
	v_sub_nc_u32_e32 v5, v8, v5
	s_delay_alu instid0(VALU_DEP_1) | instskip(SKIP_1) | instid1(VALU_DEP_4)
	v_cmp_le_u32_e32 vcc_lo, s42, v5
	v_subrev_nc_u32_e32 v9, s42, v5
	v_cndmask_b32_e32 v3, v3, v7, vcc_lo
	s_delay_alu instid0(VALU_DEP_1) | instskip(NEXT) | instid1(VALU_DEP_3)
	v_add_nc_u32_e32 v7, 1, v3
	v_cndmask_b32_e32 v5, v5, v9, vcc_lo
	s_delay_alu instid0(VALU_DEP_1) | instskip(NEXT) | instid1(VALU_DEP_3)
	v_cmp_le_u32_e32 vcc_lo, s42, v5
	v_cndmask_b32_e32 v10, v3, v7, vcc_lo
.LBB57_26:                              ;   in Loop: Header=BB57_22 Depth=2
	s_or_b32 exec_lo, exec_lo, s0
	s_add_u32 s24, s31, s18
	s_addc_u32 s25, s33, s19
	s_add_i32 s18, s16, -1
	s_mov_b32 s19, s17
                                        ; implicit-def: $vgpr12_vgpr13
	s_delay_alu instid0(SALU_CYCLE_1) | instskip(NEXT) | instid1(SALU_CYCLE_1)
	s_lshl_b64 s[22:23], s[18:19], 2
	s_add_u32 s18, s27, s22
	s_addc_u32 s19, s28, s23
	s_clause 0x2
	s_load_b32 s45, s[18:19], 0x8
	s_load_b32 s43, s[20:21], 0x6c
	;; [unrolled: 1-line block ×3, first 2 shown]
	s_mov_b32 s20, exec_lo
	s_waitcnt lgkmcnt(0)
	s_ashr_i32 s0, s45, 31
	s_delay_alu instid0(SALU_CYCLE_1) | instskip(NEXT) | instid1(VALU_DEP_1)
	v_or_b32_e32 v3, s0, v11
	v_cmpx_ne_u64_e32 0, v[2:3]
	s_xor_b32 s46, exec_lo, s20
	s_cbranch_execz .LBB57_28
; %bb.27:                               ;   in Loop: Header=BB57_22 Depth=2
	s_add_u32 s24, s45, s0
	s_mov_b32 s20, s0
	s_mov_b32 s21, s0
	s_addc_u32 s25, s0, s0
	v_ashrrev_i32_e32 v17, 31, v11
	s_xor_b64 s[24:25], s[24:25], s[20:21]
	s_delay_alu instid0(SALU_CYCLE_1) | instskip(SKIP_3) | instid1(VALU_DEP_1)
	v_cvt_f32_u32_e32 v3, s24
	v_cvt_f32_u32_e32 v5, s25
	s_sub_u32 s0, 0, s24
	s_subb_u32 s47, 0, s25
	v_fmac_f32_e32 v3, 0x4f800000, v5
	s_delay_alu instid0(VALU_DEP_1) | instskip(SKIP_2) | instid1(VALU_DEP_1)
	v_rcp_f32_e32 v3, v3
	s_waitcnt_depctr 0xfff
	v_mul_f32_e32 v3, 0x5f7ffffc, v3
	v_mul_f32_e32 v5, 0x2f800000, v3
	s_delay_alu instid0(VALU_DEP_1) | instskip(NEXT) | instid1(VALU_DEP_1)
	v_trunc_f32_e32 v5, v5
	v_fmac_f32_e32 v3, 0xcf800000, v5
	v_cvt_u32_f32_e32 v5, v5
	s_delay_alu instid0(VALU_DEP_2) | instskip(NEXT) | instid1(VALU_DEP_2)
	v_cvt_u32_f32_e32 v3, v3
	v_mul_lo_u32 v7, s0, v5
	s_delay_alu instid0(VALU_DEP_2) | instskip(SKIP_1) | instid1(VALU_DEP_2)
	v_mul_hi_u32 v9, s0, v3
	v_mul_lo_u32 v12, s47, v3
	v_add_nc_u32_e32 v7, v9, v7
	v_mul_lo_u32 v9, s0, v3
	s_delay_alu instid0(VALU_DEP_2) | instskip(NEXT) | instid1(VALU_DEP_2)
	v_add_nc_u32_e32 v7, v7, v12
	v_mul_hi_u32 v12, v3, v9
	s_delay_alu instid0(VALU_DEP_2)
	v_mul_lo_u32 v13, v3, v7
	v_mul_hi_u32 v14, v3, v7
	v_mul_hi_u32 v15, v5, v9
	v_mul_lo_u32 v9, v5, v9
	v_mul_hi_u32 v16, v5, v7
	v_mul_lo_u32 v7, v5, v7
	v_add_co_u32 v12, vcc_lo, v12, v13
	v_add_co_ci_u32_e32 v13, vcc_lo, 0, v14, vcc_lo
	s_delay_alu instid0(VALU_DEP_2) | instskip(NEXT) | instid1(VALU_DEP_2)
	v_add_co_u32 v9, vcc_lo, v12, v9
	v_add_co_ci_u32_e32 v9, vcc_lo, v13, v15, vcc_lo
	v_add_co_ci_u32_e32 v12, vcc_lo, 0, v16, vcc_lo
	s_delay_alu instid0(VALU_DEP_2) | instskip(NEXT) | instid1(VALU_DEP_2)
	v_add_co_u32 v7, vcc_lo, v9, v7
	v_add_co_ci_u32_e32 v9, vcc_lo, 0, v12, vcc_lo
	s_delay_alu instid0(VALU_DEP_2) | instskip(NEXT) | instid1(VALU_DEP_2)
	v_add_co_u32 v3, vcc_lo, v3, v7
	v_add_co_ci_u32_e32 v5, vcc_lo, v5, v9, vcc_lo
	s_delay_alu instid0(VALU_DEP_2) | instskip(SKIP_1) | instid1(VALU_DEP_3)
	v_mul_hi_u32 v7, s0, v3
	v_mul_lo_u32 v12, s47, v3
	v_mul_lo_u32 v9, s0, v5
	s_delay_alu instid0(VALU_DEP_1) | instskip(SKIP_1) | instid1(VALU_DEP_2)
	v_add_nc_u32_e32 v7, v7, v9
	v_mul_lo_u32 v9, s0, v3
	v_add_nc_u32_e32 v7, v7, v12
	s_delay_alu instid0(VALU_DEP_2) | instskip(NEXT) | instid1(VALU_DEP_2)
	v_mul_hi_u32 v12, v3, v9
	v_mul_lo_u32 v13, v3, v7
	v_mul_hi_u32 v14, v3, v7
	v_mul_hi_u32 v15, v5, v9
	v_mul_lo_u32 v9, v5, v9
	v_mul_hi_u32 v16, v5, v7
	v_mul_lo_u32 v7, v5, v7
	v_add_co_u32 v12, vcc_lo, v12, v13
	v_add_co_ci_u32_e32 v13, vcc_lo, 0, v14, vcc_lo
	s_delay_alu instid0(VALU_DEP_2) | instskip(NEXT) | instid1(VALU_DEP_2)
	v_add_co_u32 v9, vcc_lo, v12, v9
	v_add_co_ci_u32_e32 v9, vcc_lo, v13, v15, vcc_lo
	v_add_co_ci_u32_e32 v12, vcc_lo, 0, v16, vcc_lo
	v_add_co_u32 v13, vcc_lo, v10, v17
	v_add_co_ci_u32_e32 v11, vcc_lo, v11, v17, vcc_lo
	s_delay_alu instid0(VALU_DEP_4) | instskip(NEXT) | instid1(VALU_DEP_4)
	v_add_co_u32 v7, vcc_lo, v9, v7
	v_add_co_ci_u32_e32 v9, vcc_lo, 0, v12, vcc_lo
	s_delay_alu instid0(VALU_DEP_4) | instskip(NEXT) | instid1(VALU_DEP_3)
	v_xor_b32_e32 v21, v13, v17
	v_add_co_u32 v3, vcc_lo, v3, v7
	s_delay_alu instid0(VALU_DEP_3) | instskip(SKIP_1) | instid1(VALU_DEP_3)
	v_add_co_ci_u32_e32 v5, vcc_lo, v5, v9, vcc_lo
	v_xor_b32_e32 v7, v11, v17
	v_mul_hi_u32 v9, v21, v3
	s_delay_alu instid0(VALU_DEP_3) | instskip(NEXT) | instid1(VALU_DEP_3)
	v_mad_u64_u32 v[11:12], null, v21, v5, 0
	v_mad_u64_u32 v[13:14], null, v7, v3, 0
	;; [unrolled: 1-line block ×3, first 2 shown]
	s_delay_alu instid0(VALU_DEP_3) | instskip(NEXT) | instid1(VALU_DEP_4)
	v_add_co_u32 v3, vcc_lo, v9, v11
	v_add_co_ci_u32_e32 v5, vcc_lo, 0, v12, vcc_lo
	s_delay_alu instid0(VALU_DEP_2) | instskip(NEXT) | instid1(VALU_DEP_2)
	v_add_co_u32 v3, vcc_lo, v3, v13
	v_add_co_ci_u32_e32 v3, vcc_lo, v5, v14, vcc_lo
	v_add_co_ci_u32_e32 v5, vcc_lo, 0, v16, vcc_lo
	s_delay_alu instid0(VALU_DEP_2) | instskip(NEXT) | instid1(VALU_DEP_2)
	v_add_co_u32 v3, vcc_lo, v3, v15
	v_add_co_ci_u32_e32 v5, vcc_lo, 0, v5, vcc_lo
	s_delay_alu instid0(VALU_DEP_2) | instskip(SKIP_1) | instid1(VALU_DEP_3)
	v_mul_lo_u32 v9, s25, v3
	v_mad_u64_u32 v[11:12], null, s24, v3, 0
	v_mul_lo_u32 v13, s24, v5
	s_delay_alu instid0(VALU_DEP_2) | instskip(NEXT) | instid1(VALU_DEP_2)
	v_sub_co_u32 v11, vcc_lo, v21, v11
	v_add3_u32 v9, v12, v13, v9
	s_delay_alu instid0(VALU_DEP_1) | instskip(NEXT) | instid1(VALU_DEP_1)
	v_sub_nc_u32_e32 v12, v7, v9
	v_subrev_co_ci_u32_e64 v12, s0, s25, v12, vcc_lo
	v_add_co_u32 v13, s0, v3, 2
	s_delay_alu instid0(VALU_DEP_1) | instskip(SKIP_3) | instid1(VALU_DEP_3)
	v_add_co_ci_u32_e64 v14, s0, 0, v5, s0
	v_sub_co_u32 v15, s0, v11, s24
	v_sub_co_ci_u32_e32 v7, vcc_lo, v7, v9, vcc_lo
	v_subrev_co_ci_u32_e64 v12, s0, 0, v12, s0
	v_cmp_le_u32_e32 vcc_lo, s24, v15
	s_delay_alu instid0(VALU_DEP_3) | instskip(SKIP_1) | instid1(VALU_DEP_4)
	v_cmp_eq_u32_e64 s0, s25, v7
	v_cndmask_b32_e64 v9, 0, -1, vcc_lo
	v_cmp_le_u32_e32 vcc_lo, s25, v12
	v_cndmask_b32_e64 v15, 0, -1, vcc_lo
	v_cmp_le_u32_e32 vcc_lo, s24, v11
	;; [unrolled: 2-line block ×3, first 2 shown]
	v_cndmask_b32_e64 v16, 0, -1, vcc_lo
	v_cmp_eq_u32_e32 vcc_lo, s25, v12
	s_delay_alu instid0(VALU_DEP_2) | instskip(SKIP_3) | instid1(VALU_DEP_3)
	v_cndmask_b32_e64 v7, v16, v11, s0
	v_cndmask_b32_e32 v9, v15, v9, vcc_lo
	v_add_co_u32 v12, vcc_lo, v3, 1
	v_add_co_ci_u32_e32 v15, vcc_lo, 0, v5, vcc_lo
	v_cmp_ne_u32_e32 vcc_lo, 0, v9
	s_delay_alu instid0(VALU_DEP_2) | instskip(NEXT) | instid1(VALU_DEP_4)
	v_cndmask_b32_e32 v9, v15, v14, vcc_lo
	v_cndmask_b32_e32 v11, v12, v13, vcc_lo
	v_cmp_ne_u32_e32 vcc_lo, 0, v7
	v_xor_b32_e32 v7, s20, v17
	s_delay_alu instid0(VALU_DEP_3) | instskip(SKIP_2) | instid1(VALU_DEP_3)
	v_cndmask_b32_e32 v3, v3, v11, vcc_lo
	v_cndmask_b32_e32 v5, v5, v9, vcc_lo
	v_xor_b32_e32 v9, s21, v17
	v_xor_b32_e32 v3, v3, v7
	s_delay_alu instid0(VALU_DEP_2) | instskip(NEXT) | instid1(VALU_DEP_2)
	v_xor_b32_e32 v5, v5, v9
	v_sub_co_u32 v12, vcc_lo, v3, v7
	s_delay_alu instid0(VALU_DEP_2)
	v_sub_co_ci_u32_e32 v13, vcc_lo, v5, v9, vcc_lo
.LBB57_28:                              ;   in Loop: Header=BB57_22 Depth=2
	s_and_not1_saveexec_b32 s0, s46
	s_cbranch_execz .LBB57_30
; %bb.29:                               ;   in Loop: Header=BB57_22 Depth=2
	v_cvt_f32_u32_e32 v3, s45
	s_sub_i32 s20, 0, s45
	v_mov_b32_e32 v13, v2
	s_delay_alu instid0(VALU_DEP_2) | instskip(SKIP_2) | instid1(VALU_DEP_1)
	v_rcp_iflag_f32_e32 v3, v3
	s_waitcnt_depctr 0xfff
	v_mul_f32_e32 v3, 0x4f7ffffe, v3
	v_cvt_u32_f32_e32 v3, v3
	s_delay_alu instid0(VALU_DEP_1) | instskip(NEXT) | instid1(VALU_DEP_1)
	v_mul_lo_u32 v5, s20, v3
	v_mul_hi_u32 v5, v3, v5
	s_delay_alu instid0(VALU_DEP_1) | instskip(NEXT) | instid1(VALU_DEP_1)
	v_add_nc_u32_e32 v3, v3, v5
	v_mul_hi_u32 v3, v10, v3
	s_delay_alu instid0(VALU_DEP_1) | instskip(SKIP_1) | instid1(VALU_DEP_2)
	v_mul_lo_u32 v5, v3, s45
	v_add_nc_u32_e32 v7, 1, v3
	v_sub_nc_u32_e32 v5, v10, v5
	s_delay_alu instid0(VALU_DEP_1) | instskip(SKIP_1) | instid1(VALU_DEP_4)
	v_cmp_le_u32_e32 vcc_lo, s45, v5
	v_subrev_nc_u32_e32 v9, s45, v5
	v_cndmask_b32_e32 v3, v3, v7, vcc_lo
	s_delay_alu instid0(VALU_DEP_1) | instskip(NEXT) | instid1(VALU_DEP_3)
	v_add_nc_u32_e32 v7, 1, v3
	v_cndmask_b32_e32 v5, v5, v9, vcc_lo
	s_delay_alu instid0(VALU_DEP_1) | instskip(NEXT) | instid1(VALU_DEP_3)
	v_cmp_le_u32_e32 vcc_lo, s45, v5
	v_cndmask_b32_e32 v12, v3, v7, vcc_lo
.LBB57_30:                              ;   in Loop: Header=BB57_22 Depth=2
	s_or_b32 exec_lo, exec_lo, s0
	s_add_u32 s24, s31, s22
	s_addc_u32 s25, s33, s23
	s_add_i32 s20, s16, -2
	s_mov_b32 s21, s17
                                        ; implicit-def: $vgpr14_vgpr15
	s_delay_alu instid0(SALU_CYCLE_1) | instskip(NEXT) | instid1(SALU_CYCLE_1)
	s_lshl_b64 s[20:21], s[20:21], 2
	s_add_u32 s22, s27, s20
	s_addc_u32 s23, s28, s21
	s_clause 0x2
	s_load_b32 s48, s[22:23], 0x8
	s_load_b32 s46, s[18:19], 0x6c
	;; [unrolled: 1-line block ×3, first 2 shown]
	s_mov_b32 s18, exec_lo
	s_waitcnt lgkmcnt(0)
	s_ashr_i32 s0, s48, 31
	s_delay_alu instid0(SALU_CYCLE_1) | instskip(NEXT) | instid1(VALU_DEP_1)
	v_or_b32_e32 v3, s0, v13
	v_cmpx_ne_u64_e32 0, v[2:3]
	s_xor_b32 s49, exec_lo, s18
	s_cbranch_execz .LBB57_32
; %bb.31:                               ;   in Loop: Header=BB57_22 Depth=2
	s_add_u32 s24, s48, s0
	s_mov_b32 s18, s0
	s_mov_b32 s19, s0
	s_addc_u32 s25, s0, s0
	s_delay_alu instid0(SALU_CYCLE_1) | instskip(NEXT) | instid1(SALU_CYCLE_1)
	s_xor_b64 s[24:25], s[24:25], s[18:19]
	v_cvt_f32_u32_e32 v3, s24
	v_cvt_f32_u32_e32 v5, s25
	s_sub_u32 s0, 0, s24
	s_subb_u32 s50, 0, s25
	s_delay_alu instid0(VALU_DEP_1) | instskip(NEXT) | instid1(VALU_DEP_1)
	v_fmac_f32_e32 v3, 0x4f800000, v5
	v_rcp_f32_e32 v3, v3
	s_waitcnt_depctr 0xfff
	v_mul_f32_e32 v3, 0x5f7ffffc, v3
	s_delay_alu instid0(VALU_DEP_1) | instskip(NEXT) | instid1(VALU_DEP_1)
	v_mul_f32_e32 v5, 0x2f800000, v3
	v_trunc_f32_e32 v5, v5
	s_delay_alu instid0(VALU_DEP_1) | instskip(SKIP_1) | instid1(VALU_DEP_2)
	v_fmac_f32_e32 v3, 0xcf800000, v5
	v_cvt_u32_f32_e32 v5, v5
	v_cvt_u32_f32_e32 v3, v3
	s_delay_alu instid0(VALU_DEP_2) | instskip(NEXT) | instid1(VALU_DEP_2)
	v_mul_lo_u32 v7, s0, v5
	v_mul_hi_u32 v9, s0, v3
	v_mul_lo_u32 v11, s50, v3
	s_delay_alu instid0(VALU_DEP_2) | instskip(SKIP_1) | instid1(VALU_DEP_2)
	v_add_nc_u32_e32 v7, v9, v7
	v_mul_lo_u32 v9, s0, v3
	v_add_nc_u32_e32 v7, v7, v11
	s_delay_alu instid0(VALU_DEP_2) | instskip(NEXT) | instid1(VALU_DEP_2)
	v_mul_hi_u32 v11, v3, v9
	v_mul_lo_u32 v14, v3, v7
	v_mul_hi_u32 v15, v3, v7
	v_mul_hi_u32 v16, v5, v9
	v_mul_lo_u32 v9, v5, v9
	v_mul_hi_u32 v17, v5, v7
	v_mul_lo_u32 v7, v5, v7
	v_add_co_u32 v11, vcc_lo, v11, v14
	v_add_co_ci_u32_e32 v14, vcc_lo, 0, v15, vcc_lo
	s_delay_alu instid0(VALU_DEP_2) | instskip(NEXT) | instid1(VALU_DEP_2)
	v_add_co_u32 v9, vcc_lo, v11, v9
	v_add_co_ci_u32_e32 v9, vcc_lo, v14, v16, vcc_lo
	v_add_co_ci_u32_e32 v11, vcc_lo, 0, v17, vcc_lo
	v_ashrrev_i32_e32 v17, 31, v13
	s_delay_alu instid0(VALU_DEP_3) | instskip(NEXT) | instid1(VALU_DEP_3)
	v_add_co_u32 v7, vcc_lo, v9, v7
	v_add_co_ci_u32_e32 v9, vcc_lo, 0, v11, vcc_lo
	s_delay_alu instid0(VALU_DEP_2) | instskip(NEXT) | instid1(VALU_DEP_2)
	v_add_co_u32 v3, vcc_lo, v3, v7
	v_add_co_ci_u32_e32 v5, vcc_lo, v5, v9, vcc_lo
	s_delay_alu instid0(VALU_DEP_2) | instskip(SKIP_1) | instid1(VALU_DEP_3)
	v_mul_hi_u32 v7, s0, v3
	v_mul_lo_u32 v11, s50, v3
	v_mul_lo_u32 v9, s0, v5
	s_delay_alu instid0(VALU_DEP_1) | instskip(SKIP_1) | instid1(VALU_DEP_2)
	v_add_nc_u32_e32 v7, v7, v9
	v_mul_lo_u32 v9, s0, v3
	v_add_nc_u32_e32 v7, v7, v11
	s_delay_alu instid0(VALU_DEP_2) | instskip(NEXT) | instid1(VALU_DEP_2)
	v_mul_hi_u32 v11, v3, v9
	v_mul_lo_u32 v14, v3, v7
	v_mul_hi_u32 v15, v3, v7
	v_mul_hi_u32 v16, v5, v9
	v_mul_lo_u32 v9, v5, v9
	v_mul_hi_u32 v21, v5, v7
	v_mul_lo_u32 v7, v5, v7
	v_add_co_u32 v11, vcc_lo, v11, v14
	v_add_co_ci_u32_e32 v14, vcc_lo, 0, v15, vcc_lo
	s_delay_alu instid0(VALU_DEP_2) | instskip(NEXT) | instid1(VALU_DEP_2)
	v_add_co_u32 v9, vcc_lo, v11, v9
	v_add_co_ci_u32_e32 v9, vcc_lo, v14, v16, vcc_lo
	v_add_co_ci_u32_e32 v11, vcc_lo, 0, v21, vcc_lo
	v_add_co_u32 v14, vcc_lo, v12, v17
	v_add_co_ci_u32_e32 v13, vcc_lo, v13, v17, vcc_lo
	s_delay_alu instid0(VALU_DEP_4) | instskip(NEXT) | instid1(VALU_DEP_4)
	v_add_co_u32 v7, vcc_lo, v9, v7
	v_add_co_ci_u32_e32 v9, vcc_lo, 0, v11, vcc_lo
	s_delay_alu instid0(VALU_DEP_4) | instskip(NEXT) | instid1(VALU_DEP_3)
	v_xor_b32_e32 v11, v14, v17
	v_add_co_u32 v3, vcc_lo, v3, v7
	s_delay_alu instid0(VALU_DEP_3) | instskip(SKIP_1) | instid1(VALU_DEP_3)
	v_add_co_ci_u32_e32 v5, vcc_lo, v5, v9, vcc_lo
	v_xor_b32_e32 v7, v13, v17
	v_mul_hi_u32 v9, v11, v3
	s_delay_alu instid0(VALU_DEP_3) | instskip(NEXT) | instid1(VALU_DEP_3)
	v_mad_u64_u32 v[13:14], null, v11, v5, 0
	v_mad_u64_u32 v[15:16], null, v7, v3, 0
	;; [unrolled: 1-line block ×3, first 2 shown]
	s_delay_alu instid0(VALU_DEP_3) | instskip(NEXT) | instid1(VALU_DEP_4)
	v_add_co_u32 v3, vcc_lo, v9, v13
	v_add_co_ci_u32_e32 v5, vcc_lo, 0, v14, vcc_lo
	s_delay_alu instid0(VALU_DEP_2) | instskip(NEXT) | instid1(VALU_DEP_2)
	v_add_co_u32 v3, vcc_lo, v3, v15
	v_add_co_ci_u32_e32 v3, vcc_lo, v5, v16, vcc_lo
	v_add_co_ci_u32_e32 v5, vcc_lo, 0, v22, vcc_lo
	s_delay_alu instid0(VALU_DEP_2) | instskip(NEXT) | instid1(VALU_DEP_2)
	v_add_co_u32 v3, vcc_lo, v3, v21
	v_add_co_ci_u32_e32 v5, vcc_lo, 0, v5, vcc_lo
	s_delay_alu instid0(VALU_DEP_2) | instskip(SKIP_1) | instid1(VALU_DEP_3)
	v_mul_lo_u32 v9, s25, v3
	v_mad_u64_u32 v[13:14], null, s24, v3, 0
	v_mul_lo_u32 v15, s24, v5
	s_delay_alu instid0(VALU_DEP_2) | instskip(NEXT) | instid1(VALU_DEP_2)
	v_sub_co_u32 v11, vcc_lo, v11, v13
	v_add3_u32 v9, v14, v15, v9
	s_delay_alu instid0(VALU_DEP_1) | instskip(NEXT) | instid1(VALU_DEP_1)
	v_sub_nc_u32_e32 v14, v7, v9
	v_subrev_co_ci_u32_e64 v13, s0, s25, v14, vcc_lo
	v_add_co_u32 v14, s0, v3, 2
	s_delay_alu instid0(VALU_DEP_1) | instskip(SKIP_3) | instid1(VALU_DEP_3)
	v_add_co_ci_u32_e64 v15, s0, 0, v5, s0
	v_sub_co_u32 v16, s0, v11, s24
	v_sub_co_ci_u32_e32 v7, vcc_lo, v7, v9, vcc_lo
	v_subrev_co_ci_u32_e64 v13, s0, 0, v13, s0
	v_cmp_le_u32_e32 vcc_lo, s24, v16
	s_delay_alu instid0(VALU_DEP_3) | instskip(SKIP_1) | instid1(VALU_DEP_4)
	v_cmp_eq_u32_e64 s0, s25, v7
	v_cndmask_b32_e64 v9, 0, -1, vcc_lo
	v_cmp_le_u32_e32 vcc_lo, s25, v13
	v_cndmask_b32_e64 v16, 0, -1, vcc_lo
	v_cmp_le_u32_e32 vcc_lo, s24, v11
	;; [unrolled: 2-line block ×3, first 2 shown]
	v_cndmask_b32_e64 v21, 0, -1, vcc_lo
	v_cmp_eq_u32_e32 vcc_lo, s25, v13
	s_delay_alu instid0(VALU_DEP_2) | instskip(SKIP_3) | instid1(VALU_DEP_3)
	v_cndmask_b32_e64 v7, v21, v11, s0
	v_cndmask_b32_e32 v9, v16, v9, vcc_lo
	v_add_co_u32 v13, vcc_lo, v3, 1
	v_add_co_ci_u32_e32 v16, vcc_lo, 0, v5, vcc_lo
	v_cmp_ne_u32_e32 vcc_lo, 0, v9
	s_delay_alu instid0(VALU_DEP_2) | instskip(NEXT) | instid1(VALU_DEP_4)
	v_cndmask_b32_e32 v9, v16, v15, vcc_lo
	v_cndmask_b32_e32 v11, v13, v14, vcc_lo
	v_cmp_ne_u32_e32 vcc_lo, 0, v7
	v_xor_b32_e32 v7, s18, v17
	s_delay_alu instid0(VALU_DEP_3) | instskip(SKIP_2) | instid1(VALU_DEP_3)
	v_cndmask_b32_e32 v3, v3, v11, vcc_lo
	v_cndmask_b32_e32 v5, v5, v9, vcc_lo
	v_xor_b32_e32 v9, s19, v17
	v_xor_b32_e32 v3, v3, v7
	s_delay_alu instid0(VALU_DEP_2) | instskip(NEXT) | instid1(VALU_DEP_2)
	v_xor_b32_e32 v5, v5, v9
	v_sub_co_u32 v14, vcc_lo, v3, v7
	s_delay_alu instid0(VALU_DEP_2)
	v_sub_co_ci_u32_e32 v15, vcc_lo, v5, v9, vcc_lo
.LBB57_32:                              ;   in Loop: Header=BB57_22 Depth=2
	s_and_not1_saveexec_b32 s0, s49
	s_cbranch_execz .LBB57_34
; %bb.33:                               ;   in Loop: Header=BB57_22 Depth=2
	v_cvt_f32_u32_e32 v3, s48
	s_sub_i32 s18, 0, s48
	v_mov_b32_e32 v15, v2
	s_delay_alu instid0(VALU_DEP_2) | instskip(SKIP_2) | instid1(VALU_DEP_1)
	v_rcp_iflag_f32_e32 v3, v3
	s_waitcnt_depctr 0xfff
	v_mul_f32_e32 v3, 0x4f7ffffe, v3
	v_cvt_u32_f32_e32 v3, v3
	s_delay_alu instid0(VALU_DEP_1) | instskip(NEXT) | instid1(VALU_DEP_1)
	v_mul_lo_u32 v5, s18, v3
	v_mul_hi_u32 v5, v3, v5
	s_delay_alu instid0(VALU_DEP_1) | instskip(NEXT) | instid1(VALU_DEP_1)
	v_add_nc_u32_e32 v3, v3, v5
	v_mul_hi_u32 v3, v12, v3
	s_delay_alu instid0(VALU_DEP_1) | instskip(SKIP_1) | instid1(VALU_DEP_2)
	v_mul_lo_u32 v5, v3, s48
	v_add_nc_u32_e32 v7, 1, v3
	v_sub_nc_u32_e32 v5, v12, v5
	s_delay_alu instid0(VALU_DEP_1) | instskip(SKIP_1) | instid1(VALU_DEP_4)
	v_cmp_le_u32_e32 vcc_lo, s48, v5
	v_subrev_nc_u32_e32 v9, s48, v5
	v_cndmask_b32_e32 v3, v3, v7, vcc_lo
	s_delay_alu instid0(VALU_DEP_1) | instskip(NEXT) | instid1(VALU_DEP_3)
	v_add_nc_u32_e32 v7, 1, v3
	v_cndmask_b32_e32 v5, v5, v9, vcc_lo
	s_delay_alu instid0(VALU_DEP_1) | instskip(NEXT) | instid1(VALU_DEP_3)
	v_cmp_le_u32_e32 vcc_lo, s48, v5
	v_cndmask_b32_e32 v14, v3, v7, vcc_lo
.LBB57_34:                              ;   in Loop: Header=BB57_22 Depth=2
	s_or_b32 exec_lo, exec_lo, s0
	s_add_u32 s24, s31, s20
	s_addc_u32 s25, s33, s21
	s_add_i32 s18, s16, -3
	s_mov_b32 s19, s17
                                        ; implicit-def: $vgpr16_vgpr17
	s_delay_alu instid0(SALU_CYCLE_1) | instskip(NEXT) | instid1(SALU_CYCLE_1)
	s_lshl_b64 s[20:21], s[18:19], 2
	s_add_u32 s18, s27, s20
	s_addc_u32 s19, s28, s21
	s_clause 0x2
	s_load_b32 s51, s[18:19], 0x8
	s_load_b32 s49, s[22:23], 0x6c
	;; [unrolled: 1-line block ×3, first 2 shown]
	s_mov_b32 s22, exec_lo
	s_waitcnt lgkmcnt(0)
	s_ashr_i32 s0, s51, 31
	s_delay_alu instid0(SALU_CYCLE_1) | instskip(NEXT) | instid1(VALU_DEP_1)
	v_or_b32_e32 v3, s0, v15
	v_cmpx_ne_u64_e32 0, v[2:3]
	s_xor_b32 s52, exec_lo, s22
	s_cbranch_execz .LBB57_36
; %bb.35:                               ;   in Loop: Header=BB57_22 Depth=2
	s_add_u32 s24, s51, s0
	s_mov_b32 s22, s0
	s_mov_b32 s23, s0
	s_addc_u32 s25, s0, s0
	s_delay_alu instid0(SALU_CYCLE_1) | instskip(NEXT) | instid1(SALU_CYCLE_1)
	s_xor_b64 s[24:25], s[24:25], s[22:23]
	v_cvt_f32_u32_e32 v3, s24
	v_cvt_f32_u32_e32 v5, s25
	s_sub_u32 s0, 0, s24
	s_subb_u32 s53, 0, s25
	s_delay_alu instid0(VALU_DEP_1) | instskip(NEXT) | instid1(VALU_DEP_1)
	v_fmac_f32_e32 v3, 0x4f800000, v5
	v_rcp_f32_e32 v3, v3
	s_waitcnt_depctr 0xfff
	v_mul_f32_e32 v3, 0x5f7ffffc, v3
	s_delay_alu instid0(VALU_DEP_1) | instskip(NEXT) | instid1(VALU_DEP_1)
	v_mul_f32_e32 v5, 0x2f800000, v3
	v_trunc_f32_e32 v5, v5
	s_delay_alu instid0(VALU_DEP_1) | instskip(SKIP_1) | instid1(VALU_DEP_2)
	v_fmac_f32_e32 v3, 0xcf800000, v5
	v_cvt_u32_f32_e32 v5, v5
	v_cvt_u32_f32_e32 v3, v3
	s_delay_alu instid0(VALU_DEP_2) | instskip(NEXT) | instid1(VALU_DEP_2)
	v_mul_lo_u32 v7, s0, v5
	v_mul_hi_u32 v9, s0, v3
	v_mul_lo_u32 v11, s53, v3
	s_delay_alu instid0(VALU_DEP_2) | instskip(SKIP_1) | instid1(VALU_DEP_2)
	v_add_nc_u32_e32 v7, v9, v7
	v_mul_lo_u32 v9, s0, v3
	v_add_nc_u32_e32 v7, v7, v11
	s_delay_alu instid0(VALU_DEP_2) | instskip(NEXT) | instid1(VALU_DEP_2)
	v_mul_hi_u32 v11, v3, v9
	v_mul_lo_u32 v13, v3, v7
	v_mul_hi_u32 v16, v3, v7
	v_mul_hi_u32 v17, v5, v9
	v_mul_lo_u32 v9, v5, v9
	v_mul_hi_u32 v21, v5, v7
	v_mul_lo_u32 v7, v5, v7
	v_add_co_u32 v11, vcc_lo, v11, v13
	v_add_co_ci_u32_e32 v13, vcc_lo, 0, v16, vcc_lo
	s_delay_alu instid0(VALU_DEP_2) | instskip(NEXT) | instid1(VALU_DEP_2)
	v_add_co_u32 v9, vcc_lo, v11, v9
	v_add_co_ci_u32_e32 v9, vcc_lo, v13, v17, vcc_lo
	v_add_co_ci_u32_e32 v11, vcc_lo, 0, v21, vcc_lo
	v_ashrrev_i32_e32 v17, 31, v15
	s_delay_alu instid0(VALU_DEP_3) | instskip(NEXT) | instid1(VALU_DEP_3)
	v_add_co_u32 v7, vcc_lo, v9, v7
	v_add_co_ci_u32_e32 v9, vcc_lo, 0, v11, vcc_lo
	s_delay_alu instid0(VALU_DEP_2) | instskip(NEXT) | instid1(VALU_DEP_2)
	v_add_co_u32 v3, vcc_lo, v3, v7
	v_add_co_ci_u32_e32 v5, vcc_lo, v5, v9, vcc_lo
	s_delay_alu instid0(VALU_DEP_2) | instskip(SKIP_1) | instid1(VALU_DEP_3)
	v_mul_hi_u32 v7, s0, v3
	v_mul_lo_u32 v11, s53, v3
	v_mul_lo_u32 v9, s0, v5
	s_delay_alu instid0(VALU_DEP_1) | instskip(SKIP_1) | instid1(VALU_DEP_2)
	v_add_nc_u32_e32 v7, v7, v9
	v_mul_lo_u32 v9, s0, v3
	v_add_nc_u32_e32 v7, v7, v11
	s_delay_alu instid0(VALU_DEP_2) | instskip(NEXT) | instid1(VALU_DEP_2)
	v_mul_hi_u32 v11, v3, v9
	v_mul_lo_u32 v13, v3, v7
	v_mul_hi_u32 v16, v3, v7
	v_mul_hi_u32 v21, v5, v9
	v_mul_lo_u32 v9, v5, v9
	v_mul_hi_u32 v22, v5, v7
	v_mul_lo_u32 v7, v5, v7
	v_add_co_u32 v11, vcc_lo, v11, v13
	v_add_co_ci_u32_e32 v13, vcc_lo, 0, v16, vcc_lo
	s_delay_alu instid0(VALU_DEP_2) | instskip(NEXT) | instid1(VALU_DEP_2)
	v_add_co_u32 v9, vcc_lo, v11, v9
	v_add_co_ci_u32_e32 v9, vcc_lo, v13, v21, vcc_lo
	v_add_co_ci_u32_e32 v11, vcc_lo, 0, v22, vcc_lo
	v_add_co_u32 v13, vcc_lo, v14, v17
	v_add_co_ci_u32_e32 v15, vcc_lo, v15, v17, vcc_lo
	s_delay_alu instid0(VALU_DEP_4) | instskip(NEXT) | instid1(VALU_DEP_4)
	v_add_co_u32 v7, vcc_lo, v9, v7
	v_add_co_ci_u32_e32 v9, vcc_lo, 0, v11, vcc_lo
	s_delay_alu instid0(VALU_DEP_4) | instskip(NEXT) | instid1(VALU_DEP_3)
	v_xor_b32_e32 v11, v13, v17
	v_add_co_u32 v3, vcc_lo, v3, v7
	s_delay_alu instid0(VALU_DEP_3) | instskip(SKIP_1) | instid1(VALU_DEP_3)
	v_add_co_ci_u32_e32 v5, vcc_lo, v5, v9, vcc_lo
	v_xor_b32_e32 v7, v15, v17
	v_mul_hi_u32 v9, v11, v3
	s_delay_alu instid0(VALU_DEP_3) | instskip(NEXT) | instid1(VALU_DEP_3)
	v_mad_u64_u32 v[15:16], null, v11, v5, 0
	v_mad_u64_u32 v[21:22], null, v7, v3, 0
	;; [unrolled: 1-line block ×3, first 2 shown]
	s_delay_alu instid0(VALU_DEP_3) | instskip(NEXT) | instid1(VALU_DEP_4)
	v_add_co_u32 v3, vcc_lo, v9, v15
	v_add_co_ci_u32_e32 v5, vcc_lo, 0, v16, vcc_lo
	s_delay_alu instid0(VALU_DEP_2) | instskip(NEXT) | instid1(VALU_DEP_2)
	v_add_co_u32 v3, vcc_lo, v3, v21
	v_add_co_ci_u32_e32 v3, vcc_lo, v5, v22, vcc_lo
	v_add_co_ci_u32_e32 v5, vcc_lo, 0, v24, vcc_lo
	s_delay_alu instid0(VALU_DEP_2) | instskip(NEXT) | instid1(VALU_DEP_2)
	v_add_co_u32 v3, vcc_lo, v3, v23
	v_add_co_ci_u32_e32 v5, vcc_lo, 0, v5, vcc_lo
	s_delay_alu instid0(VALU_DEP_2) | instskip(SKIP_1) | instid1(VALU_DEP_3)
	v_mul_lo_u32 v9, s25, v3
	v_mad_u64_u32 v[15:16], null, s24, v3, 0
	v_mul_lo_u32 v13, s24, v5
	s_delay_alu instid0(VALU_DEP_2) | instskip(NEXT) | instid1(VALU_DEP_2)
	v_sub_co_u32 v11, vcc_lo, v11, v15
	v_add3_u32 v9, v16, v13, v9
	s_delay_alu instid0(VALU_DEP_1) | instskip(NEXT) | instid1(VALU_DEP_1)
	v_sub_nc_u32_e32 v13, v7, v9
	v_subrev_co_ci_u32_e64 v13, s0, s25, v13, vcc_lo
	v_add_co_u32 v15, s0, v3, 2
	s_delay_alu instid0(VALU_DEP_1) | instskip(SKIP_3) | instid1(VALU_DEP_3)
	v_add_co_ci_u32_e64 v16, s0, 0, v5, s0
	v_sub_co_u32 v21, s0, v11, s24
	v_sub_co_ci_u32_e32 v7, vcc_lo, v7, v9, vcc_lo
	v_subrev_co_ci_u32_e64 v13, s0, 0, v13, s0
	v_cmp_le_u32_e32 vcc_lo, s24, v21
	s_delay_alu instid0(VALU_DEP_3) | instskip(SKIP_1) | instid1(VALU_DEP_4)
	v_cmp_eq_u32_e64 s0, s25, v7
	v_cndmask_b32_e64 v9, 0, -1, vcc_lo
	v_cmp_le_u32_e32 vcc_lo, s25, v13
	v_cndmask_b32_e64 v21, 0, -1, vcc_lo
	v_cmp_le_u32_e32 vcc_lo, s24, v11
	;; [unrolled: 2-line block ×3, first 2 shown]
	v_cndmask_b32_e64 v22, 0, -1, vcc_lo
	v_cmp_eq_u32_e32 vcc_lo, s25, v13
	s_delay_alu instid0(VALU_DEP_2) | instskip(SKIP_3) | instid1(VALU_DEP_3)
	v_cndmask_b32_e64 v7, v22, v11, s0
	v_cndmask_b32_e32 v9, v21, v9, vcc_lo
	v_add_co_u32 v13, vcc_lo, v3, 1
	v_add_co_ci_u32_e32 v21, vcc_lo, 0, v5, vcc_lo
	v_cmp_ne_u32_e32 vcc_lo, 0, v9
	s_delay_alu instid0(VALU_DEP_2) | instskip(NEXT) | instid1(VALU_DEP_4)
	v_cndmask_b32_e32 v9, v21, v16, vcc_lo
	v_cndmask_b32_e32 v11, v13, v15, vcc_lo
	v_cmp_ne_u32_e32 vcc_lo, 0, v7
	v_xor_b32_e32 v7, s22, v17
	s_delay_alu instid0(VALU_DEP_3) | instskip(SKIP_2) | instid1(VALU_DEP_3)
	v_cndmask_b32_e32 v3, v3, v11, vcc_lo
	v_cndmask_b32_e32 v5, v5, v9, vcc_lo
	v_xor_b32_e32 v9, s23, v17
	v_xor_b32_e32 v3, v3, v7
	s_delay_alu instid0(VALU_DEP_2) | instskip(NEXT) | instid1(VALU_DEP_2)
	v_xor_b32_e32 v5, v5, v9
	v_sub_co_u32 v16, vcc_lo, v3, v7
	s_delay_alu instid0(VALU_DEP_2)
	v_sub_co_ci_u32_e32 v17, vcc_lo, v5, v9, vcc_lo
.LBB57_36:                              ;   in Loop: Header=BB57_22 Depth=2
	s_and_not1_saveexec_b32 s0, s52
	s_cbranch_execz .LBB57_38
; %bb.37:                               ;   in Loop: Header=BB57_22 Depth=2
	v_cvt_f32_u32_e32 v3, s51
	s_sub_i32 s22, 0, s51
	v_mov_b32_e32 v17, v2
	s_delay_alu instid0(VALU_DEP_2) | instskip(SKIP_2) | instid1(VALU_DEP_1)
	v_rcp_iflag_f32_e32 v3, v3
	s_waitcnt_depctr 0xfff
	v_mul_f32_e32 v3, 0x4f7ffffe, v3
	v_cvt_u32_f32_e32 v3, v3
	s_delay_alu instid0(VALU_DEP_1) | instskip(NEXT) | instid1(VALU_DEP_1)
	v_mul_lo_u32 v5, s22, v3
	v_mul_hi_u32 v5, v3, v5
	s_delay_alu instid0(VALU_DEP_1) | instskip(NEXT) | instid1(VALU_DEP_1)
	v_add_nc_u32_e32 v3, v3, v5
	v_mul_hi_u32 v3, v14, v3
	s_delay_alu instid0(VALU_DEP_1) | instskip(SKIP_1) | instid1(VALU_DEP_2)
	v_mul_lo_u32 v5, v3, s51
	v_add_nc_u32_e32 v7, 1, v3
	v_sub_nc_u32_e32 v5, v14, v5
	s_delay_alu instid0(VALU_DEP_1) | instskip(SKIP_1) | instid1(VALU_DEP_4)
	v_cmp_le_u32_e32 vcc_lo, s51, v5
	v_subrev_nc_u32_e32 v9, s51, v5
	v_cndmask_b32_e32 v3, v3, v7, vcc_lo
	s_delay_alu instid0(VALU_DEP_1) | instskip(NEXT) | instid1(VALU_DEP_3)
	v_add_nc_u32_e32 v7, 1, v3
	v_cndmask_b32_e32 v5, v5, v9, vcc_lo
	s_delay_alu instid0(VALU_DEP_1) | instskip(NEXT) | instid1(VALU_DEP_3)
	v_cmp_le_u32_e32 vcc_lo, s51, v5
	v_cndmask_b32_e32 v16, v3, v7, vcc_lo
.LBB57_38:                              ;   in Loop: Header=BB57_22 Depth=2
	s_or_b32 exec_lo, exec_lo, s0
	s_add_u32 s20, s31, s20
	s_addc_u32 s21, s33, s21
	s_clause 0x1
	s_load_b32 s0, s[18:19], 0x6c
	s_load_b32 s18, s[20:21], 0x0
	v_mul_lo_u32 v3, v10, s42
	v_mul_lo_u32 v5, v12, s45
	;; [unrolled: 1-line block ×4, first 2 shown]
	s_add_i32 s16, s16, -4
	s_delay_alu instid0(SALU_CYCLE_1) | instskip(NEXT) | instid1(VALU_DEP_4)
	s_cmp_eq_u32 s16, -1
	v_sub_nc_u32_e32 v3, v8, v3
	s_delay_alu instid0(VALU_DEP_4) | instskip(NEXT) | instid1(VALU_DEP_4)
	v_sub_nc_u32_e32 v5, v10, v5
	v_sub_nc_u32_e32 v7, v12, v7
	s_delay_alu instid0(VALU_DEP_4) | instskip(NEXT) | instid1(VALU_DEP_4)
	v_sub_nc_u32_e32 v8, v14, v9
	v_mul_lo_u32 v9, s43, v3
	v_mul_lo_u32 v3, s44, v3
	v_mul_lo_u32 v10, s46, v5
	v_mul_lo_u32 v5, s47, v5
	v_mul_lo_u32 v11, s49, v7
	v_mul_lo_u32 v7, s50, v7
	s_waitcnt lgkmcnt(0)
	v_mul_lo_u32 v12, s0, v8
	v_mul_lo_u32 v8, s18, v8
	v_add3_u32 v6, v9, v6, v10
	v_add3_u32 v3, v3, v4, v5
	s_delay_alu instid0(VALU_DEP_2) | instskip(NEXT) | instid1(VALU_DEP_2)
	v_add3_u32 v6, v11, v6, v12
	v_add3_u32 v4, v7, v3, v8
	s_cbranch_scc1 .LBB57_40
; %bb.39:                               ;   in Loop: Header=BB57_22 Depth=2
	v_dual_mov_b32 v8, v16 :: v_dual_mov_b32 v9, v17
	s_branch .LBB57_22
.LBB57_40:                              ;   in Loop: Header=BB57_3 Depth=1
	v_sub_nc_u32_e32 v5, v19, v20
	v_mov_b32_e32 v3, 0
	s_mov_b32 s0, exec_lo
	s_delay_alu instid0(VALU_DEP_2) | instskip(NEXT) | instid1(VALU_DEP_1)
	v_add_nc_u32_e32 v7, 4, v5
	v_ashrrev_i32_e32 v8, 31, v7
	s_delay_alu instid0(VALU_DEP_1)
	v_cmpx_le_i64_e64 s[4:5], v[7:8]
	s_cbranch_execz .LBB57_50
; %bb.41:                               ;   in Loop: Header=BB57_3 Depth=1
	v_mov_b32_e32 v3, 0
	s_mov_b32 s16, exec_lo
	v_cmpx_gt_i32_e64 s9, v19
	s_cbranch_execz .LBB57_49
; %bb.42:                               ;   in Loop: Header=BB57_3 Depth=1
	v_ashrrev_i32_e32 v3, 31, v6
	v_add_co_u32 v7, vcc_lo, s2, v6
	v_add_nc_u32_e32 v9, 1, v19
	s_mov_b32 s18, exec_lo
	s_delay_alu instid0(VALU_DEP_3)
	v_add_co_ci_u32_e32 v8, vcc_lo, s3, v3, vcc_lo
	global_load_u8 v3, v[7:8], off
	v_cmpx_gt_i32_e64 s9, v9
	s_xor_b32 s18, exec_lo, s18
	s_cbranch_execz .LBB57_48
; %bb.43:                               ;   in Loop: Header=BB57_3 Depth=1
	v_add_co_u32 v7, vcc_lo, v7, s11
	v_add_co_ci_u32_e32 v8, vcc_lo, s39, v8, vcc_lo
	s_mov_b32 s19, exec_lo
	global_load_u8 v7, v[7:8], off
	s_waitcnt vmcnt(0)
	v_lshlrev_b16 v7, 8, v7
	s_delay_alu instid0(VALU_DEP_1) | instskip(SKIP_1) | instid1(VALU_DEP_2)
	v_or_b32_e32 v3, v3, v7
	v_add_nc_u32_e32 v7, 2, v19
	v_and_b32_e32 v3, 0xffff, v3
	s_delay_alu instid0(VALU_DEP_2)
	v_cmpx_gt_i32_e64 s9, v7
	s_xor_b32 s19, exec_lo, s19
	s_cbranch_execz .LBB57_47
; %bb.44:                               ;   in Loop: Header=BB57_3 Depth=1
	v_add3_u32 v6, s11, s11, v6
	s_mov_b32 s20, exec_lo
	s_delay_alu instid0(VALU_DEP_1) | instskip(SKIP_1) | instid1(VALU_DEP_2)
	v_ashrrev_i32_e32 v8, 31, v6
	v_add_co_u32 v7, vcc_lo, s2, v6
	v_add_co_ci_u32_e32 v8, vcc_lo, s3, v8, vcc_lo
	global_load_u8 v7, v[7:8], off
	v_add_nc_u32_e32 v8, 3, v19
	s_waitcnt vmcnt(0)
	v_lshl_or_b32 v3, v7, 16, v3
	s_delay_alu instid0(VALU_DEP_2)
	v_cmpx_gt_i32_e64 s9, v8
	s_xor_b32 s20, exec_lo, s20
	s_cbranch_execz .LBB57_46
; %bb.45:                               ;   in Loop: Header=BB57_3 Depth=1
	v_add_nc_u32_e32 v6, s11, v6
	s_delay_alu instid0(VALU_DEP_1) | instskip(SKIP_1) | instid1(VALU_DEP_2)
	v_ashrrev_i32_e32 v7, 31, v6
	v_add_co_u32 v6, vcc_lo, s2, v6
	v_add_co_ci_u32_e32 v7, vcc_lo, s3, v7, vcc_lo
	global_load_u8 v6, v[6:7], off
	v_lshrrev_b32_e32 v7, 16, v3
	s_waitcnt vmcnt(0)
	v_lshlrev_b16 v6, 8, v6
	s_delay_alu instid0(VALU_DEP_1) | instskip(NEXT) | instid1(VALU_DEP_1)
	v_or_b32_e32 v6, v7, v6
	v_lshlrev_b32_e32 v6, 16, v6
	s_delay_alu instid0(VALU_DEP_1)
	v_and_or_b32 v3, 0xffff, v3, v6
.LBB57_46:                              ;   in Loop: Header=BB57_3 Depth=1
	s_or_b32 exec_lo, exec_lo, s20
.LBB57_47:                              ;   in Loop: Header=BB57_3 Depth=1
	s_delay_alu instid0(SALU_CYCLE_1)
	s_or_b32 exec_lo, exec_lo, s19
.LBB57_48:                              ;   in Loop: Header=BB57_3 Depth=1
	s_delay_alu instid0(SALU_CYCLE_1)
	s_or_b32 exec_lo, exec_lo, s18
.LBB57_49:                              ;   in Loop: Header=BB57_3 Depth=1
	s_delay_alu instid0(SALU_CYCLE_1)
	s_or_b32 exec_lo, exec_lo, s16
	v_ashrrev_i32_e32 v6, 31, v5
	v_add_nc_u32_e32 v9, 3, v5
	s_waitcnt vmcnt(0)
	v_lshrrev_b32_e32 v13, 8, v3
	v_lshrrev_b32_e32 v11, 16, v3
	v_cmp_le_i64_e32 vcc_lo, s[4:5], v[5:6]
	v_add_nc_u32_e32 v7, 1, v5
	v_ashrrev_i32_e32 v10, 31, v9
	v_dual_cndmask_b32 v12, 0, v3 :: v_dual_add_nc_u32 v5, 2, v5
	s_delay_alu instid0(VALU_DEP_3) | instskip(SKIP_1) | instid1(VALU_DEP_3)
	v_ashrrev_i32_e32 v8, 31, v7
	v_lshrrev_b32_e32 v3, 24, v3
	v_ashrrev_i32_e32 v6, 31, v5
	s_delay_alu instid0(VALU_DEP_3)
	v_cmp_le_i64_e32 vcc_lo, s[4:5], v[7:8]
	v_cndmask_b32_e32 v7, 0, v13, vcc_lo
	v_cmp_le_i64_e32 vcc_lo, s[4:5], v[9:10]
	v_cndmask_b32_e32 v3, 0, v3, vcc_lo
	v_cmp_le_i64_e32 vcc_lo, s[4:5], v[5:6]
	v_and_b32_e32 v6, 0xff, v12
	v_lshlrev_b16 v7, 8, v7
	s_delay_alu instid0(VALU_DEP_4) | instskip(SKIP_1) | instid1(VALU_DEP_3)
	v_lshlrev_b16 v3, 8, v3
	v_cndmask_b32_e32 v5, 0, v11, vcc_lo
	v_or_b32_e32 v6, v6, v7
	s_delay_alu instid0(VALU_DEP_2) | instskip(NEXT) | instid1(VALU_DEP_1)
	v_and_b32_e32 v5, 0xff, v5
	v_or_b32_e32 v3, v5, v3
	s_delay_alu instid0(VALU_DEP_3) | instskip(NEXT) | instid1(VALU_DEP_2)
	v_and_b32_e32 v5, 0xffff, v6
	v_lshlrev_b32_e32 v3, 16, v3
	s_delay_alu instid0(VALU_DEP_1)
	v_or_b32_e32 v3, v5, v3
.LBB57_50:                              ;   in Loop: Header=BB57_3 Depth=1
	s_or_b32 exec_lo, exec_lo, s0
	s_delay_alu instid0(SALU_CYCLE_1)
	s_mov_b32 s0, exec_lo
	v_cmpx_gt_i32_e64 s9, v19
	s_cbranch_execz .LBB57_2
; %bb.51:                               ;   in Loop: Header=BB57_3 Depth=1
	v_ashrrev_i32_e32 v6, 31, v4
	v_add_co_u32 v5, vcc_lo, s14, v4
	v_add_nc_u32_e32 v7, 1, v19
	s_mov_b32 s16, exec_lo
	s_delay_alu instid0(VALU_DEP_3)
	v_add_co_ci_u32_e32 v6, vcc_lo, s15, v6, vcc_lo
	global_store_b8 v[5:6], v3, off
	v_cmpx_gt_i32_e64 s9, v7
	s_xor_b32 s16, exec_lo, s16
	s_cbranch_execz .LBB57_2
; %bb.52:                               ;   in Loop: Header=BB57_3 Depth=1
	v_add_co_u32 v5, vcc_lo, v5, s13
	v_lshrrev_b32_e32 v7, 8, v3
	v_add_nc_u32_e32 v8, 2, v19
	v_add_co_ci_u32_e32 v6, vcc_lo, s40, v6, vcc_lo
	s_mov_b32 s16, exec_lo
	global_store_b8 v[5:6], v7, off
	v_cmpx_gt_i32_e64 s9, v8
	s_xor_b32 s16, exec_lo, s16
	s_cbranch_execz .LBB57_2
; %bb.53:                               ;   in Loop: Header=BB57_3 Depth=1
	v_add3_u32 v4, s13, s13, v4
	v_add_nc_u32_e32 v7, 3, v19
	s_mov_b32 s16, exec_lo
	s_delay_alu instid0(VALU_DEP_2) | instskip(SKIP_1) | instid1(VALU_DEP_2)
	v_ashrrev_i32_e32 v6, 31, v4
	v_add_co_u32 v5, vcc_lo, s14, v4
	v_add_co_ci_u32_e32 v6, vcc_lo, s15, v6, vcc_lo
	global_store_d16_hi_b8 v[5:6], v3, off
	v_cmpx_gt_i32_e64 s9, v7
	s_xor_b32 s16, exec_lo, s16
	s_cbranch_execz .LBB57_2
; %bb.54:                               ;   in Loop: Header=BB57_3 Depth=1
	v_add_nc_u32_e32 v4, s13, v4
	v_lshrrev_b32_e32 v6, 24, v3
	s_delay_alu instid0(VALU_DEP_2) | instskip(SKIP_1) | instid1(VALU_DEP_2)
	v_ashrrev_i32_e32 v5, 31, v4
	v_add_co_u32 v3, vcc_lo, s14, v4
	v_add_co_ci_u32_e32 v4, vcc_lo, s15, v5, vcc_lo
	global_store_b8 v[3:4], v6, off
	s_branch .LBB57_2
.LBB57_55:
	s_nop 0
	s_sendmsg sendmsg(MSG_DEALLOC_VGPRS)
	s_endpgm
	.section	.rodata,"a",@progbits
	.p2align	6, 0x0
	.amdhsa_kernel _ZN2at6native16triu_tril_kernelIaiLb1ELi4ELb0EEEvNS_4cuda6detail10TensorInfoIT_T0_EENS4_IKS5_S6_EEllS6_
		.amdhsa_group_segment_fixed_size 0
		.amdhsa_private_segment_fixed_size 0
		.amdhsa_kernarg_size 712
		.amdhsa_user_sgpr_count 15
		.amdhsa_user_sgpr_dispatch_ptr 0
		.amdhsa_user_sgpr_queue_ptr 0
		.amdhsa_user_sgpr_kernarg_segment_ptr 1
		.amdhsa_user_sgpr_dispatch_id 0
		.amdhsa_user_sgpr_private_segment_size 0
		.amdhsa_wavefront_size32 1
		.amdhsa_uses_dynamic_stack 0
		.amdhsa_enable_private_segment 0
		.amdhsa_system_sgpr_workgroup_id_x 1
		.amdhsa_system_sgpr_workgroup_id_y 0
		.amdhsa_system_sgpr_workgroup_id_z 0
		.amdhsa_system_sgpr_workgroup_info 0
		.amdhsa_system_vgpr_workitem_id 0
		.amdhsa_next_free_vgpr 25
		.amdhsa_next_free_sgpr 54
		.amdhsa_reserve_vcc 1
		.amdhsa_float_round_mode_32 0
		.amdhsa_float_round_mode_16_64 0
		.amdhsa_float_denorm_mode_32 3
		.amdhsa_float_denorm_mode_16_64 3
		.amdhsa_dx10_clamp 1
		.amdhsa_ieee_mode 1
		.amdhsa_fp16_overflow 0
		.amdhsa_workgroup_processor_mode 1
		.amdhsa_memory_ordered 1
		.amdhsa_forward_progress 0
		.amdhsa_shared_vgpr_count 0
		.amdhsa_exception_fp_ieee_invalid_op 0
		.amdhsa_exception_fp_denorm_src 0
		.amdhsa_exception_fp_ieee_div_zero 0
		.amdhsa_exception_fp_ieee_overflow 0
		.amdhsa_exception_fp_ieee_underflow 0
		.amdhsa_exception_fp_ieee_inexact 0
		.amdhsa_exception_int_div_zero 0
	.end_amdhsa_kernel
	.section	.text._ZN2at6native16triu_tril_kernelIaiLb1ELi4ELb0EEEvNS_4cuda6detail10TensorInfoIT_T0_EENS4_IKS5_S6_EEllS6_,"axG",@progbits,_ZN2at6native16triu_tril_kernelIaiLb1ELi4ELb0EEEvNS_4cuda6detail10TensorInfoIT_T0_EENS4_IKS5_S6_EEllS6_,comdat
.Lfunc_end57:
	.size	_ZN2at6native16triu_tril_kernelIaiLb1ELi4ELb0EEEvNS_4cuda6detail10TensorInfoIT_T0_EENS4_IKS5_S6_EEllS6_, .Lfunc_end57-_ZN2at6native16triu_tril_kernelIaiLb1ELi4ELb0EEEvNS_4cuda6detail10TensorInfoIT_T0_EENS4_IKS5_S6_EEllS6_
                                        ; -- End function
	.section	.AMDGPU.csdata,"",@progbits
; Kernel info:
; codeLenInByte = 8760
; NumSgprs: 56
; NumVgprs: 25
; ScratchSize: 0
; MemoryBound: 0
; FloatMode: 240
; IeeeMode: 1
; LDSByteSize: 0 bytes/workgroup (compile time only)
; SGPRBlocks: 6
; VGPRBlocks: 3
; NumSGPRsForWavesPerEU: 56
; NumVGPRsForWavesPerEU: 25
; Occupancy: 16
; WaveLimiterHint : 0
; COMPUTE_PGM_RSRC2:SCRATCH_EN: 0
; COMPUTE_PGM_RSRC2:USER_SGPR: 15
; COMPUTE_PGM_RSRC2:TRAP_HANDLER: 0
; COMPUTE_PGM_RSRC2:TGID_X_EN: 1
; COMPUTE_PGM_RSRC2:TGID_Y_EN: 0
; COMPUTE_PGM_RSRC2:TGID_Z_EN: 0
; COMPUTE_PGM_RSRC2:TIDIG_COMP_CNT: 0
	.section	.text._ZN2at6native16triu_tril_kernelIalLb1ELi4ELb1EEEvNS_4cuda6detail10TensorInfoIT_T0_EENS4_IKS5_S6_EEllS6_,"axG",@progbits,_ZN2at6native16triu_tril_kernelIalLb1ELi4ELb1EEEvNS_4cuda6detail10TensorInfoIT_T0_EENS4_IKS5_S6_EEllS6_,comdat
	.protected	_ZN2at6native16triu_tril_kernelIalLb1ELi4ELb1EEEvNS_4cuda6detail10TensorInfoIT_T0_EENS4_IKS5_S6_EEllS6_ ; -- Begin function _ZN2at6native16triu_tril_kernelIalLb1ELi4ELb1EEEvNS_4cuda6detail10TensorInfoIT_T0_EENS4_IKS5_S6_EEllS6_
	.globl	_ZN2at6native16triu_tril_kernelIalLb1ELi4ELb1EEEvNS_4cuda6detail10TensorInfoIT_T0_EENS4_IKS5_S6_EEllS6_
	.p2align	8
	.type	_ZN2at6native16triu_tril_kernelIalLb1ELi4ELb1EEEvNS_4cuda6detail10TensorInfoIT_T0_EENS4_IKS5_S6_EEllS6_,@function
_ZN2at6native16triu_tril_kernelIalLb1ELi4ELb1EEEvNS_4cuda6detail10TensorInfoIT_T0_EENS4_IKS5_S6_EEllS6_: ; @_ZN2at6native16triu_tril_kernelIalLb1ELi4ELb1EEEvNS_4cuda6detail10TensorInfoIT_T0_EENS4_IKS5_S6_EEllS6_
; %bb.0:
	s_clause 0x1
	s_load_b32 s2, s[0:1], 0x364
	s_load_b128 s[4:7], s[0:1], 0x340
	v_mov_b32_e32 v2, 0
	s_add_u32 s8, s0, 0x358
	s_addc_u32 s9, s1, 0
	s_delay_alu instid0(VALU_DEP_1) | instskip(SKIP_3) | instid1(VALU_DEP_1)
	v_mov_b32_e32 v1, v2
	s_waitcnt lgkmcnt(0)
	s_and_b32 s10, s2, 0xffff
	s_mov_b32 s2, exec_lo
	v_mad_u64_u32 v[3:4], null, s10, s15, v[0:1]
	s_delay_alu instid0(VALU_DEP_1) | instskip(NEXT) | instid1(VALU_DEP_1)
	v_lshlrev_b64 v[0:1], 2, v[3:4]
	v_cmpx_gt_i64_e64 s[6:7], v[0:1]
	s_cbranch_execz .LBB58_27
; %bb.1:
	s_clause 0x1
	s_load_b32 s24, s[0:1], 0x338
	s_load_b64 s[2:3], s[0:1], 0x350
	s_load_b32 s11, s[8:9], 0x0
	s_load_b64 s[8:9], s[0:1], 0x0
	s_mov_b32 s45, 0
	s_waitcnt lgkmcnt(0)
	s_ashr_i32 s25, s24, 31
	s_add_u32 s20, s0, 0x1a8
	s_addc_u32 s21, s1, 0
	s_lshl_b64 s[12:13], s[24:25], 3
	v_cvt_f32_u32_e32 v3, s2
	s_add_u32 s14, s12, -16
	s_addc_u32 s15, s13, -1
	s_add_u32 s22, s20, s14
	s_addc_u32 s23, s21, s15
	v_rcp_iflag_f32_e32 v3, v3
	s_add_u32 s17, s12, -8
	s_addc_u32 s18, s13, -1
	s_add_u32 s26, s0, 0xd0
	s_addc_u32 s27, s1, 0
	s_mul_i32 s16, s11, s10
	s_add_u32 s10, s26, s17
	s_addc_u32 s11, s27, s18
	s_add_u32 s12, s26, s14
	s_addc_u32 s13, s27, s15
	s_add_i32 s0, s24, -3
	s_waitcnt_depctr 0xfff
	v_mul_f32_e32 v3, 0x4f7ffffe, v3
	s_ashr_i32 s1, s0, 31
	s_add_u32 s14, s20, s17
	s_addc_u32 s15, s21, s18
	s_lshl_b64 s[18:19], s[0:1], 3
	s_lshl_b32 s33, s16, 2
	s_add_u32 s16, s26, s18
	s_addc_u32 s17, s27, s19
	v_cvt_u32_f32_e32 v3, v3
	s_add_u32 s18, s20, s18
	s_addc_u32 s19, s21, s19
	s_add_u32 s20, s0, 1
	s_addc_u32 s21, s1, 0
	s_sub_i32 s0, 0, s2
	s_load_b64 s[22:23], s[22:23], 0x0
	v_mul_lo_u32 v4, s0, v3
	v_cmp_gt_i64_e64 s44, s[24:25], 2
	s_ashr_i32 s24, s3, 31
	s_delay_alu instid0(VALU_DEP_2) | instskip(NEXT) | instid1(VALU_DEP_1)
	v_mul_hi_u32 v4, v3, v4
	v_add_nc_u32_e32 v14, v3, v4
	s_waitcnt lgkmcnt(0)
	s_ashr_i32 s26, s23, 31
	s_branch .LBB58_3
.LBB58_2:                               ;   in Loop: Header=BB58_3 Depth=1
	s_or_b32 exec_lo, exec_lo, s25
	v_add_co_u32 v0, vcc_lo, v0, s33
	v_add_co_ci_u32_e32 v1, vcc_lo, 0, v1, vcc_lo
	s_delay_alu instid0(VALU_DEP_1) | instskip(SKIP_1) | instid1(SALU_CYCLE_1)
	v_cmp_le_i64_e32 vcc_lo, s[6:7], v[0:1]
	s_or_b32 s45, vcc_lo, s45
	s_and_not1_b32 exec_lo, exec_lo, s45
	s_cbranch_execz .LBB58_27
.LBB58_3:                               ; =>This Loop Header: Depth=1
                                        ;     Child Loop BB58_23 Depth 2
	v_or_b32_e32 v3, s3, v1
                                        ; implicit-def: $vgpr8_vgpr9
	s_mov_b32 s0, exec_lo
	s_delay_alu instid0(VALU_DEP_1)
	v_cmpx_ne_u64_e32 0, v[2:3]
	s_xor_b32 s1, exec_lo, s0
	s_cbranch_execz .LBB58_5
; %bb.4:                                ;   in Loop: Header=BB58_3 Depth=1
	s_add_u32 s28, s2, s24
	s_mov_b32 s25, s24
	s_addc_u32 s29, s3, s24
	s_delay_alu instid0(SALU_CYCLE_1) | instskip(NEXT) | instid1(SALU_CYCLE_1)
	s_xor_b64 s[28:29], s[28:29], s[24:25]
	v_cvt_f32_u32_e32 v3, s28
	v_cvt_f32_u32_e32 v4, s29
	s_sub_u32 s0, 0, s28
	s_subb_u32 s25, 0, s29
	s_delay_alu instid0(VALU_DEP_1) | instskip(NEXT) | instid1(VALU_DEP_1)
	v_fmac_f32_e32 v3, 0x4f800000, v4
	v_rcp_f32_e32 v3, v3
	s_waitcnt_depctr 0xfff
	v_mul_f32_e32 v3, 0x5f7ffffc, v3
	s_delay_alu instid0(VALU_DEP_1) | instskip(NEXT) | instid1(VALU_DEP_1)
	v_mul_f32_e32 v4, 0x2f800000, v3
	v_trunc_f32_e32 v4, v4
	s_delay_alu instid0(VALU_DEP_1) | instskip(SKIP_1) | instid1(VALU_DEP_2)
	v_fmac_f32_e32 v3, 0xcf800000, v4
	v_cvt_u32_f32_e32 v4, v4
	v_cvt_u32_f32_e32 v3, v3
	s_delay_alu instid0(VALU_DEP_2) | instskip(NEXT) | instid1(VALU_DEP_2)
	v_mul_lo_u32 v5, s0, v4
	v_mul_hi_u32 v6, s0, v3
	v_mul_lo_u32 v7, s25, v3
	s_delay_alu instid0(VALU_DEP_2) | instskip(SKIP_1) | instid1(VALU_DEP_2)
	v_add_nc_u32_e32 v5, v6, v5
	v_mul_lo_u32 v6, s0, v3
	v_add_nc_u32_e32 v5, v5, v7
	s_delay_alu instid0(VALU_DEP_2) | instskip(NEXT) | instid1(VALU_DEP_2)
	v_mul_hi_u32 v7, v3, v6
	v_mul_lo_u32 v8, v3, v5
	v_mul_hi_u32 v9, v3, v5
	v_mul_hi_u32 v10, v4, v6
	v_mul_lo_u32 v6, v4, v6
	v_mul_hi_u32 v11, v4, v5
	v_mul_lo_u32 v5, v4, v5
	v_add_co_u32 v7, vcc_lo, v7, v8
	v_add_co_ci_u32_e32 v8, vcc_lo, 0, v9, vcc_lo
	s_delay_alu instid0(VALU_DEP_2) | instskip(NEXT) | instid1(VALU_DEP_2)
	v_add_co_u32 v6, vcc_lo, v7, v6
	v_add_co_ci_u32_e32 v6, vcc_lo, v8, v10, vcc_lo
	v_add_co_ci_u32_e32 v7, vcc_lo, 0, v11, vcc_lo
	v_ashrrev_i32_e32 v10, 31, v1
	s_delay_alu instid0(VALU_DEP_3) | instskip(NEXT) | instid1(VALU_DEP_3)
	v_add_co_u32 v5, vcc_lo, v6, v5
	v_add_co_ci_u32_e32 v6, vcc_lo, 0, v7, vcc_lo
	s_delay_alu instid0(VALU_DEP_2) | instskip(NEXT) | instid1(VALU_DEP_2)
	v_add_co_u32 v3, vcc_lo, v3, v5
	v_add_co_ci_u32_e32 v4, vcc_lo, v4, v6, vcc_lo
	s_delay_alu instid0(VALU_DEP_2) | instskip(SKIP_1) | instid1(VALU_DEP_3)
	v_mul_hi_u32 v5, s0, v3
	v_mul_lo_u32 v7, s25, v3
	v_mul_lo_u32 v6, s0, v4
	s_delay_alu instid0(VALU_DEP_1) | instskip(SKIP_1) | instid1(VALU_DEP_2)
	v_add_nc_u32_e32 v5, v5, v6
	v_mul_lo_u32 v6, s0, v3
	v_add_nc_u32_e32 v5, v5, v7
	s_delay_alu instid0(VALU_DEP_2) | instskip(NEXT) | instid1(VALU_DEP_2)
	v_mul_hi_u32 v7, v3, v6
	v_mul_lo_u32 v8, v3, v5
	v_mul_hi_u32 v9, v3, v5
	v_mul_hi_u32 v11, v4, v6
	v_mul_lo_u32 v6, v4, v6
	v_mul_hi_u32 v12, v4, v5
	v_mul_lo_u32 v5, v4, v5
	v_add_co_u32 v7, vcc_lo, v7, v8
	v_add_co_ci_u32_e32 v8, vcc_lo, 0, v9, vcc_lo
	s_delay_alu instid0(VALU_DEP_2) | instskip(NEXT) | instid1(VALU_DEP_2)
	v_add_co_u32 v6, vcc_lo, v7, v6
	v_add_co_ci_u32_e32 v6, vcc_lo, v8, v11, vcc_lo
	v_add_co_ci_u32_e32 v7, vcc_lo, 0, v12, vcc_lo
	v_add_co_u32 v8, vcc_lo, v0, v10
	v_add_co_ci_u32_e32 v9, vcc_lo, v1, v10, vcc_lo
	s_delay_alu instid0(VALU_DEP_4) | instskip(NEXT) | instid1(VALU_DEP_4)
	v_add_co_u32 v5, vcc_lo, v6, v5
	v_add_co_ci_u32_e32 v6, vcc_lo, 0, v7, vcc_lo
	s_delay_alu instid0(VALU_DEP_4) | instskip(NEXT) | instid1(VALU_DEP_3)
	v_xor_b32_e32 v11, v8, v10
	v_add_co_u32 v7, vcc_lo, v3, v5
	s_delay_alu instid0(VALU_DEP_3) | instskip(SKIP_1) | instid1(VALU_DEP_3)
	v_add_co_ci_u32_e32 v12, vcc_lo, v4, v6, vcc_lo
	v_xor_b32_e32 v9, v9, v10
	v_mul_hi_u32 v13, v11, v7
	s_delay_alu instid0(VALU_DEP_3) | instskip(NEXT) | instid1(VALU_DEP_3)
	v_mad_u64_u32 v[3:4], null, v11, v12, 0
	v_mad_u64_u32 v[5:6], null, v9, v7, 0
	;; [unrolled: 1-line block ×3, first 2 shown]
	s_delay_alu instid0(VALU_DEP_3) | instskip(NEXT) | instid1(VALU_DEP_4)
	v_add_co_u32 v3, vcc_lo, v13, v3
	v_add_co_ci_u32_e32 v4, vcc_lo, 0, v4, vcc_lo
	s_delay_alu instid0(VALU_DEP_2) | instskip(NEXT) | instid1(VALU_DEP_2)
	v_add_co_u32 v3, vcc_lo, v3, v5
	v_add_co_ci_u32_e32 v3, vcc_lo, v4, v6, vcc_lo
	v_add_co_ci_u32_e32 v4, vcc_lo, 0, v8, vcc_lo
	s_delay_alu instid0(VALU_DEP_2) | instskip(NEXT) | instid1(VALU_DEP_2)
	v_add_co_u32 v5, vcc_lo, v3, v7
	v_add_co_ci_u32_e32 v6, vcc_lo, 0, v4, vcc_lo
	s_delay_alu instid0(VALU_DEP_2) | instskip(SKIP_1) | instid1(VALU_DEP_3)
	v_mul_lo_u32 v7, s29, v5
	v_mad_u64_u32 v[3:4], null, s28, v5, 0
	v_mul_lo_u32 v8, s28, v6
	s_delay_alu instid0(VALU_DEP_2) | instskip(NEXT) | instid1(VALU_DEP_2)
	v_sub_co_u32 v3, vcc_lo, v11, v3
	v_add3_u32 v4, v4, v8, v7
	s_delay_alu instid0(VALU_DEP_1) | instskip(NEXT) | instid1(VALU_DEP_1)
	v_sub_nc_u32_e32 v7, v9, v4
	v_subrev_co_ci_u32_e64 v7, s0, s29, v7, vcc_lo
	v_add_co_u32 v8, s0, v5, 2
	s_delay_alu instid0(VALU_DEP_1) | instskip(SKIP_3) | instid1(VALU_DEP_3)
	v_add_co_ci_u32_e64 v11, s0, 0, v6, s0
	v_sub_co_u32 v12, s0, v3, s28
	v_sub_co_ci_u32_e32 v4, vcc_lo, v9, v4, vcc_lo
	v_subrev_co_ci_u32_e64 v7, s0, 0, v7, s0
	v_cmp_le_u32_e32 vcc_lo, s28, v12
	s_delay_alu instid0(VALU_DEP_3) | instskip(SKIP_1) | instid1(VALU_DEP_4)
	v_cmp_eq_u32_e64 s0, s29, v4
	v_cndmask_b32_e64 v9, 0, -1, vcc_lo
	v_cmp_le_u32_e32 vcc_lo, s29, v7
	v_cndmask_b32_e64 v12, 0, -1, vcc_lo
	v_cmp_le_u32_e32 vcc_lo, s28, v3
	;; [unrolled: 2-line block ×3, first 2 shown]
	v_cndmask_b32_e64 v13, 0, -1, vcc_lo
	v_cmp_eq_u32_e32 vcc_lo, s29, v7
	s_delay_alu instid0(VALU_DEP_2) | instskip(SKIP_3) | instid1(VALU_DEP_3)
	v_cndmask_b32_e64 v3, v13, v3, s0
	v_cndmask_b32_e32 v7, v12, v9, vcc_lo
	v_add_co_u32 v9, vcc_lo, v5, 1
	v_add_co_ci_u32_e32 v12, vcc_lo, 0, v6, vcc_lo
	v_cmp_ne_u32_e32 vcc_lo, 0, v7
	s_delay_alu instid0(VALU_DEP_2) | instskip(SKIP_2) | instid1(VALU_DEP_3)
	v_dual_cndmask_b32 v4, v12, v11 :: v_dual_cndmask_b32 v7, v9, v8
	v_cmp_ne_u32_e32 vcc_lo, 0, v3
	v_xor_b32_e32 v3, s24, v10
	v_dual_cndmask_b32 v5, v5, v7 :: v_dual_cndmask_b32 v4, v6, v4
	s_delay_alu instid0(VALU_DEP_1) | instskip(NEXT) | instid1(VALU_DEP_2)
	v_xor_b32_e32 v5, v5, v3
	v_xor_b32_e32 v4, v4, v3
	s_delay_alu instid0(VALU_DEP_2) | instskip(NEXT) | instid1(VALU_DEP_2)
	v_sub_co_u32 v8, vcc_lo, v5, v3
	v_sub_co_ci_u32_e32 v9, vcc_lo, v4, v3, vcc_lo
.LBB58_5:                               ;   in Loop: Header=BB58_3 Depth=1
	s_and_not1_saveexec_b32 s0, s1
; %bb.6:                                ;   in Loop: Header=BB58_3 Depth=1
	v_mul_hi_u32 v3, v0, v14
	v_mov_b32_e32 v9, v2
	s_delay_alu instid0(VALU_DEP_2) | instskip(NEXT) | instid1(VALU_DEP_1)
	v_mul_lo_u32 v4, v3, s2
	v_sub_nc_u32_e32 v4, v0, v4
	s_delay_alu instid0(VALU_DEP_1) | instskip(SKIP_1) | instid1(VALU_DEP_2)
	v_subrev_nc_u32_e32 v6, s2, v4
	v_cmp_le_u32_e32 vcc_lo, s2, v4
	v_dual_cndmask_b32 v4, v4, v6 :: v_dual_add_nc_u32 v5, 1, v3
	s_delay_alu instid0(VALU_DEP_1) | instskip(NEXT) | instid1(VALU_DEP_2)
	v_cndmask_b32_e32 v3, v3, v5, vcc_lo
	v_cmp_le_u32_e32 vcc_lo, s2, v4
	s_delay_alu instid0(VALU_DEP_2) | instskip(NEXT) | instid1(VALU_DEP_1)
	v_add_nc_u32_e32 v5, 1, v3
	v_cndmask_b32_e32 v8, v3, v5, vcc_lo
; %bb.7:                                ;   in Loop: Header=BB58_3 Depth=1
	s_or_b32 exec_lo, exec_lo, s0
	v_or_b32_e32 v3, s23, v9
                                        ; implicit-def: $vgpr6_vgpr7
	s_mov_b32 s0, exec_lo
	s_delay_alu instid0(VALU_DEP_1)
	v_cmpx_ne_u64_e32 0, v[2:3]
	s_xor_b32 s1, exec_lo, s0
	s_cbranch_execz .LBB58_9
; %bb.8:                                ;   in Loop: Header=BB58_3 Depth=1
	s_add_u32 s28, s22, s26
	s_mov_b32 s27, s26
	s_addc_u32 s29, s23, s26
	s_delay_alu instid0(SALU_CYCLE_1) | instskip(NEXT) | instid1(SALU_CYCLE_1)
	s_xor_b64 s[28:29], s[28:29], s[26:27]
	v_cvt_f32_u32_e32 v3, s28
	v_cvt_f32_u32_e32 v4, s29
	s_sub_u32 s0, 0, s28
	s_subb_u32 s25, 0, s29
	s_delay_alu instid0(VALU_DEP_1) | instskip(NEXT) | instid1(VALU_DEP_1)
	v_fmac_f32_e32 v3, 0x4f800000, v4
	v_rcp_f32_e32 v3, v3
	s_waitcnt_depctr 0xfff
	v_mul_f32_e32 v3, 0x5f7ffffc, v3
	s_delay_alu instid0(VALU_DEP_1) | instskip(NEXT) | instid1(VALU_DEP_1)
	v_mul_f32_e32 v4, 0x2f800000, v3
	v_trunc_f32_e32 v4, v4
	s_delay_alu instid0(VALU_DEP_1) | instskip(SKIP_1) | instid1(VALU_DEP_2)
	v_fmac_f32_e32 v3, 0xcf800000, v4
	v_cvt_u32_f32_e32 v4, v4
	v_cvt_u32_f32_e32 v3, v3
	s_delay_alu instid0(VALU_DEP_2) | instskip(NEXT) | instid1(VALU_DEP_2)
	v_mul_lo_u32 v5, s0, v4
	v_mul_hi_u32 v6, s0, v3
	v_mul_lo_u32 v7, s25, v3
	s_delay_alu instid0(VALU_DEP_2) | instskip(SKIP_1) | instid1(VALU_DEP_2)
	v_add_nc_u32_e32 v5, v6, v5
	v_mul_lo_u32 v6, s0, v3
	v_add_nc_u32_e32 v5, v5, v7
	s_delay_alu instid0(VALU_DEP_2) | instskip(NEXT) | instid1(VALU_DEP_2)
	v_mul_hi_u32 v7, v3, v6
	v_mul_lo_u32 v10, v3, v5
	v_mul_hi_u32 v11, v3, v5
	v_mul_hi_u32 v12, v4, v6
	v_mul_lo_u32 v6, v4, v6
	v_mul_hi_u32 v13, v4, v5
	v_mul_lo_u32 v5, v4, v5
	v_add_co_u32 v7, vcc_lo, v7, v10
	v_add_co_ci_u32_e32 v10, vcc_lo, 0, v11, vcc_lo
	s_delay_alu instid0(VALU_DEP_2) | instskip(NEXT) | instid1(VALU_DEP_2)
	v_add_co_u32 v6, vcc_lo, v7, v6
	v_add_co_ci_u32_e32 v6, vcc_lo, v10, v12, vcc_lo
	v_add_co_ci_u32_e32 v7, vcc_lo, 0, v13, vcc_lo
	v_ashrrev_i32_e32 v12, 31, v9
	s_delay_alu instid0(VALU_DEP_3) | instskip(NEXT) | instid1(VALU_DEP_3)
	v_add_co_u32 v5, vcc_lo, v6, v5
	v_add_co_ci_u32_e32 v6, vcc_lo, 0, v7, vcc_lo
	s_delay_alu instid0(VALU_DEP_2) | instskip(NEXT) | instid1(VALU_DEP_2)
	v_add_co_u32 v3, vcc_lo, v3, v5
	v_add_co_ci_u32_e32 v4, vcc_lo, v4, v6, vcc_lo
	s_delay_alu instid0(VALU_DEP_2) | instskip(SKIP_1) | instid1(VALU_DEP_3)
	v_mul_hi_u32 v5, s0, v3
	v_mul_lo_u32 v7, s25, v3
	v_mul_lo_u32 v6, s0, v4
	s_delay_alu instid0(VALU_DEP_1) | instskip(SKIP_1) | instid1(VALU_DEP_2)
	v_add_nc_u32_e32 v5, v5, v6
	v_mul_lo_u32 v6, s0, v3
	v_add_nc_u32_e32 v5, v5, v7
	s_delay_alu instid0(VALU_DEP_2) | instskip(NEXT) | instid1(VALU_DEP_2)
	v_mul_hi_u32 v7, v3, v6
	v_mul_lo_u32 v10, v3, v5
	v_mul_hi_u32 v11, v3, v5
	v_mul_hi_u32 v13, v4, v6
	v_mul_lo_u32 v6, v4, v6
	v_mul_hi_u32 v15, v4, v5
	v_mul_lo_u32 v5, v4, v5
	v_add_co_u32 v7, vcc_lo, v7, v10
	v_add_co_ci_u32_e32 v10, vcc_lo, 0, v11, vcc_lo
	s_delay_alu instid0(VALU_DEP_2) | instskip(NEXT) | instid1(VALU_DEP_2)
	v_add_co_u32 v6, vcc_lo, v7, v6
	v_add_co_ci_u32_e32 v6, vcc_lo, v10, v13, vcc_lo
	v_add_co_ci_u32_e32 v7, vcc_lo, 0, v15, vcc_lo
	v_add_co_u32 v10, vcc_lo, v8, v12
	v_add_co_ci_u32_e32 v11, vcc_lo, v9, v12, vcc_lo
	s_delay_alu instid0(VALU_DEP_4) | instskip(NEXT) | instid1(VALU_DEP_4)
	v_add_co_u32 v5, vcc_lo, v6, v5
	v_add_co_ci_u32_e32 v6, vcc_lo, 0, v7, vcc_lo
	s_delay_alu instid0(VALU_DEP_4) | instskip(NEXT) | instid1(VALU_DEP_3)
	v_xor_b32_e32 v7, v10, v12
	v_add_co_u32 v10, vcc_lo, v3, v5
	s_delay_alu instid0(VALU_DEP_3) | instskip(SKIP_1) | instid1(VALU_DEP_3)
	v_add_co_ci_u32_e32 v13, vcc_lo, v4, v6, vcc_lo
	v_xor_b32_e32 v15, v11, v12
	v_mul_hi_u32 v16, v7, v10
	s_delay_alu instid0(VALU_DEP_3) | instskip(NEXT) | instid1(VALU_DEP_3)
	v_mad_u64_u32 v[3:4], null, v7, v13, 0
	v_mad_u64_u32 v[5:6], null, v15, v10, 0
	;; [unrolled: 1-line block ×3, first 2 shown]
	s_delay_alu instid0(VALU_DEP_3) | instskip(NEXT) | instid1(VALU_DEP_4)
	v_add_co_u32 v3, vcc_lo, v16, v3
	v_add_co_ci_u32_e32 v4, vcc_lo, 0, v4, vcc_lo
	s_delay_alu instid0(VALU_DEP_2) | instskip(NEXT) | instid1(VALU_DEP_2)
	v_add_co_u32 v3, vcc_lo, v3, v5
	v_add_co_ci_u32_e32 v3, vcc_lo, v4, v6, vcc_lo
	v_add_co_ci_u32_e32 v4, vcc_lo, 0, v11, vcc_lo
	s_delay_alu instid0(VALU_DEP_2) | instskip(NEXT) | instid1(VALU_DEP_2)
	v_add_co_u32 v5, vcc_lo, v3, v10
	v_add_co_ci_u32_e32 v6, vcc_lo, 0, v4, vcc_lo
	s_delay_alu instid0(VALU_DEP_2) | instskip(SKIP_1) | instid1(VALU_DEP_3)
	v_mul_lo_u32 v10, s29, v5
	v_mad_u64_u32 v[3:4], null, s28, v5, 0
	v_mul_lo_u32 v11, s28, v6
	s_delay_alu instid0(VALU_DEP_2) | instskip(NEXT) | instid1(VALU_DEP_2)
	v_sub_co_u32 v3, vcc_lo, v7, v3
	v_add3_u32 v4, v4, v11, v10
	s_delay_alu instid0(VALU_DEP_1) | instskip(NEXT) | instid1(VALU_DEP_1)
	v_sub_nc_u32_e32 v10, v15, v4
	v_subrev_co_ci_u32_e64 v7, s0, s29, v10, vcc_lo
	v_add_co_u32 v10, s0, v5, 2
	s_delay_alu instid0(VALU_DEP_1) | instskip(SKIP_3) | instid1(VALU_DEP_3)
	v_add_co_ci_u32_e64 v11, s0, 0, v6, s0
	v_sub_co_u32 v13, s0, v3, s28
	v_sub_co_ci_u32_e32 v4, vcc_lo, v15, v4, vcc_lo
	v_subrev_co_ci_u32_e64 v7, s0, 0, v7, s0
	v_cmp_le_u32_e32 vcc_lo, s28, v13
	s_delay_alu instid0(VALU_DEP_3) | instskip(SKIP_1) | instid1(VALU_DEP_4)
	v_cmp_eq_u32_e64 s0, s29, v4
	v_cndmask_b32_e64 v13, 0, -1, vcc_lo
	v_cmp_le_u32_e32 vcc_lo, s29, v7
	v_cndmask_b32_e64 v15, 0, -1, vcc_lo
	v_cmp_le_u32_e32 vcc_lo, s28, v3
	;; [unrolled: 2-line block ×3, first 2 shown]
	v_cndmask_b32_e64 v16, 0, -1, vcc_lo
	v_cmp_eq_u32_e32 vcc_lo, s29, v7
	s_delay_alu instid0(VALU_DEP_2) | instskip(SKIP_3) | instid1(VALU_DEP_3)
	v_cndmask_b32_e64 v3, v16, v3, s0
	v_cndmask_b32_e32 v7, v15, v13, vcc_lo
	v_add_co_u32 v13, vcc_lo, v5, 1
	v_add_co_ci_u32_e32 v15, vcc_lo, 0, v6, vcc_lo
	v_cmp_ne_u32_e32 vcc_lo, 0, v7
	s_delay_alu instid0(VALU_DEP_2) | instskip(SKIP_2) | instid1(VALU_DEP_3)
	v_dual_cndmask_b32 v4, v15, v11 :: v_dual_cndmask_b32 v7, v13, v10
	v_cmp_ne_u32_e32 vcc_lo, 0, v3
	v_xor_b32_e32 v3, s26, v12
	v_dual_cndmask_b32 v5, v5, v7 :: v_dual_cndmask_b32 v4, v6, v4
	s_delay_alu instid0(VALU_DEP_1) | instskip(NEXT) | instid1(VALU_DEP_2)
	v_xor_b32_e32 v5, v5, v3
	v_xor_b32_e32 v4, v4, v3
	s_delay_alu instid0(VALU_DEP_2) | instskip(NEXT) | instid1(VALU_DEP_2)
	v_sub_co_u32 v6, vcc_lo, v5, v3
	v_sub_co_ci_u32_e32 v7, vcc_lo, v4, v3, vcc_lo
.LBB58_9:                               ;   in Loop: Header=BB58_3 Depth=1
	s_and_not1_saveexec_b32 s0, s1
	s_cbranch_execz .LBB58_11
; %bb.10:                               ;   in Loop: Header=BB58_3 Depth=1
	v_cvt_f32_u32_e32 v3, s22
	s_sub_i32 s1, 0, s22
	v_mov_b32_e32 v7, v2
	s_delay_alu instid0(VALU_DEP_2) | instskip(SKIP_2) | instid1(VALU_DEP_1)
	v_rcp_iflag_f32_e32 v3, v3
	s_waitcnt_depctr 0xfff
	v_mul_f32_e32 v3, 0x4f7ffffe, v3
	v_cvt_u32_f32_e32 v3, v3
	s_delay_alu instid0(VALU_DEP_1) | instskip(NEXT) | instid1(VALU_DEP_1)
	v_mul_lo_u32 v4, s1, v3
	v_mul_hi_u32 v4, v3, v4
	s_delay_alu instid0(VALU_DEP_1) | instskip(NEXT) | instid1(VALU_DEP_1)
	v_add_nc_u32_e32 v3, v3, v4
	v_mul_hi_u32 v3, v8, v3
	s_delay_alu instid0(VALU_DEP_1) | instskip(SKIP_1) | instid1(VALU_DEP_2)
	v_mul_lo_u32 v4, v3, s22
	v_add_nc_u32_e32 v5, 1, v3
	v_sub_nc_u32_e32 v4, v8, v4
	s_delay_alu instid0(VALU_DEP_1) | instskip(SKIP_1) | instid1(VALU_DEP_2)
	v_subrev_nc_u32_e32 v6, s22, v4
	v_cmp_le_u32_e32 vcc_lo, s22, v4
	v_dual_cndmask_b32 v4, v4, v6 :: v_dual_cndmask_b32 v3, v3, v5
	s_delay_alu instid0(VALU_DEP_1) | instskip(NEXT) | instid1(VALU_DEP_2)
	v_cmp_le_u32_e32 vcc_lo, s22, v4
	v_add_nc_u32_e32 v5, 1, v3
	s_delay_alu instid0(VALU_DEP_1)
	v_cndmask_b32_e32 v6, v3, v5, vcc_lo
.LBB58_11:                              ;   in Loop: Header=BB58_3 Depth=1
	s_or_b32 exec_lo, exec_lo, s0
	v_mul_lo_u32 v5, v9, s2
	v_mul_lo_u32 v12, v8, s3
	v_mad_u64_u32 v[3:4], null, v8, s2, 0
	v_mul_lo_u32 v13, v7, s22
	v_mul_lo_u32 v15, v6, s23
	v_mad_u64_u32 v[10:11], null, v6, s22, 0
	s_mov_b32 s25, exec_lo
	s_delay_alu instid0(VALU_DEP_4) | instskip(SKIP_1) | instid1(VALU_DEP_3)
	v_add3_u32 v5, v4, v12, v5
	v_sub_co_u32 v4, vcc_lo, v0, v3
	v_add3_u32 v11, v11, v15, v13
	s_delay_alu instid0(VALU_DEP_3) | instskip(SKIP_1) | instid1(VALU_DEP_3)
	v_sub_co_ci_u32_e32 v5, vcc_lo, v1, v5, vcc_lo
	v_sub_co_u32 v15, vcc_lo, v8, v10
	v_sub_co_ci_u32_e32 v16, vcc_lo, v9, v11, vcc_lo
	s_delay_alu instid0(VALU_DEP_2) | instskip(NEXT) | instid1(VALU_DEP_2)
	v_sub_co_u32 v8, vcc_lo, v4, v15
	v_sub_co_ci_u32_e32 v9, vcc_lo, v5, v16, vcc_lo
	s_delay_alu instid0(VALU_DEP_1)
	v_cmpx_gt_i64_e64 s[4:5], v[8:9]
	s_cbranch_execz .LBB58_2
; %bb.12:                               ;   in Loop: Header=BB58_3 Depth=1
	s_clause 0x1
	s_load_b64 s[28:29], s[10:11], 0x0
	s_load_b64 s[0:1], s[12:13], 0x0
	s_and_b32 vcc_lo, exec_lo, s44
	s_mov_b64 s[30:31], s[20:21]
	s_mov_b64 s[34:35], s[18:19]
	;; [unrolled: 1-line block ×3, first 2 shown]
	s_waitcnt lgkmcnt(0)
	v_mul_lo_u32 v3, s29, v4
	v_mul_lo_u32 v10, s28, v5
	v_mad_u64_u32 v[8:9], null, s28, v4, 0
	s_delay_alu instid0(VALU_DEP_1) | instskip(SKIP_1) | instid1(VALU_DEP_2)
	v_add3_u32 v9, v9, v10, v3
	v_mul_lo_u32 v3, s0, v16
	v_mad_u64_u32 v[12:13], null, s0, v15, v[8:9]
	v_mul_lo_u32 v8, s1, v15
	s_delay_alu instid0(VALU_DEP_1) | instskip(NEXT) | instid1(VALU_DEP_1)
	v_add3_u32 v13, v8, v13, v3
	v_dual_mov_b32 v8, v12 :: v_dual_mov_b32 v9, v13
	s_cbranch_vccnz .LBB58_23
.LBB58_13:                              ;   in Loop: Header=BB58_3 Depth=1
	s_load_b64 s[0:1], s[14:15], 0x0
	s_waitcnt lgkmcnt(0)
	v_cmp_gt_i64_e32 vcc_lo, s[0:1], v[4:5]
	s_and_b32 exec_lo, exec_lo, vcc_lo
	s_cbranch_execz .LBB58_2
; %bb.14:                               ;   in Loop: Header=BB58_3 Depth=1
	v_add_co_u32 v8, vcc_lo, v4, 1
	v_add_co_ci_u32_e32 v9, vcc_lo, 0, v5, vcc_lo
	v_add_co_u32 v6, vcc_lo, s8, v12
	v_add_co_ci_u32_e32 v7, vcc_lo, s9, v13, vcc_lo
	s_delay_alu instid0(VALU_DEP_3)
	v_cmp_gt_i64_e32 vcc_lo, s[0:1], v[8:9]
	global_store_b8 v[6:7], v2, off
	s_and_b32 exec_lo, exec_lo, vcc_lo
	s_cbranch_execz .LBB58_2
; %bb.15:                               ;   in Loop: Header=BB58_3 Depth=1
	v_sub_co_u32 v8, vcc_lo, v8, v15
	v_sub_co_ci_u32_e32 v9, vcc_lo, v9, v16, vcc_lo
	s_mov_b32 s27, exec_lo
	s_delay_alu instid0(VALU_DEP_1)
	v_cmpx_gt_i64_e64 s[4:5], v[8:9]
	s_cbranch_execz .LBB58_17
; %bb.16:                               ;   in Loop: Header=BB58_3 Depth=1
	v_add_co_u32 v8, vcc_lo, v6, s28
	v_add_co_ci_u32_e32 v9, vcc_lo, s29, v7, vcc_lo
	global_store_b8 v[8:9], v2, off
.LBB58_17:                              ;   in Loop: Header=BB58_3 Depth=1
	s_or_b32 exec_lo, exec_lo, s27
	v_add_co_u32 v8, vcc_lo, v4, 2
	v_add_co_ci_u32_e32 v9, vcc_lo, 0, v5, vcc_lo
	s_delay_alu instid0(VALU_DEP_1)
	v_cmp_gt_i64_e32 vcc_lo, s[0:1], v[8:9]
	s_and_b32 exec_lo, exec_lo, vcc_lo
	s_cbranch_execz .LBB58_2
; %bb.18:                               ;   in Loop: Header=BB58_3 Depth=1
	v_sub_co_u32 v8, vcc_lo, v8, v15
	v_sub_co_ci_u32_e32 v9, vcc_lo, v9, v16, vcc_lo
	s_mov_b32 s27, exec_lo
	s_delay_alu instid0(VALU_DEP_1)
	v_cmpx_gt_i64_e64 s[4:5], v[8:9]
	s_cbranch_execz .LBB58_20
; %bb.19:                               ;   in Loop: Header=BB58_3 Depth=1
	s_lshl_b64 s[30:31], s[28:29], 1
	s_delay_alu instid0(SALU_CYCLE_1)
	v_add_co_u32 v8, vcc_lo, v6, s30
	v_add_co_ci_u32_e32 v9, vcc_lo, s31, v7, vcc_lo
	global_store_b8 v[8:9], v2, off
.LBB58_20:                              ;   in Loop: Header=BB58_3 Depth=1
	s_or_b32 exec_lo, exec_lo, s27
	v_add_co_u32 v3, vcc_lo, v4, 3
	v_add_co_ci_u32_e32 v4, vcc_lo, 0, v5, vcc_lo
	s_delay_alu instid0(VALU_DEP_2) | instskip(NEXT) | instid1(VALU_DEP_2)
	v_sub_co_u32 v8, vcc_lo, v3, v15
	v_sub_co_ci_u32_e32 v9, vcc_lo, v4, v16, vcc_lo
	v_cmp_gt_i64_e32 vcc_lo, s[0:1], v[3:4]
	s_delay_alu instid0(VALU_DEP_2) | instskip(NEXT) | instid1(VALU_DEP_1)
	v_cmp_gt_i64_e64 s0, s[4:5], v[8:9]
	s_and_b32 s0, vcc_lo, s0
	s_delay_alu instid0(SALU_CYCLE_1)
	s_and_b32 exec_lo, exec_lo, s0
	s_cbranch_execz .LBB58_2
; %bb.21:                               ;   in Loop: Header=BB58_3 Depth=1
	v_mad_u64_u32 v[3:4], null, s28, 3, v[6:7]
	s_delay_alu instid0(VALU_DEP_1) | instskip(NEXT) | instid1(VALU_DEP_1)
	v_mad_u64_u32 v[5:6], null, s29, 3, v[4:5]
	v_mov_b32_e32 v4, v5
	global_store_b8 v[3:4], v2, off
	s_branch .LBB58_2
.LBB58_22:                              ;   in Loop: Header=BB58_23 Depth=2
	s_or_b32 exec_lo, exec_lo, s0
	s_load_b64 s[0:1], s[36:37], 0x0
	s_delay_alu instid0(VALU_DEP_1)
	v_mul_lo_u32 v3, v11, s38
	v_mul_lo_u32 v17, v10, s39
	v_mad_u64_u32 v[12:13], null, v10, s38, 0
	s_add_u32 s36, s36, -8
	s_addc_u32 s37, s37, -1
	s_add_u32 s34, s34, -8
	s_addc_u32 s35, s35, -1
	;; [unrolled: 2-line block ×3, first 2 shown]
	s_delay_alu instid0(VALU_DEP_1) | instskip(SKIP_1) | instid1(VALU_DEP_2)
	v_add3_u32 v3, v13, v17, v3
	v_sub_co_u32 v6, vcc_lo, v6, v12
	v_sub_co_ci_u32_e32 v3, vcc_lo, v7, v3, vcc_lo
	s_waitcnt lgkmcnt(0)
	s_delay_alu instid0(VALU_DEP_2) | instskip(NEXT) | instid1(VALU_DEP_2)
	v_mul_lo_u32 v7, s1, v6
	v_mul_lo_u32 v3, s0, v3
	v_mad_u64_u32 v[12:13], null, s0, v6, v[8:9]
	v_cmp_lt_i64_e64 s0, s[30:31], 1
	s_delay_alu instid0(VALU_DEP_1) | instskip(NEXT) | instid1(VALU_DEP_2)
	s_and_b32 vcc_lo, exec_lo, s0
	v_add3_u32 v13, v7, v13, v3
	s_delay_alu instid0(VALU_DEP_3) | instskip(SKIP_1) | instid1(VALU_DEP_3)
	v_mov_b32_e32 v8, v12
	v_dual_mov_b32 v6, v10 :: v_dual_mov_b32 v7, v11
	v_mov_b32_e32 v9, v13
	s_cbranch_vccnz .LBB58_13
.LBB58_23:                              ;   Parent Loop BB58_3 Depth=1
                                        ; =>  This Inner Loop Header: Depth=2
	s_load_b64 s[38:39], s[34:35], 0x0
                                        ; implicit-def: $vgpr10_vgpr11
	s_mov_b32 s0, exec_lo
	s_waitcnt lgkmcnt(0)
	v_or_b32_e32 v3, s39, v7
	s_delay_alu instid0(VALU_DEP_1)
	v_cmpx_ne_u64_e32 0, v[2:3]
	s_xor_b32 s1, exec_lo, s0
	s_cbranch_execz .LBB58_25
; %bb.24:                               ;   in Loop: Header=BB58_23 Depth=2
	s_ashr_i32 s40, s39, 31
	s_delay_alu instid0(SALU_CYCLE_1) | instskip(SKIP_2) | instid1(SALU_CYCLE_1)
	s_add_u32 s42, s38, s40
	s_mov_b32 s41, s40
	s_addc_u32 s43, s39, s40
	s_xor_b64 s[42:43], s[42:43], s[40:41]
	s_delay_alu instid0(SALU_CYCLE_1) | instskip(SKIP_3) | instid1(VALU_DEP_1)
	v_cvt_f32_u32_e32 v3, s42
	v_cvt_f32_u32_e32 v10, s43
	s_sub_u32 s0, 0, s42
	s_subb_u32 s27, 0, s43
	v_fmac_f32_e32 v3, 0x4f800000, v10
	s_delay_alu instid0(VALU_DEP_1) | instskip(SKIP_2) | instid1(VALU_DEP_1)
	v_rcp_f32_e32 v3, v3
	s_waitcnt_depctr 0xfff
	v_mul_f32_e32 v3, 0x5f7ffffc, v3
	v_mul_f32_e32 v10, 0x2f800000, v3
	s_delay_alu instid0(VALU_DEP_1) | instskip(NEXT) | instid1(VALU_DEP_1)
	v_trunc_f32_e32 v10, v10
	v_fmac_f32_e32 v3, 0xcf800000, v10
	v_cvt_u32_f32_e32 v10, v10
	s_delay_alu instid0(VALU_DEP_2) | instskip(NEXT) | instid1(VALU_DEP_2)
	v_cvt_u32_f32_e32 v3, v3
	v_mul_lo_u32 v11, s0, v10
	s_delay_alu instid0(VALU_DEP_2) | instskip(SKIP_1) | instid1(VALU_DEP_2)
	v_mul_hi_u32 v12, s0, v3
	v_mul_lo_u32 v13, s27, v3
	v_add_nc_u32_e32 v11, v12, v11
	v_mul_lo_u32 v12, s0, v3
	s_delay_alu instid0(VALU_DEP_2) | instskip(NEXT) | instid1(VALU_DEP_2)
	v_add_nc_u32_e32 v11, v11, v13
	v_mul_hi_u32 v13, v3, v12
	s_delay_alu instid0(VALU_DEP_2)
	v_mul_lo_u32 v17, v3, v11
	v_mul_hi_u32 v18, v3, v11
	v_mul_hi_u32 v19, v10, v12
	v_mul_lo_u32 v12, v10, v12
	v_mul_hi_u32 v20, v10, v11
	v_mul_lo_u32 v11, v10, v11
	v_add_co_u32 v13, vcc_lo, v13, v17
	v_add_co_ci_u32_e32 v17, vcc_lo, 0, v18, vcc_lo
	s_delay_alu instid0(VALU_DEP_2) | instskip(NEXT) | instid1(VALU_DEP_2)
	v_add_co_u32 v12, vcc_lo, v13, v12
	v_add_co_ci_u32_e32 v12, vcc_lo, v17, v19, vcc_lo
	v_add_co_ci_u32_e32 v13, vcc_lo, 0, v20, vcc_lo
	v_ashrrev_i32_e32 v19, 31, v7
	s_delay_alu instid0(VALU_DEP_3) | instskip(NEXT) | instid1(VALU_DEP_3)
	v_add_co_u32 v11, vcc_lo, v12, v11
	v_add_co_ci_u32_e32 v12, vcc_lo, 0, v13, vcc_lo
	s_delay_alu instid0(VALU_DEP_2) | instskip(NEXT) | instid1(VALU_DEP_2)
	v_add_co_u32 v3, vcc_lo, v3, v11
	v_add_co_ci_u32_e32 v10, vcc_lo, v10, v12, vcc_lo
	s_delay_alu instid0(VALU_DEP_2) | instskip(SKIP_1) | instid1(VALU_DEP_3)
	v_mul_hi_u32 v11, s0, v3
	v_mul_lo_u32 v13, s27, v3
	v_mul_lo_u32 v12, s0, v10
	s_delay_alu instid0(VALU_DEP_1) | instskip(SKIP_1) | instid1(VALU_DEP_2)
	v_add_nc_u32_e32 v11, v11, v12
	v_mul_lo_u32 v12, s0, v3
	v_add_nc_u32_e32 v11, v11, v13
	s_delay_alu instid0(VALU_DEP_2) | instskip(NEXT) | instid1(VALU_DEP_2)
	v_mul_hi_u32 v13, v3, v12
	v_mul_lo_u32 v17, v3, v11
	v_mul_hi_u32 v18, v3, v11
	v_mul_hi_u32 v20, v10, v12
	v_mul_lo_u32 v12, v10, v12
	v_mul_hi_u32 v21, v10, v11
	v_mul_lo_u32 v11, v10, v11
	v_add_co_u32 v13, vcc_lo, v13, v17
	v_add_co_ci_u32_e32 v17, vcc_lo, 0, v18, vcc_lo
	s_delay_alu instid0(VALU_DEP_2) | instskip(NEXT) | instid1(VALU_DEP_2)
	v_add_co_u32 v12, vcc_lo, v13, v12
	v_add_co_ci_u32_e32 v12, vcc_lo, v17, v20, vcc_lo
	v_add_co_ci_u32_e32 v13, vcc_lo, 0, v21, vcc_lo
	v_add_co_u32 v17, vcc_lo, v6, v19
	v_add_co_ci_u32_e32 v18, vcc_lo, v7, v19, vcc_lo
	s_delay_alu instid0(VALU_DEP_4) | instskip(NEXT) | instid1(VALU_DEP_4)
	v_add_co_u32 v11, vcc_lo, v12, v11
	v_add_co_ci_u32_e32 v12, vcc_lo, 0, v13, vcc_lo
	s_delay_alu instid0(VALU_DEP_4) | instskip(NEXT) | instid1(VALU_DEP_3)
	v_xor_b32_e32 v20, v17, v19
	v_add_co_u32 v3, vcc_lo, v3, v11
	s_delay_alu instid0(VALU_DEP_3) | instskip(SKIP_1) | instid1(VALU_DEP_3)
	v_add_co_ci_u32_e32 v21, vcc_lo, v10, v12, vcc_lo
	v_xor_b32_e32 v22, v18, v19
	v_mul_hi_u32 v23, v20, v3
	s_delay_alu instid0(VALU_DEP_3) | instskip(NEXT) | instid1(VALU_DEP_3)
	v_mad_u64_u32 v[10:11], null, v20, v21, 0
	v_mad_u64_u32 v[12:13], null, v22, v3, 0
	;; [unrolled: 1-line block ×3, first 2 shown]
	s_delay_alu instid0(VALU_DEP_3) | instskip(NEXT) | instid1(VALU_DEP_4)
	v_add_co_u32 v3, vcc_lo, v23, v10
	v_add_co_ci_u32_e32 v10, vcc_lo, 0, v11, vcc_lo
	s_delay_alu instid0(VALU_DEP_2) | instskip(NEXT) | instid1(VALU_DEP_2)
	v_add_co_u32 v3, vcc_lo, v3, v12
	v_add_co_ci_u32_e32 v3, vcc_lo, v10, v13, vcc_lo
	v_add_co_ci_u32_e32 v10, vcc_lo, 0, v18, vcc_lo
	s_delay_alu instid0(VALU_DEP_2) | instskip(NEXT) | instid1(VALU_DEP_2)
	v_add_co_u32 v3, vcc_lo, v3, v17
	v_add_co_ci_u32_e32 v12, vcc_lo, 0, v10, vcc_lo
	s_delay_alu instid0(VALU_DEP_2) | instskip(SKIP_1) | instid1(VALU_DEP_3)
	v_mul_lo_u32 v13, s43, v3
	v_mad_u64_u32 v[10:11], null, s42, v3, 0
	v_mul_lo_u32 v17, s42, v12
	s_delay_alu instid0(VALU_DEP_2) | instskip(NEXT) | instid1(VALU_DEP_2)
	v_sub_co_u32 v10, vcc_lo, v20, v10
	v_add3_u32 v11, v11, v17, v13
	s_delay_alu instid0(VALU_DEP_1) | instskip(NEXT) | instid1(VALU_DEP_1)
	v_sub_nc_u32_e32 v13, v22, v11
	v_subrev_co_ci_u32_e64 v13, s0, s43, v13, vcc_lo
	v_add_co_u32 v17, s0, v3, 2
	s_delay_alu instid0(VALU_DEP_1) | instskip(SKIP_3) | instid1(VALU_DEP_3)
	v_add_co_ci_u32_e64 v18, s0, 0, v12, s0
	v_sub_co_u32 v20, s0, v10, s42
	v_sub_co_ci_u32_e32 v11, vcc_lo, v22, v11, vcc_lo
	v_subrev_co_ci_u32_e64 v13, s0, 0, v13, s0
	v_cmp_le_u32_e32 vcc_lo, s42, v20
	s_delay_alu instid0(VALU_DEP_3) | instskip(SKIP_1) | instid1(VALU_DEP_4)
	v_cmp_eq_u32_e64 s0, s43, v11
	v_cndmask_b32_e64 v20, 0, -1, vcc_lo
	v_cmp_le_u32_e32 vcc_lo, s43, v13
	v_cndmask_b32_e64 v21, 0, -1, vcc_lo
	v_cmp_le_u32_e32 vcc_lo, s42, v10
	v_cndmask_b32_e64 v10, 0, -1, vcc_lo
	v_cmp_le_u32_e32 vcc_lo, s43, v11
	v_cndmask_b32_e64 v22, 0, -1, vcc_lo
	v_cmp_eq_u32_e32 vcc_lo, s43, v13
	s_delay_alu instid0(VALU_DEP_2) | instskip(SKIP_3) | instid1(VALU_DEP_3)
	v_cndmask_b32_e64 v10, v22, v10, s0
	v_cndmask_b32_e32 v13, v21, v20, vcc_lo
	v_add_co_u32 v20, vcc_lo, v3, 1
	v_add_co_ci_u32_e32 v21, vcc_lo, 0, v12, vcc_lo
	v_cmp_ne_u32_e32 vcc_lo, 0, v13
	s_delay_alu instid0(VALU_DEP_2) | instskip(NEXT) | instid1(VALU_DEP_4)
	v_cndmask_b32_e32 v11, v21, v18, vcc_lo
	v_cndmask_b32_e32 v13, v20, v17, vcc_lo
	v_cmp_ne_u32_e32 vcc_lo, 0, v10
	v_xor_b32_e32 v17, s40, v19
	s_delay_alu instid0(VALU_DEP_3) | instskip(NEXT) | instid1(VALU_DEP_1)
	v_dual_cndmask_b32 v3, v3, v13 :: v_dual_cndmask_b32 v10, v12, v11
	v_xor_b32_e32 v3, v3, v17
	s_delay_alu instid0(VALU_DEP_2) | instskip(NEXT) | instid1(VALU_DEP_2)
	v_xor_b32_e32 v11, v10, v17
	v_sub_co_u32 v10, vcc_lo, v3, v17
	s_delay_alu instid0(VALU_DEP_2)
	v_sub_co_ci_u32_e32 v11, vcc_lo, v11, v17, vcc_lo
.LBB58_25:                              ;   in Loop: Header=BB58_23 Depth=2
	s_and_not1_saveexec_b32 s0, s1
	s_cbranch_execz .LBB58_22
; %bb.26:                               ;   in Loop: Header=BB58_23 Depth=2
	v_cvt_f32_u32_e32 v3, s38
	s_sub_i32 s1, 0, s38
	s_delay_alu instid0(VALU_DEP_1) | instskip(SKIP_2) | instid1(VALU_DEP_1)
	v_rcp_iflag_f32_e32 v3, v3
	s_waitcnt_depctr 0xfff
	v_mul_f32_e32 v3, 0x4f7ffffe, v3
	v_cvt_u32_f32_e32 v3, v3
	s_delay_alu instid0(VALU_DEP_1) | instskip(NEXT) | instid1(VALU_DEP_1)
	v_mul_lo_u32 v10, s1, v3
	v_mul_hi_u32 v10, v3, v10
	s_delay_alu instid0(VALU_DEP_1) | instskip(NEXT) | instid1(VALU_DEP_1)
	v_add_nc_u32_e32 v3, v3, v10
	v_mul_hi_u32 v3, v6, v3
	s_delay_alu instid0(VALU_DEP_1) | instskip(SKIP_1) | instid1(VALU_DEP_2)
	v_mul_lo_u32 v10, v3, s38
	v_add_nc_u32_e32 v11, 1, v3
	v_sub_nc_u32_e32 v10, v6, v10
	s_delay_alu instid0(VALU_DEP_1) | instskip(SKIP_1) | instid1(VALU_DEP_2)
	v_subrev_nc_u32_e32 v12, s38, v10
	v_cmp_le_u32_e32 vcc_lo, s38, v10
	v_dual_cndmask_b32 v10, v10, v12 :: v_dual_cndmask_b32 v3, v3, v11
	s_delay_alu instid0(VALU_DEP_1) | instskip(NEXT) | instid1(VALU_DEP_2)
	v_cmp_le_u32_e32 vcc_lo, s38, v10
	v_add_nc_u32_e32 v11, 1, v3
	s_delay_alu instid0(VALU_DEP_1)
	v_dual_cndmask_b32 v10, v3, v11 :: v_dual_mov_b32 v11, v2
	s_branch .LBB58_22
.LBB58_27:
	s_nop 0
	s_sendmsg sendmsg(MSG_DEALLOC_VGPRS)
	s_endpgm
	.section	.rodata,"a",@progbits
	.p2align	6, 0x0
	.amdhsa_kernel _ZN2at6native16triu_tril_kernelIalLb1ELi4ELb1EEEvNS_4cuda6detail10TensorInfoIT_T0_EENS4_IKS5_S6_EEllS6_
		.amdhsa_group_segment_fixed_size 0
		.amdhsa_private_segment_fixed_size 0
		.amdhsa_kernarg_size 1112
		.amdhsa_user_sgpr_count 15
		.amdhsa_user_sgpr_dispatch_ptr 0
		.amdhsa_user_sgpr_queue_ptr 0
		.amdhsa_user_sgpr_kernarg_segment_ptr 1
		.amdhsa_user_sgpr_dispatch_id 0
		.amdhsa_user_sgpr_private_segment_size 0
		.amdhsa_wavefront_size32 1
		.amdhsa_uses_dynamic_stack 0
		.amdhsa_enable_private_segment 0
		.amdhsa_system_sgpr_workgroup_id_x 1
		.amdhsa_system_sgpr_workgroup_id_y 0
		.amdhsa_system_sgpr_workgroup_id_z 0
		.amdhsa_system_sgpr_workgroup_info 0
		.amdhsa_system_vgpr_workitem_id 0
		.amdhsa_next_free_vgpr 24
		.amdhsa_next_free_sgpr 46
		.amdhsa_reserve_vcc 1
		.amdhsa_float_round_mode_32 0
		.amdhsa_float_round_mode_16_64 0
		.amdhsa_float_denorm_mode_32 3
		.amdhsa_float_denorm_mode_16_64 3
		.amdhsa_dx10_clamp 1
		.amdhsa_ieee_mode 1
		.amdhsa_fp16_overflow 0
		.amdhsa_workgroup_processor_mode 1
		.amdhsa_memory_ordered 1
		.amdhsa_forward_progress 0
		.amdhsa_shared_vgpr_count 0
		.amdhsa_exception_fp_ieee_invalid_op 0
		.amdhsa_exception_fp_denorm_src 0
		.amdhsa_exception_fp_ieee_div_zero 0
		.amdhsa_exception_fp_ieee_overflow 0
		.amdhsa_exception_fp_ieee_underflow 0
		.amdhsa_exception_fp_ieee_inexact 0
		.amdhsa_exception_int_div_zero 0
	.end_amdhsa_kernel
	.section	.text._ZN2at6native16triu_tril_kernelIalLb1ELi4ELb1EEEvNS_4cuda6detail10TensorInfoIT_T0_EENS4_IKS5_S6_EEllS6_,"axG",@progbits,_ZN2at6native16triu_tril_kernelIalLb1ELi4ELb1EEEvNS_4cuda6detail10TensorInfoIT_T0_EENS4_IKS5_S6_EEllS6_,comdat
.Lfunc_end58:
	.size	_ZN2at6native16triu_tril_kernelIalLb1ELi4ELb1EEEvNS_4cuda6detail10TensorInfoIT_T0_EENS4_IKS5_S6_EEllS6_, .Lfunc_end58-_ZN2at6native16triu_tril_kernelIalLb1ELi4ELb1EEEvNS_4cuda6detail10TensorInfoIT_T0_EENS4_IKS5_S6_EEllS6_
                                        ; -- End function
	.section	.AMDGPU.csdata,"",@progbits
; Kernel info:
; codeLenInByte = 4044
; NumSgprs: 48
; NumVgprs: 24
; ScratchSize: 0
; MemoryBound: 0
; FloatMode: 240
; IeeeMode: 1
; LDSByteSize: 0 bytes/workgroup (compile time only)
; SGPRBlocks: 5
; VGPRBlocks: 2
; NumSGPRsForWavesPerEU: 48
; NumVGPRsForWavesPerEU: 24
; Occupancy: 16
; WaveLimiterHint : 0
; COMPUTE_PGM_RSRC2:SCRATCH_EN: 0
; COMPUTE_PGM_RSRC2:USER_SGPR: 15
; COMPUTE_PGM_RSRC2:TRAP_HANDLER: 0
; COMPUTE_PGM_RSRC2:TGID_X_EN: 1
; COMPUTE_PGM_RSRC2:TGID_Y_EN: 0
; COMPUTE_PGM_RSRC2:TGID_Z_EN: 0
; COMPUTE_PGM_RSRC2:TIDIG_COMP_CNT: 0
	.section	.text._ZN2at6native16triu_tril_kernelIalLb1ELi4ELb0EEEvNS_4cuda6detail10TensorInfoIT_T0_EENS4_IKS5_S6_EEllS6_,"axG",@progbits,_ZN2at6native16triu_tril_kernelIalLb1ELi4ELb0EEEvNS_4cuda6detail10TensorInfoIT_T0_EENS4_IKS5_S6_EEllS6_,comdat
	.protected	_ZN2at6native16triu_tril_kernelIalLb1ELi4ELb0EEEvNS_4cuda6detail10TensorInfoIT_T0_EENS4_IKS5_S6_EEllS6_ ; -- Begin function _ZN2at6native16triu_tril_kernelIalLb1ELi4ELb0EEEvNS_4cuda6detail10TensorInfoIT_T0_EENS4_IKS5_S6_EEllS6_
	.globl	_ZN2at6native16triu_tril_kernelIalLb1ELi4ELb0EEEvNS_4cuda6detail10TensorInfoIT_T0_EENS4_IKS5_S6_EEllS6_
	.p2align	8
	.type	_ZN2at6native16triu_tril_kernelIalLb1ELi4ELb0EEEvNS_4cuda6detail10TensorInfoIT_T0_EENS4_IKS5_S6_EEllS6_,@function
_ZN2at6native16triu_tril_kernelIalLb1ELi4ELb0EEEvNS_4cuda6detail10TensorInfoIT_T0_EENS4_IKS5_S6_EEllS6_: ; @_ZN2at6native16triu_tril_kernelIalLb1ELi4ELb0EEEvNS_4cuda6detail10TensorInfoIT_T0_EENS4_IKS5_S6_EEllS6_
; %bb.0:
	s_clause 0x1
	s_load_b32 s2, s[0:1], 0x364
	s_load_b128 s[4:7], s[0:1], 0x340
	v_mov_b32_e32 v2, 0
	s_add_u32 s8, s0, 0x358
	s_addc_u32 s9, s1, 0
	s_delay_alu instid0(VALU_DEP_1) | instskip(SKIP_3) | instid1(VALU_DEP_1)
	v_mov_b32_e32 v1, v2
	s_waitcnt lgkmcnt(0)
	s_and_b32 s24, s2, 0xffff
	s_mov_b32 s2, exec_lo
	v_mad_u64_u32 v[3:4], null, s24, s15, v[0:1]
	s_delay_alu instid0(VALU_DEP_1) | instskip(NEXT) | instid1(VALU_DEP_1)
	v_lshlrev_b64 v[0:1], 2, v[3:4]
	v_cmpx_gt_i64_e64 s[6:7], v[0:1]
	s_cbranch_execz .LBB59_32
; %bb.1:
	s_clause 0x1
	s_load_b32 s26, s[0:1], 0x338
	s_load_b64 s[2:3], s[0:1], 0x350
	s_add_u32 s10, s0, 0x1a0
	s_addc_u32 s11, s1, 0
	s_load_b32 s25, s[8:9], 0x0
	s_clause 0x1
	s_load_b64 s[20:21], s[0:1], 0x1a0
	s_load_b64 s[22:23], s[0:1], 0x0
	s_mov_b32 s46, 0
	s_waitcnt lgkmcnt(0)
	s_ashr_i32 s27, s26, 31
	s_add_u32 s30, s0, 0x1a8
	s_addc_u32 s31, s1, 0
	s_lshl_b64 s[8:9], s[26:27], 3
	v_cvt_f32_u32_e32 v3, s2
	s_add_u32 s14, s8, -16
	s_addc_u32 s15, s9, -1
	s_add_u32 s8, s30, s14
	s_addc_u32 s9, s31, s15
	s_add_u32 s12, s10, s14
	s_addc_u32 s13, s11, s15
	;; [unrolled: 2-line block ×4, first 2 shown]
	s_clause 0x2
	s_load_b128 s[8:11], s[8:9], 0x0
	s_load_b128 s[12:15], s[12:13], 0xd0
	;; [unrolled: 1-line block ×3, first 2 shown]
	v_rcp_iflag_f32_e32 v3, v3
	s_add_i32 s28, s26, -3
	s_mul_i32 s25, s25, s24
	s_ashr_i32 s29, s28, 31
	v_cmp_gt_i64_e64 s1, s[26:27], 2
	s_lshl_b64 s[26:27], s[28:29], 3
	s_lshl_b32 s33, s25, 2
	s_add_u32 s24, s34, s26
	s_addc_u32 s25, s35, s27
	s_add_u32 s26, s30, s26
	s_waitcnt_depctr 0xfff
	v_mul_f32_e32 v3, 0x4f7ffffe, v3
	s_addc_u32 s27, s31, s27
	s_add_u32 s28, s28, 1
	s_addc_u32 s29, s29, 0
	s_ashr_i32 s30, s3, 31
	v_cvt_u32_f32_e32 v18, v3
	s_branch .LBB59_3
.LBB59_2:                               ;   in Loop: Header=BB59_3 Depth=1
	s_or_b32 exec_lo, exec_lo, s0
	v_add_co_u32 v0, vcc_lo, v0, s33
	v_add_co_ci_u32_e32 v1, vcc_lo, 0, v1, vcc_lo
	s_delay_alu instid0(VALU_DEP_1) | instskip(SKIP_1) | instid1(SALU_CYCLE_1)
	v_cmp_le_i64_e32 vcc_lo, s[6:7], v[0:1]
	s_or_b32 s46, vcc_lo, s46
	s_and_not1_b32 exec_lo, exec_lo, s46
	s_cbranch_execz .LBB59_32
.LBB59_3:                               ; =>This Loop Header: Depth=1
                                        ;     Child Loop BB59_28 Depth 2
	v_or_b32_e32 v3, s3, v1
                                        ; implicit-def: $vgpr8_vgpr9
	s_mov_b32 s0, exec_lo
	s_delay_alu instid0(VALU_DEP_1)
	v_cmpx_ne_u64_e32 0, v[2:3]
	s_xor_b32 s36, exec_lo, s0
	s_cbranch_execz .LBB59_5
; %bb.4:                                ;   in Loop: Header=BB59_3 Depth=1
	s_add_u32 s34, s2, s30
	s_mov_b32 s31, s30
	s_addc_u32 s35, s3, s30
	s_delay_alu instid0(SALU_CYCLE_1) | instskip(NEXT) | instid1(SALU_CYCLE_1)
	s_xor_b64 s[34:35], s[34:35], s[30:31]
	v_cvt_f32_u32_e32 v3, s34
	v_cvt_f32_u32_e32 v4, s35
	s_sub_u32 s0, 0, s34
	s_subb_u32 s31, 0, s35
	s_delay_alu instid0(VALU_DEP_1) | instskip(NEXT) | instid1(VALU_DEP_1)
	v_fmac_f32_e32 v3, 0x4f800000, v4
	v_rcp_f32_e32 v3, v3
	s_waitcnt_depctr 0xfff
	v_mul_f32_e32 v3, 0x5f7ffffc, v3
	s_delay_alu instid0(VALU_DEP_1) | instskip(NEXT) | instid1(VALU_DEP_1)
	v_mul_f32_e32 v4, 0x2f800000, v3
	v_trunc_f32_e32 v4, v4
	s_delay_alu instid0(VALU_DEP_1) | instskip(SKIP_1) | instid1(VALU_DEP_2)
	v_fmac_f32_e32 v3, 0xcf800000, v4
	v_cvt_u32_f32_e32 v4, v4
	v_cvt_u32_f32_e32 v3, v3
	s_delay_alu instid0(VALU_DEP_2) | instskip(NEXT) | instid1(VALU_DEP_2)
	v_mul_lo_u32 v5, s0, v4
	v_mul_hi_u32 v6, s0, v3
	v_mul_lo_u32 v7, s31, v3
	s_delay_alu instid0(VALU_DEP_2) | instskip(SKIP_1) | instid1(VALU_DEP_2)
	v_add_nc_u32_e32 v5, v6, v5
	v_mul_lo_u32 v6, s0, v3
	v_add_nc_u32_e32 v5, v5, v7
	s_delay_alu instid0(VALU_DEP_2) | instskip(NEXT) | instid1(VALU_DEP_2)
	v_mul_hi_u32 v7, v3, v6
	v_mul_lo_u32 v8, v3, v5
	v_mul_hi_u32 v9, v3, v5
	v_mul_hi_u32 v10, v4, v6
	v_mul_lo_u32 v6, v4, v6
	v_mul_hi_u32 v11, v4, v5
	v_mul_lo_u32 v5, v4, v5
	v_add_co_u32 v7, vcc_lo, v7, v8
	v_add_co_ci_u32_e32 v8, vcc_lo, 0, v9, vcc_lo
	s_delay_alu instid0(VALU_DEP_2) | instskip(NEXT) | instid1(VALU_DEP_2)
	v_add_co_u32 v6, vcc_lo, v7, v6
	v_add_co_ci_u32_e32 v6, vcc_lo, v8, v10, vcc_lo
	v_add_co_ci_u32_e32 v7, vcc_lo, 0, v11, vcc_lo
	v_ashrrev_i32_e32 v10, 31, v1
	s_delay_alu instid0(VALU_DEP_3) | instskip(NEXT) | instid1(VALU_DEP_3)
	v_add_co_u32 v5, vcc_lo, v6, v5
	v_add_co_ci_u32_e32 v6, vcc_lo, 0, v7, vcc_lo
	s_delay_alu instid0(VALU_DEP_2) | instskip(NEXT) | instid1(VALU_DEP_2)
	v_add_co_u32 v3, vcc_lo, v3, v5
	v_add_co_ci_u32_e32 v4, vcc_lo, v4, v6, vcc_lo
	s_delay_alu instid0(VALU_DEP_2) | instskip(SKIP_1) | instid1(VALU_DEP_3)
	v_mul_hi_u32 v5, s0, v3
	v_mul_lo_u32 v7, s31, v3
	v_mul_lo_u32 v6, s0, v4
	s_delay_alu instid0(VALU_DEP_1) | instskip(SKIP_1) | instid1(VALU_DEP_2)
	v_add_nc_u32_e32 v5, v5, v6
	v_mul_lo_u32 v6, s0, v3
	v_add_nc_u32_e32 v5, v5, v7
	s_delay_alu instid0(VALU_DEP_2) | instskip(NEXT) | instid1(VALU_DEP_2)
	v_mul_hi_u32 v7, v3, v6
	v_mul_lo_u32 v8, v3, v5
	v_mul_hi_u32 v9, v3, v5
	v_mul_hi_u32 v11, v4, v6
	v_mul_lo_u32 v6, v4, v6
	v_mul_hi_u32 v12, v4, v5
	v_mul_lo_u32 v5, v4, v5
	v_add_co_u32 v7, vcc_lo, v7, v8
	v_add_co_ci_u32_e32 v8, vcc_lo, 0, v9, vcc_lo
	s_delay_alu instid0(VALU_DEP_2) | instskip(NEXT) | instid1(VALU_DEP_2)
	v_add_co_u32 v6, vcc_lo, v7, v6
	v_add_co_ci_u32_e32 v6, vcc_lo, v8, v11, vcc_lo
	v_add_co_ci_u32_e32 v7, vcc_lo, 0, v12, vcc_lo
	v_add_co_u32 v8, vcc_lo, v0, v10
	v_add_co_ci_u32_e32 v9, vcc_lo, v1, v10, vcc_lo
	s_delay_alu instid0(VALU_DEP_4) | instskip(NEXT) | instid1(VALU_DEP_4)
	v_add_co_u32 v5, vcc_lo, v6, v5
	v_add_co_ci_u32_e32 v6, vcc_lo, 0, v7, vcc_lo
	s_delay_alu instid0(VALU_DEP_4) | instskip(NEXT) | instid1(VALU_DEP_3)
	v_xor_b32_e32 v11, v8, v10
	v_add_co_u32 v7, vcc_lo, v3, v5
	s_delay_alu instid0(VALU_DEP_3) | instskip(SKIP_1) | instid1(VALU_DEP_3)
	v_add_co_ci_u32_e32 v12, vcc_lo, v4, v6, vcc_lo
	v_xor_b32_e32 v9, v9, v10
	v_mul_hi_u32 v13, v11, v7
	s_delay_alu instid0(VALU_DEP_3) | instskip(NEXT) | instid1(VALU_DEP_3)
	v_mad_u64_u32 v[3:4], null, v11, v12, 0
	v_mad_u64_u32 v[5:6], null, v9, v7, 0
	;; [unrolled: 1-line block ×3, first 2 shown]
	s_delay_alu instid0(VALU_DEP_3) | instskip(NEXT) | instid1(VALU_DEP_4)
	v_add_co_u32 v3, vcc_lo, v13, v3
	v_add_co_ci_u32_e32 v4, vcc_lo, 0, v4, vcc_lo
	s_delay_alu instid0(VALU_DEP_2) | instskip(NEXT) | instid1(VALU_DEP_2)
	v_add_co_u32 v3, vcc_lo, v3, v5
	v_add_co_ci_u32_e32 v3, vcc_lo, v4, v6, vcc_lo
	v_add_co_ci_u32_e32 v4, vcc_lo, 0, v8, vcc_lo
	s_delay_alu instid0(VALU_DEP_2) | instskip(NEXT) | instid1(VALU_DEP_2)
	v_add_co_u32 v5, vcc_lo, v3, v7
	v_add_co_ci_u32_e32 v6, vcc_lo, 0, v4, vcc_lo
	s_delay_alu instid0(VALU_DEP_2) | instskip(SKIP_1) | instid1(VALU_DEP_3)
	v_mul_lo_u32 v7, s35, v5
	v_mad_u64_u32 v[3:4], null, s34, v5, 0
	v_mul_lo_u32 v8, s34, v6
	s_delay_alu instid0(VALU_DEP_2) | instskip(NEXT) | instid1(VALU_DEP_2)
	v_sub_co_u32 v3, vcc_lo, v11, v3
	v_add3_u32 v4, v4, v8, v7
	s_delay_alu instid0(VALU_DEP_1) | instskip(NEXT) | instid1(VALU_DEP_1)
	v_sub_nc_u32_e32 v7, v9, v4
	v_subrev_co_ci_u32_e64 v7, s0, s35, v7, vcc_lo
	v_add_co_u32 v8, s0, v5, 2
	s_delay_alu instid0(VALU_DEP_1) | instskip(SKIP_3) | instid1(VALU_DEP_3)
	v_add_co_ci_u32_e64 v11, s0, 0, v6, s0
	v_sub_co_u32 v12, s0, v3, s34
	v_sub_co_ci_u32_e32 v4, vcc_lo, v9, v4, vcc_lo
	v_subrev_co_ci_u32_e64 v7, s0, 0, v7, s0
	v_cmp_le_u32_e32 vcc_lo, s34, v12
	s_delay_alu instid0(VALU_DEP_3) | instskip(SKIP_1) | instid1(VALU_DEP_4)
	v_cmp_eq_u32_e64 s0, s35, v4
	v_cndmask_b32_e64 v9, 0, -1, vcc_lo
	v_cmp_le_u32_e32 vcc_lo, s35, v7
	v_cndmask_b32_e64 v12, 0, -1, vcc_lo
	v_cmp_le_u32_e32 vcc_lo, s34, v3
	;; [unrolled: 2-line block ×3, first 2 shown]
	v_cndmask_b32_e64 v13, 0, -1, vcc_lo
	v_cmp_eq_u32_e32 vcc_lo, s35, v7
	s_delay_alu instid0(VALU_DEP_2) | instskip(SKIP_3) | instid1(VALU_DEP_3)
	v_cndmask_b32_e64 v3, v13, v3, s0
	v_cndmask_b32_e32 v7, v12, v9, vcc_lo
	v_add_co_u32 v9, vcc_lo, v5, 1
	v_add_co_ci_u32_e32 v12, vcc_lo, 0, v6, vcc_lo
	v_cmp_ne_u32_e32 vcc_lo, 0, v7
	s_delay_alu instid0(VALU_DEP_2) | instskip(SKIP_2) | instid1(VALU_DEP_3)
	v_dual_cndmask_b32 v4, v12, v11 :: v_dual_cndmask_b32 v7, v9, v8
	v_cmp_ne_u32_e32 vcc_lo, 0, v3
	v_xor_b32_e32 v3, s30, v10
	v_dual_cndmask_b32 v5, v5, v7 :: v_dual_cndmask_b32 v4, v6, v4
	s_delay_alu instid0(VALU_DEP_1) | instskip(NEXT) | instid1(VALU_DEP_2)
	v_xor_b32_e32 v5, v5, v3
	v_xor_b32_e32 v4, v4, v3
	s_delay_alu instid0(VALU_DEP_2) | instskip(NEXT) | instid1(VALU_DEP_2)
	v_sub_co_u32 v8, vcc_lo, v5, v3
	v_sub_co_ci_u32_e32 v9, vcc_lo, v4, v3, vcc_lo
.LBB59_5:                               ;   in Loop: Header=BB59_3 Depth=1
	s_and_not1_saveexec_b32 s0, s36
	s_cbranch_execz .LBB59_7
; %bb.6:                                ;   in Loop: Header=BB59_3 Depth=1
	s_sub_i32 s31, 0, s2
	v_mov_b32_e32 v9, v2
	v_mul_lo_u32 v3, s31, v18
	s_delay_alu instid0(VALU_DEP_1) | instskip(NEXT) | instid1(VALU_DEP_1)
	v_mul_hi_u32 v3, v18, v3
	v_add_nc_u32_e32 v3, v18, v3
	s_delay_alu instid0(VALU_DEP_1) | instskip(NEXT) | instid1(VALU_DEP_1)
	v_mul_hi_u32 v3, v0, v3
	v_mul_lo_u32 v4, v3, s2
	v_add_nc_u32_e32 v5, 1, v3
	s_delay_alu instid0(VALU_DEP_2) | instskip(NEXT) | instid1(VALU_DEP_1)
	v_sub_nc_u32_e32 v4, v0, v4
	v_subrev_nc_u32_e32 v6, s2, v4
	v_cmp_le_u32_e32 vcc_lo, s2, v4
	s_delay_alu instid0(VALU_DEP_2) | instskip(NEXT) | instid1(VALU_DEP_1)
	v_dual_cndmask_b32 v4, v4, v6 :: v_dual_cndmask_b32 v3, v3, v5
	v_cmp_le_u32_e32 vcc_lo, s2, v4
	s_delay_alu instid0(VALU_DEP_2) | instskip(NEXT) | instid1(VALU_DEP_1)
	v_add_nc_u32_e32 v5, 1, v3
	v_cndmask_b32_e32 v8, v3, v5, vcc_lo
.LBB59_7:                               ;   in Loop: Header=BB59_3 Depth=1
	s_or_b32 exec_lo, exec_lo, s0
	s_waitcnt lgkmcnt(0)
	v_or_b32_e32 v3, s9, v9
                                        ; implicit-def: $vgpr6_vgpr7
	s_mov_b32 s0, exec_lo
	s_delay_alu instid0(VALU_DEP_1)
	v_cmpx_ne_u64_e32 0, v[2:3]
	s_xor_b32 s31, exec_lo, s0
	s_cbranch_execz .LBB59_9
; %bb.8:                                ;   in Loop: Header=BB59_3 Depth=1
	s_ashr_i32 s34, s9, 31
	s_delay_alu instid0(SALU_CYCLE_1) | instskip(SKIP_2) | instid1(SALU_CYCLE_1)
	s_add_u32 s36, s8, s34
	s_mov_b32 s35, s34
	s_addc_u32 s37, s9, s34
	s_xor_b64 s[36:37], s[36:37], s[34:35]
	s_delay_alu instid0(SALU_CYCLE_1) | instskip(SKIP_3) | instid1(VALU_DEP_1)
	v_cvt_f32_u32_e32 v3, s36
	v_cvt_f32_u32_e32 v4, s37
	s_sub_u32 s0, 0, s36
	s_subb_u32 s35, 0, s37
	v_fmac_f32_e32 v3, 0x4f800000, v4
	s_delay_alu instid0(VALU_DEP_1) | instskip(SKIP_2) | instid1(VALU_DEP_1)
	v_rcp_f32_e32 v3, v3
	s_waitcnt_depctr 0xfff
	v_mul_f32_e32 v3, 0x5f7ffffc, v3
	v_mul_f32_e32 v4, 0x2f800000, v3
	s_delay_alu instid0(VALU_DEP_1) | instskip(NEXT) | instid1(VALU_DEP_1)
	v_trunc_f32_e32 v4, v4
	v_fmac_f32_e32 v3, 0xcf800000, v4
	v_cvt_u32_f32_e32 v4, v4
	s_delay_alu instid0(VALU_DEP_2) | instskip(NEXT) | instid1(VALU_DEP_2)
	v_cvt_u32_f32_e32 v3, v3
	v_mul_lo_u32 v5, s0, v4
	s_delay_alu instid0(VALU_DEP_2) | instskip(SKIP_1) | instid1(VALU_DEP_2)
	v_mul_hi_u32 v6, s0, v3
	v_mul_lo_u32 v7, s35, v3
	v_add_nc_u32_e32 v5, v6, v5
	v_mul_lo_u32 v6, s0, v3
	s_delay_alu instid0(VALU_DEP_2) | instskip(NEXT) | instid1(VALU_DEP_2)
	v_add_nc_u32_e32 v5, v5, v7
	v_mul_hi_u32 v7, v3, v6
	s_delay_alu instid0(VALU_DEP_2)
	v_mul_lo_u32 v10, v3, v5
	v_mul_hi_u32 v11, v3, v5
	v_mul_hi_u32 v12, v4, v6
	v_mul_lo_u32 v6, v4, v6
	v_mul_hi_u32 v13, v4, v5
	v_mul_lo_u32 v5, v4, v5
	v_add_co_u32 v7, vcc_lo, v7, v10
	v_add_co_ci_u32_e32 v10, vcc_lo, 0, v11, vcc_lo
	s_delay_alu instid0(VALU_DEP_2) | instskip(NEXT) | instid1(VALU_DEP_2)
	v_add_co_u32 v6, vcc_lo, v7, v6
	v_add_co_ci_u32_e32 v6, vcc_lo, v10, v12, vcc_lo
	v_add_co_ci_u32_e32 v7, vcc_lo, 0, v13, vcc_lo
	v_ashrrev_i32_e32 v12, 31, v9
	s_delay_alu instid0(VALU_DEP_3) | instskip(NEXT) | instid1(VALU_DEP_3)
	v_add_co_u32 v5, vcc_lo, v6, v5
	v_add_co_ci_u32_e32 v6, vcc_lo, 0, v7, vcc_lo
	s_delay_alu instid0(VALU_DEP_2) | instskip(NEXT) | instid1(VALU_DEP_2)
	v_add_co_u32 v3, vcc_lo, v3, v5
	v_add_co_ci_u32_e32 v4, vcc_lo, v4, v6, vcc_lo
	s_delay_alu instid0(VALU_DEP_2) | instskip(SKIP_1) | instid1(VALU_DEP_3)
	v_mul_hi_u32 v5, s0, v3
	v_mul_lo_u32 v7, s35, v3
	v_mul_lo_u32 v6, s0, v4
	s_delay_alu instid0(VALU_DEP_1) | instskip(SKIP_1) | instid1(VALU_DEP_2)
	v_add_nc_u32_e32 v5, v5, v6
	v_mul_lo_u32 v6, s0, v3
	v_add_nc_u32_e32 v5, v5, v7
	s_delay_alu instid0(VALU_DEP_2) | instskip(NEXT) | instid1(VALU_DEP_2)
	v_mul_hi_u32 v7, v3, v6
	v_mul_lo_u32 v10, v3, v5
	v_mul_hi_u32 v11, v3, v5
	v_mul_hi_u32 v13, v4, v6
	v_mul_lo_u32 v6, v4, v6
	v_mul_hi_u32 v14, v4, v5
	v_mul_lo_u32 v5, v4, v5
	v_add_co_u32 v7, vcc_lo, v7, v10
	v_add_co_ci_u32_e32 v10, vcc_lo, 0, v11, vcc_lo
	s_delay_alu instid0(VALU_DEP_2) | instskip(NEXT) | instid1(VALU_DEP_2)
	v_add_co_u32 v6, vcc_lo, v7, v6
	v_add_co_ci_u32_e32 v6, vcc_lo, v10, v13, vcc_lo
	v_add_co_ci_u32_e32 v7, vcc_lo, 0, v14, vcc_lo
	v_add_co_u32 v10, vcc_lo, v8, v12
	v_add_co_ci_u32_e32 v11, vcc_lo, v9, v12, vcc_lo
	s_delay_alu instid0(VALU_DEP_4) | instskip(NEXT) | instid1(VALU_DEP_4)
	v_add_co_u32 v5, vcc_lo, v6, v5
	v_add_co_ci_u32_e32 v6, vcc_lo, 0, v7, vcc_lo
	s_delay_alu instid0(VALU_DEP_4) | instskip(NEXT) | instid1(VALU_DEP_3)
	v_xor_b32_e32 v7, v10, v12
	v_add_co_u32 v10, vcc_lo, v3, v5
	s_delay_alu instid0(VALU_DEP_3) | instskip(SKIP_1) | instid1(VALU_DEP_3)
	v_add_co_ci_u32_e32 v13, vcc_lo, v4, v6, vcc_lo
	v_xor_b32_e32 v14, v11, v12
	v_mul_hi_u32 v15, v7, v10
	s_delay_alu instid0(VALU_DEP_3) | instskip(NEXT) | instid1(VALU_DEP_3)
	v_mad_u64_u32 v[3:4], null, v7, v13, 0
	v_mad_u64_u32 v[5:6], null, v14, v10, 0
	;; [unrolled: 1-line block ×3, first 2 shown]
	s_delay_alu instid0(VALU_DEP_3) | instskip(NEXT) | instid1(VALU_DEP_4)
	v_add_co_u32 v3, vcc_lo, v15, v3
	v_add_co_ci_u32_e32 v4, vcc_lo, 0, v4, vcc_lo
	s_delay_alu instid0(VALU_DEP_2) | instskip(NEXT) | instid1(VALU_DEP_2)
	v_add_co_u32 v3, vcc_lo, v3, v5
	v_add_co_ci_u32_e32 v3, vcc_lo, v4, v6, vcc_lo
	v_add_co_ci_u32_e32 v4, vcc_lo, 0, v11, vcc_lo
	s_delay_alu instid0(VALU_DEP_2) | instskip(NEXT) | instid1(VALU_DEP_2)
	v_add_co_u32 v5, vcc_lo, v3, v10
	v_add_co_ci_u32_e32 v6, vcc_lo, 0, v4, vcc_lo
	s_delay_alu instid0(VALU_DEP_2) | instskip(SKIP_1) | instid1(VALU_DEP_3)
	v_mul_lo_u32 v10, s37, v5
	v_mad_u64_u32 v[3:4], null, s36, v5, 0
	v_mul_lo_u32 v11, s36, v6
	s_delay_alu instid0(VALU_DEP_2) | instskip(NEXT) | instid1(VALU_DEP_2)
	v_sub_co_u32 v3, vcc_lo, v7, v3
	v_add3_u32 v4, v4, v11, v10
	s_delay_alu instid0(VALU_DEP_1) | instskip(NEXT) | instid1(VALU_DEP_1)
	v_sub_nc_u32_e32 v10, v14, v4
	v_subrev_co_ci_u32_e64 v7, s0, s37, v10, vcc_lo
	v_add_co_u32 v10, s0, v5, 2
	s_delay_alu instid0(VALU_DEP_1) | instskip(SKIP_3) | instid1(VALU_DEP_3)
	v_add_co_ci_u32_e64 v11, s0, 0, v6, s0
	v_sub_co_u32 v13, s0, v3, s36
	v_sub_co_ci_u32_e32 v4, vcc_lo, v14, v4, vcc_lo
	v_subrev_co_ci_u32_e64 v7, s0, 0, v7, s0
	v_cmp_le_u32_e32 vcc_lo, s36, v13
	s_delay_alu instid0(VALU_DEP_3) | instskip(SKIP_1) | instid1(VALU_DEP_4)
	v_cmp_eq_u32_e64 s0, s37, v4
	v_cndmask_b32_e64 v13, 0, -1, vcc_lo
	v_cmp_le_u32_e32 vcc_lo, s37, v7
	v_cndmask_b32_e64 v14, 0, -1, vcc_lo
	v_cmp_le_u32_e32 vcc_lo, s36, v3
	v_cndmask_b32_e64 v3, 0, -1, vcc_lo
	v_cmp_le_u32_e32 vcc_lo, s37, v4
	v_cndmask_b32_e64 v15, 0, -1, vcc_lo
	v_cmp_eq_u32_e32 vcc_lo, s37, v7
	s_delay_alu instid0(VALU_DEP_2) | instskip(SKIP_3) | instid1(VALU_DEP_3)
	v_cndmask_b32_e64 v3, v15, v3, s0
	v_cndmask_b32_e32 v7, v14, v13, vcc_lo
	v_add_co_u32 v13, vcc_lo, v5, 1
	v_add_co_ci_u32_e32 v14, vcc_lo, 0, v6, vcc_lo
	v_cmp_ne_u32_e32 vcc_lo, 0, v7
	s_delay_alu instid0(VALU_DEP_2) | instskip(SKIP_2) | instid1(VALU_DEP_3)
	v_dual_cndmask_b32 v4, v14, v11 :: v_dual_cndmask_b32 v7, v13, v10
	v_cmp_ne_u32_e32 vcc_lo, 0, v3
	v_xor_b32_e32 v3, s34, v12
	v_dual_cndmask_b32 v5, v5, v7 :: v_dual_cndmask_b32 v4, v6, v4
	s_delay_alu instid0(VALU_DEP_1) | instskip(NEXT) | instid1(VALU_DEP_2)
	v_xor_b32_e32 v5, v5, v3
	v_xor_b32_e32 v4, v4, v3
	s_delay_alu instid0(VALU_DEP_2) | instskip(NEXT) | instid1(VALU_DEP_2)
	v_sub_co_u32 v6, vcc_lo, v5, v3
	v_sub_co_ci_u32_e32 v7, vcc_lo, v4, v3, vcc_lo
.LBB59_9:                               ;   in Loop: Header=BB59_3 Depth=1
	s_and_not1_saveexec_b32 s0, s31
	s_cbranch_execz .LBB59_11
; %bb.10:                               ;   in Loop: Header=BB59_3 Depth=1
	v_cvt_f32_u32_e32 v3, s8
	s_sub_i32 s31, 0, s8
	v_mov_b32_e32 v7, v2
	s_delay_alu instid0(VALU_DEP_2) | instskip(SKIP_2) | instid1(VALU_DEP_1)
	v_rcp_iflag_f32_e32 v3, v3
	s_waitcnt_depctr 0xfff
	v_mul_f32_e32 v3, 0x4f7ffffe, v3
	v_cvt_u32_f32_e32 v3, v3
	s_delay_alu instid0(VALU_DEP_1) | instskip(NEXT) | instid1(VALU_DEP_1)
	v_mul_lo_u32 v4, s31, v3
	v_mul_hi_u32 v4, v3, v4
	s_delay_alu instid0(VALU_DEP_1) | instskip(NEXT) | instid1(VALU_DEP_1)
	v_add_nc_u32_e32 v3, v3, v4
	v_mul_hi_u32 v3, v8, v3
	s_delay_alu instid0(VALU_DEP_1) | instskip(SKIP_1) | instid1(VALU_DEP_2)
	v_mul_lo_u32 v4, v3, s8
	v_add_nc_u32_e32 v5, 1, v3
	v_sub_nc_u32_e32 v4, v8, v4
	s_delay_alu instid0(VALU_DEP_1) | instskip(SKIP_1) | instid1(VALU_DEP_2)
	v_subrev_nc_u32_e32 v6, s8, v4
	v_cmp_le_u32_e32 vcc_lo, s8, v4
	v_dual_cndmask_b32 v4, v4, v6 :: v_dual_cndmask_b32 v3, v3, v5
	s_delay_alu instid0(VALU_DEP_1) | instskip(NEXT) | instid1(VALU_DEP_2)
	v_cmp_le_u32_e32 vcc_lo, s8, v4
	v_add_nc_u32_e32 v5, 1, v3
	s_delay_alu instid0(VALU_DEP_1)
	v_cndmask_b32_e32 v6, v3, v5, vcc_lo
.LBB59_11:                              ;   in Loop: Header=BB59_3 Depth=1
	s_or_b32 exec_lo, exec_lo, s0
	v_mul_lo_u32 v5, v9, s2
	v_mul_lo_u32 v12, v8, s3
	v_mad_u64_u32 v[3:4], null, v8, s2, 0
	v_mul_lo_u32 v13, v7, s8
	v_mul_lo_u32 v14, v6, s9
	v_mad_u64_u32 v[10:11], null, v6, s8, 0
	s_mov_b64 s[34:35], s[28:29]
	s_mov_b64 s[36:37], s[26:27]
	s_delay_alu instid0(VALU_DEP_4) | instskip(SKIP_2) | instid1(VALU_DEP_3)
	v_add3_u32 v5, v4, v12, v5
	v_sub_co_u32 v4, vcc_lo, v0, v3
	s_mov_b64 s[38:39], s[24:25]
	v_add3_u32 v3, v11, v14, v13
	s_delay_alu instid0(VALU_DEP_3) | instskip(NEXT) | instid1(VALU_DEP_3)
	v_sub_co_ci_u32_e32 v5, vcc_lo, v1, v5, vcc_lo
	v_mul_lo_u32 v11, s15, v4
	v_mul_lo_u32 v12, s19, v4
	v_mad_u64_u32 v[14:15], null, s18, v4, 0
	s_delay_alu instid0(VALU_DEP_4)
	v_mul_lo_u32 v13, s14, v5
	v_mul_lo_u32 v16, s18, v5
	v_mad_u64_u32 v[21:22], null, s14, v4, 0
	v_sub_co_u32 v19, vcc_lo, v8, v10
	v_sub_co_ci_u32_e32 v20, vcc_lo, v9, v3, vcc_lo
	s_and_b32 vcc_lo, exec_lo, s1
	s_delay_alu instid0(VALU_DEP_4) | instskip(NEXT) | instid1(VALU_DEP_4)
	v_add3_u32 v15, v15, v16, v12
	v_add3_u32 v22, v22, v13, v11
	v_mul_lo_u32 v3, s13, v19
	v_mul_lo_u32 v8, s12, v20
	;; [unrolled: 1-line block ×3, first 2 shown]
	v_mad_u64_u32 v[12:13], null, s16, v19, v[14:15]
	v_mul_lo_u32 v10, s17, v19
	v_mad_u64_u32 v[16:17], null, s12, v19, v[21:22]
	s_delay_alu instid0(VALU_DEP_2) | instskip(NEXT) | instid1(VALU_DEP_2)
	v_add3_u32 v13, v10, v13, v9
	v_add3_u32 v17, v3, v17, v8
	v_mov_b32_e32 v8, v12
	s_delay_alu instid0(VALU_DEP_3) | instskip(NEXT) | instid1(VALU_DEP_3)
	v_dual_mov_b32 v10, v16 :: v_dual_mov_b32 v9, v13
	v_mov_b32_e32 v11, v17
	s_cbranch_vccnz .LBB59_28
.LBB59_12:                              ;   in Loop: Header=BB59_3 Depth=1
	v_sub_co_u32 v6, vcc_lo, v4, v19
	v_sub_co_ci_u32_e32 v7, vcc_lo, v5, v20, vcc_lo
	s_delay_alu instid0(VALU_DEP_2) | instskip(NEXT) | instid1(VALU_DEP_2)
	v_add_co_u32 v8, vcc_lo, v6, 4
	v_add_co_ci_u32_e32 v9, vcc_lo, 0, v7, vcc_lo
	s_delay_alu instid0(VALU_DEP_1)
	v_cmp_le_i64_e32 vcc_lo, s[4:5], v[8:9]
	v_mov_b32_e32 v8, 0
	s_and_saveexec_b32 s0, vcc_lo
	s_cbranch_execz .LBB59_22
; %bb.13:                               ;   in Loop: Header=BB59_3 Depth=1
	v_mov_b32_e32 v3, 0
	s_mov_b32 s31, exec_lo
	v_cmpx_gt_i64_e64 s[10:11], v[4:5]
	s_cbranch_execz .LBB59_21
; %bb.14:                               ;   in Loop: Header=BB59_3 Depth=1
	v_add_co_u32 v8, vcc_lo, s20, v16
	v_add_co_ci_u32_e32 v9, vcc_lo, s21, v17, vcc_lo
	v_add_co_u32 v10, vcc_lo, v4, 1
	v_add_co_ci_u32_e32 v11, vcc_lo, 0, v5, vcc_lo
	global_load_u8 v3, v[8:9], off
	s_mov_b32 s34, exec_lo
	v_cmpx_gt_i64_e64 s[10:11], v[10:11]
	s_xor_b32 s34, exec_lo, s34
	s_cbranch_execz .LBB59_20
; %bb.15:                               ;   in Loop: Header=BB59_3 Depth=1
	v_add_co_u32 v8, vcc_lo, v8, s14
	v_add_co_ci_u32_e32 v9, vcc_lo, s15, v9, vcc_lo
	s_mov_b32 s35, exec_lo
	global_load_u8 v10, v[8:9], off
	s_waitcnt vmcnt(0)
	v_lshlrev_b16 v14, 8, v10
	v_add_co_u32 v10, vcc_lo, v4, 2
	v_add_co_ci_u32_e32 v11, vcc_lo, 0, v5, vcc_lo
	s_delay_alu instid0(VALU_DEP_3) | instskip(NEXT) | instid1(VALU_DEP_1)
	v_or_b32_e32 v3, v3, v14
	v_and_b32_e32 v3, 0xffff, v3
	s_delay_alu instid0(VALU_DEP_3)
	v_cmpx_gt_i64_e64 s[10:11], v[10:11]
	s_xor_b32 s35, exec_lo, s35
	s_cbranch_execz .LBB59_19
; %bb.16:                               ;   in Loop: Header=BB59_3 Depth=1
	v_add_co_u32 v8, vcc_lo, v8, s14
	v_add_co_ci_u32_e32 v9, vcc_lo, s15, v9, vcc_lo
	v_add_co_u32 v10, vcc_lo, v4, 3
	v_add_co_ci_u32_e32 v11, vcc_lo, 0, v5, vcc_lo
	global_load_u8 v14, v[8:9], off
	s_mov_b32 s36, exec_lo
	s_waitcnt vmcnt(0)
	v_lshl_or_b32 v3, v14, 16, v3
	v_cmpx_gt_i64_e64 s[10:11], v[10:11]
	s_xor_b32 s36, exec_lo, s36
	s_cbranch_execz .LBB59_18
; %bb.17:                               ;   in Loop: Header=BB59_3 Depth=1
	v_add_co_u32 v8, vcc_lo, v8, s14
	v_add_co_ci_u32_e32 v9, vcc_lo, s15, v9, vcc_lo
	global_load_u8 v8, v[8:9], off
	v_lshrrev_b32_e32 v9, 16, v3
	s_waitcnt vmcnt(0)
	v_lshlrev_b16 v8, 8, v8
	s_delay_alu instid0(VALU_DEP_1) | instskip(NEXT) | instid1(VALU_DEP_1)
	v_or_b32_e32 v8, v9, v8
	v_lshlrev_b32_e32 v8, 16, v8
	s_delay_alu instid0(VALU_DEP_1)
	v_and_or_b32 v3, 0xffff, v3, v8
.LBB59_18:                              ;   in Loop: Header=BB59_3 Depth=1
	s_or_b32 exec_lo, exec_lo, s36
.LBB59_19:                              ;   in Loop: Header=BB59_3 Depth=1
	s_delay_alu instid0(SALU_CYCLE_1)
	s_or_b32 exec_lo, exec_lo, s35
.LBB59_20:                              ;   in Loop: Header=BB59_3 Depth=1
	s_delay_alu instid0(SALU_CYCLE_1)
	s_or_b32 exec_lo, exec_lo, s34
.LBB59_21:                              ;   in Loop: Header=BB59_3 Depth=1
	s_delay_alu instid0(SALU_CYCLE_1)
	s_or_b32 exec_lo, exec_lo, s31
	v_add_co_u32 v8, vcc_lo, v6, 1
	v_add_co_ci_u32_e32 v9, vcc_lo, 0, v7, vcc_lo
	v_add_co_u32 v10, vcc_lo, v6, 3
	v_add_co_ci_u32_e32 v11, vcc_lo, 0, v7, vcc_lo
	;; [unrolled: 2-line block ×3, first 2 shown]
	v_cmp_le_i64_e32 vcc_lo, s[4:5], v[8:9]
	s_waitcnt vmcnt(0)
	v_lshrrev_b32_e32 v17, 8, v3
	v_lshrrev_b32_e32 v19, 24, v3
	;; [unrolled: 1-line block ×3, first 2 shown]
	s_delay_alu instid0(VALU_DEP_3) | instskip(SKIP_1) | instid1(VALU_DEP_4)
	v_cndmask_b32_e32 v8, 0, v17, vcc_lo
	v_cmp_le_i64_e32 vcc_lo, s[4:5], v[10:11]
	v_cndmask_b32_e32 v9, 0, v19, vcc_lo
	v_cmp_le_i64_e32 vcc_lo, s[4:5], v[14:15]
	s_delay_alu instid0(VALU_DEP_4) | instskip(SKIP_4) | instid1(VALU_DEP_4)
	v_lshlrev_b16 v8, 8, v8
	v_cndmask_b32_e32 v10, 0, v16, vcc_lo
	v_cmp_le_i64_e32 vcc_lo, s[4:5], v[6:7]
	v_lshlrev_b16 v6, 8, v9
	v_cndmask_b32_e32 v3, 0, v3, vcc_lo
	v_and_b32_e32 v7, 0xff, v10
	s_delay_alu instid0(VALU_DEP_2) | instskip(NEXT) | instid1(VALU_DEP_2)
	v_and_b32_e32 v3, 0xff, v3
	v_or_b32_e32 v6, v7, v6
	s_delay_alu instid0(VALU_DEP_2) | instskip(NEXT) | instid1(VALU_DEP_2)
	v_or_b32_e32 v3, v3, v8
	v_lshlrev_b32_e32 v6, 16, v6
	s_delay_alu instid0(VALU_DEP_2) | instskip(NEXT) | instid1(VALU_DEP_1)
	v_and_b32_e32 v3, 0xffff, v3
	v_or_b32_e32 v8, v3, v6
.LBB59_22:                              ;   in Loop: Header=BB59_3 Depth=1
	s_or_b32 exec_lo, exec_lo, s0
	s_delay_alu instid0(SALU_CYCLE_1)
	s_mov_b32 s0, exec_lo
	v_cmpx_gt_i64_e64 s[10:11], v[4:5]
	s_cbranch_execz .LBB59_2
; %bb.23:                               ;   in Loop: Header=BB59_3 Depth=1
	v_add_co_u32 v9, vcc_lo, v4, 1
	v_add_co_ci_u32_e32 v10, vcc_lo, 0, v5, vcc_lo
	v_add_co_u32 v6, vcc_lo, s22, v12
	v_add_co_ci_u32_e32 v7, vcc_lo, s23, v13, vcc_lo
	s_mov_b32 s31, exec_lo
	global_store_b8 v[6:7], v8, off
	v_cmpx_gt_i64_e64 s[10:11], v[9:10]
	s_xor_b32 s31, exec_lo, s31
	s_cbranch_execz .LBB59_2
; %bb.24:                               ;   in Loop: Header=BB59_3 Depth=1
	v_add_co_u32 v9, vcc_lo, v4, 2
	v_add_co_ci_u32_e32 v10, vcc_lo, 0, v5, vcc_lo
	v_add_co_u32 v6, vcc_lo, v6, s18
	v_lshrrev_b32_e32 v3, 8, v8
	v_add_co_ci_u32_e32 v7, vcc_lo, s19, v7, vcc_lo
	s_mov_b32 s31, exec_lo
	global_store_b8 v[6:7], v3, off
	v_cmpx_gt_i64_e64 s[10:11], v[9:10]
	s_xor_b32 s31, exec_lo, s31
	s_cbranch_execz .LBB59_2
; %bb.25:                               ;   in Loop: Header=BB59_3 Depth=1
	v_add_co_u32 v9, vcc_lo, v4, 3
	v_add_co_ci_u32_e32 v10, vcc_lo, 0, v5, vcc_lo
	v_add_co_u32 v3, vcc_lo, v6, s18
	v_add_co_ci_u32_e32 v4, vcc_lo, s19, v7, vcc_lo
	s_mov_b32 s31, exec_lo
	global_store_d16_hi_b8 v[3:4], v8, off
	v_cmpx_gt_i64_e64 s[10:11], v[9:10]
	s_xor_b32 s31, exec_lo, s31
	s_cbranch_execz .LBB59_2
; %bb.26:                               ;   in Loop: Header=BB59_3 Depth=1
	v_add_co_u32 v3, vcc_lo, v3, s18
	v_lshrrev_b32_e32 v5, 24, v8
	v_add_co_ci_u32_e32 v4, vcc_lo, s19, v4, vcc_lo
	global_store_b8 v[3:4], v5, off
	s_branch .LBB59_2
.LBB59_27:                              ;   in Loop: Header=BB59_28 Depth=2
	s_or_b32 exec_lo, exec_lo, s0
	s_delay_alu instid0(VALU_DEP_1) | instskip(NEXT) | instid1(VALU_DEP_2)
	v_mul_lo_u32 v3, v15, s40
	v_mul_lo_u32 v16, v14, s41
	s_load_b64 s[42:43], s[36:37], 0xc8
	v_mad_u64_u32 v[12:13], null, v14, s40, 0
	s_load_b64 s[40:41], s[38:39], 0x0
	s_add_u32 s38, s38, -8
	s_addc_u32 s39, s39, -1
	s_add_u32 s36, s36, -8
	s_addc_u32 s37, s37, -1
	s_add_u32 s34, s34, -1
	s_delay_alu instid0(VALU_DEP_1) | instskip(SKIP_2) | instid1(VALU_DEP_2)
	v_add3_u32 v3, v13, v16, v3
	v_sub_co_u32 v6, vcc_lo, v6, v12
	s_addc_u32 s35, s35, -1
	v_sub_co_ci_u32_e32 v3, vcc_lo, v7, v3, vcc_lo
	v_cmp_lt_i64_e64 s0, s[34:35], 1
	s_waitcnt lgkmcnt(0)
	s_delay_alu instid0(VALU_DEP_2)
	v_mul_lo_u32 v7, s42, v3
	v_mul_lo_u32 v21, s43, v6
	v_mad_u64_u32 v[16:17], null, s42, v6, v[10:11]
	v_mul_lo_u32 v3, s40, v3
	v_mul_lo_u32 v10, s41, v6
	v_mad_u64_u32 v[12:13], null, s40, v6, v[8:9]
	s_and_b32 vcc_lo, exec_lo, s0
	s_delay_alu instid0(VALU_DEP_4) | instskip(SKIP_1) | instid1(VALU_DEP_3)
	v_add3_u32 v17, v21, v17, v7
	v_dual_mov_b32 v6, v14 :: v_dual_mov_b32 v7, v15
	v_add3_u32 v13, v10, v13, v3
	s_delay_alu instid0(VALU_DEP_4) | instskip(NEXT) | instid1(VALU_DEP_4)
	v_mov_b32_e32 v8, v12
	v_dual_mov_b32 v10, v16 :: v_dual_mov_b32 v11, v17
	s_delay_alu instid0(VALU_DEP_3)
	v_mov_b32_e32 v9, v13
	s_cbranch_vccnz .LBB59_12
.LBB59_28:                              ;   Parent Loop BB59_3 Depth=1
                                        ; =>  This Inner Loop Header: Depth=2
	s_load_b64 s[40:41], s[36:37], 0x0
                                        ; implicit-def: $vgpr14_vgpr15
	s_mov_b32 s0, exec_lo
	s_waitcnt lgkmcnt(0)
	v_or_b32_e32 v3, s41, v7
	s_delay_alu instid0(VALU_DEP_1)
	v_cmpx_ne_u64_e32 0, v[2:3]
	s_xor_b32 s31, exec_lo, s0
	s_cbranch_execz .LBB59_30
; %bb.29:                               ;   in Loop: Header=BB59_28 Depth=2
	s_ashr_i32 s42, s41, 31
	s_delay_alu instid0(SALU_CYCLE_1) | instskip(SKIP_2) | instid1(SALU_CYCLE_1)
	s_add_u32 s44, s40, s42
	s_mov_b32 s43, s42
	s_addc_u32 s45, s41, s42
	s_xor_b64 s[44:45], s[44:45], s[42:43]
	s_delay_alu instid0(SALU_CYCLE_1) | instskip(SKIP_3) | instid1(VALU_DEP_1)
	v_cvt_f32_u32_e32 v3, s44
	v_cvt_f32_u32_e32 v12, s45
	s_sub_u32 s0, 0, s44
	s_subb_u32 s43, 0, s45
	v_fmac_f32_e32 v3, 0x4f800000, v12
	s_delay_alu instid0(VALU_DEP_1) | instskip(SKIP_2) | instid1(VALU_DEP_1)
	v_rcp_f32_e32 v3, v3
	s_waitcnt_depctr 0xfff
	v_mul_f32_e32 v3, 0x5f7ffffc, v3
	v_mul_f32_e32 v12, 0x2f800000, v3
	s_delay_alu instid0(VALU_DEP_1) | instskip(NEXT) | instid1(VALU_DEP_1)
	v_trunc_f32_e32 v12, v12
	v_fmac_f32_e32 v3, 0xcf800000, v12
	v_cvt_u32_f32_e32 v12, v12
	s_delay_alu instid0(VALU_DEP_2) | instskip(NEXT) | instid1(VALU_DEP_2)
	v_cvt_u32_f32_e32 v3, v3
	v_mul_lo_u32 v13, s0, v12
	s_delay_alu instid0(VALU_DEP_2) | instskip(SKIP_1) | instid1(VALU_DEP_2)
	v_mul_hi_u32 v14, s0, v3
	v_mul_lo_u32 v15, s43, v3
	v_add_nc_u32_e32 v13, v14, v13
	v_mul_lo_u32 v14, s0, v3
	s_delay_alu instid0(VALU_DEP_2) | instskip(NEXT) | instid1(VALU_DEP_2)
	v_add_nc_u32_e32 v13, v13, v15
	v_mul_hi_u32 v15, v3, v14
	s_delay_alu instid0(VALU_DEP_2)
	v_mul_lo_u32 v16, v3, v13
	v_mul_hi_u32 v17, v3, v13
	v_mul_hi_u32 v21, v12, v14
	v_mul_lo_u32 v14, v12, v14
	v_mul_hi_u32 v22, v12, v13
	v_mul_lo_u32 v13, v12, v13
	v_add_co_u32 v15, vcc_lo, v15, v16
	v_add_co_ci_u32_e32 v16, vcc_lo, 0, v17, vcc_lo
	s_delay_alu instid0(VALU_DEP_2) | instskip(NEXT) | instid1(VALU_DEP_2)
	v_add_co_u32 v14, vcc_lo, v15, v14
	v_add_co_ci_u32_e32 v14, vcc_lo, v16, v21, vcc_lo
	v_add_co_ci_u32_e32 v15, vcc_lo, 0, v22, vcc_lo
	v_ashrrev_i32_e32 v21, 31, v7
	s_delay_alu instid0(VALU_DEP_3) | instskip(NEXT) | instid1(VALU_DEP_3)
	v_add_co_u32 v13, vcc_lo, v14, v13
	v_add_co_ci_u32_e32 v14, vcc_lo, 0, v15, vcc_lo
	s_delay_alu instid0(VALU_DEP_2) | instskip(NEXT) | instid1(VALU_DEP_2)
	v_add_co_u32 v3, vcc_lo, v3, v13
	v_add_co_ci_u32_e32 v12, vcc_lo, v12, v14, vcc_lo
	s_delay_alu instid0(VALU_DEP_2) | instskip(SKIP_1) | instid1(VALU_DEP_3)
	v_mul_hi_u32 v13, s0, v3
	v_mul_lo_u32 v15, s43, v3
	v_mul_lo_u32 v14, s0, v12
	s_delay_alu instid0(VALU_DEP_1) | instskip(SKIP_1) | instid1(VALU_DEP_2)
	v_add_nc_u32_e32 v13, v13, v14
	v_mul_lo_u32 v14, s0, v3
	v_add_nc_u32_e32 v13, v13, v15
	s_delay_alu instid0(VALU_DEP_2) | instskip(NEXT) | instid1(VALU_DEP_2)
	v_mul_hi_u32 v15, v3, v14
	v_mul_lo_u32 v16, v3, v13
	v_mul_hi_u32 v17, v3, v13
	v_mul_hi_u32 v22, v12, v14
	v_mul_lo_u32 v14, v12, v14
	v_mul_hi_u32 v23, v12, v13
	v_mul_lo_u32 v13, v12, v13
	v_add_co_u32 v15, vcc_lo, v15, v16
	v_add_co_ci_u32_e32 v16, vcc_lo, 0, v17, vcc_lo
	s_delay_alu instid0(VALU_DEP_2) | instskip(NEXT) | instid1(VALU_DEP_2)
	v_add_co_u32 v14, vcc_lo, v15, v14
	v_add_co_ci_u32_e32 v14, vcc_lo, v16, v22, vcc_lo
	v_add_co_ci_u32_e32 v15, vcc_lo, 0, v23, vcc_lo
	v_add_co_u32 v16, vcc_lo, v6, v21
	v_add_co_ci_u32_e32 v17, vcc_lo, v7, v21, vcc_lo
	s_delay_alu instid0(VALU_DEP_4) | instskip(NEXT) | instid1(VALU_DEP_4)
	v_add_co_u32 v13, vcc_lo, v14, v13
	v_add_co_ci_u32_e32 v14, vcc_lo, 0, v15, vcc_lo
	s_delay_alu instid0(VALU_DEP_4) | instskip(NEXT) | instid1(VALU_DEP_3)
	v_xor_b32_e32 v22, v16, v21
	v_add_co_u32 v3, vcc_lo, v3, v13
	s_delay_alu instid0(VALU_DEP_3) | instskip(SKIP_1) | instid1(VALU_DEP_3)
	v_add_co_ci_u32_e32 v23, vcc_lo, v12, v14, vcc_lo
	v_xor_b32_e32 v24, v17, v21
	v_mul_hi_u32 v25, v22, v3
	s_delay_alu instid0(VALU_DEP_3) | instskip(NEXT) | instid1(VALU_DEP_3)
	v_mad_u64_u32 v[12:13], null, v22, v23, 0
	v_mad_u64_u32 v[14:15], null, v24, v3, 0
	;; [unrolled: 1-line block ×3, first 2 shown]
	s_delay_alu instid0(VALU_DEP_3) | instskip(NEXT) | instid1(VALU_DEP_4)
	v_add_co_u32 v3, vcc_lo, v25, v12
	v_add_co_ci_u32_e32 v12, vcc_lo, 0, v13, vcc_lo
	s_delay_alu instid0(VALU_DEP_2) | instskip(NEXT) | instid1(VALU_DEP_2)
	v_add_co_u32 v3, vcc_lo, v3, v14
	v_add_co_ci_u32_e32 v3, vcc_lo, v12, v15, vcc_lo
	v_add_co_ci_u32_e32 v12, vcc_lo, 0, v17, vcc_lo
	s_delay_alu instid0(VALU_DEP_2) | instskip(NEXT) | instid1(VALU_DEP_2)
	v_add_co_u32 v3, vcc_lo, v3, v16
	v_add_co_ci_u32_e32 v14, vcc_lo, 0, v12, vcc_lo
	s_delay_alu instid0(VALU_DEP_2) | instskip(SKIP_1) | instid1(VALU_DEP_3)
	v_mul_lo_u32 v15, s45, v3
	v_mad_u64_u32 v[12:13], null, s44, v3, 0
	v_mul_lo_u32 v16, s44, v14
	s_delay_alu instid0(VALU_DEP_2) | instskip(NEXT) | instid1(VALU_DEP_2)
	v_sub_co_u32 v12, vcc_lo, v22, v12
	v_add3_u32 v13, v13, v16, v15
	s_delay_alu instid0(VALU_DEP_1) | instskip(NEXT) | instid1(VALU_DEP_1)
	v_sub_nc_u32_e32 v15, v24, v13
	v_subrev_co_ci_u32_e64 v15, s0, s45, v15, vcc_lo
	v_add_co_u32 v16, s0, v3, 2
	s_delay_alu instid0(VALU_DEP_1) | instskip(SKIP_3) | instid1(VALU_DEP_3)
	v_add_co_ci_u32_e64 v17, s0, 0, v14, s0
	v_sub_co_u32 v22, s0, v12, s44
	v_sub_co_ci_u32_e32 v13, vcc_lo, v24, v13, vcc_lo
	v_subrev_co_ci_u32_e64 v15, s0, 0, v15, s0
	v_cmp_le_u32_e32 vcc_lo, s44, v22
	s_delay_alu instid0(VALU_DEP_3) | instskip(SKIP_1) | instid1(VALU_DEP_4)
	v_cmp_eq_u32_e64 s0, s45, v13
	v_cndmask_b32_e64 v22, 0, -1, vcc_lo
	v_cmp_le_u32_e32 vcc_lo, s45, v15
	v_cndmask_b32_e64 v23, 0, -1, vcc_lo
	v_cmp_le_u32_e32 vcc_lo, s44, v12
	;; [unrolled: 2-line block ×3, first 2 shown]
	v_cndmask_b32_e64 v24, 0, -1, vcc_lo
	v_cmp_eq_u32_e32 vcc_lo, s45, v15
	s_delay_alu instid0(VALU_DEP_2) | instskip(SKIP_3) | instid1(VALU_DEP_3)
	v_cndmask_b32_e64 v12, v24, v12, s0
	v_cndmask_b32_e32 v15, v23, v22, vcc_lo
	v_add_co_u32 v22, vcc_lo, v3, 1
	v_add_co_ci_u32_e32 v23, vcc_lo, 0, v14, vcc_lo
	v_cmp_ne_u32_e32 vcc_lo, 0, v15
	s_delay_alu instid0(VALU_DEP_2) | instskip(NEXT) | instid1(VALU_DEP_4)
	v_cndmask_b32_e32 v13, v23, v17, vcc_lo
	v_cndmask_b32_e32 v15, v22, v16, vcc_lo
	v_cmp_ne_u32_e32 vcc_lo, 0, v12
	v_xor_b32_e32 v12, s42, v21
	s_delay_alu instid0(VALU_DEP_3) | instskip(SKIP_1) | instid1(VALU_DEP_2)
	v_cndmask_b32_e32 v3, v3, v15, vcc_lo
	v_cndmask_b32_e32 v13, v14, v13, vcc_lo
	v_xor_b32_e32 v3, v3, v12
	s_delay_alu instid0(VALU_DEP_2) | instskip(NEXT) | instid1(VALU_DEP_2)
	v_xor_b32_e32 v13, v13, v12
	v_sub_co_u32 v14, vcc_lo, v3, v12
	s_delay_alu instid0(VALU_DEP_2)
	v_sub_co_ci_u32_e32 v15, vcc_lo, v13, v12, vcc_lo
.LBB59_30:                              ;   in Loop: Header=BB59_28 Depth=2
	s_and_not1_saveexec_b32 s0, s31
	s_cbranch_execz .LBB59_27
; %bb.31:                               ;   in Loop: Header=BB59_28 Depth=2
	v_cvt_f32_u32_e32 v3, s40
	s_sub_i32 s31, 0, s40
	v_mov_b32_e32 v15, v2
	s_delay_alu instid0(VALU_DEP_2) | instskip(SKIP_2) | instid1(VALU_DEP_1)
	v_rcp_iflag_f32_e32 v3, v3
	s_waitcnt_depctr 0xfff
	v_mul_f32_e32 v3, 0x4f7ffffe, v3
	v_cvt_u32_f32_e32 v3, v3
	s_delay_alu instid0(VALU_DEP_1) | instskip(NEXT) | instid1(VALU_DEP_1)
	v_mul_lo_u32 v12, s31, v3
	v_mul_hi_u32 v12, v3, v12
	s_delay_alu instid0(VALU_DEP_1) | instskip(NEXT) | instid1(VALU_DEP_1)
	v_add_nc_u32_e32 v3, v3, v12
	v_mul_hi_u32 v3, v6, v3
	s_delay_alu instid0(VALU_DEP_1) | instskip(SKIP_1) | instid1(VALU_DEP_2)
	v_mul_lo_u32 v12, v3, s40
	v_add_nc_u32_e32 v13, 1, v3
	v_sub_nc_u32_e32 v12, v6, v12
	s_delay_alu instid0(VALU_DEP_1) | instskip(SKIP_1) | instid1(VALU_DEP_2)
	v_subrev_nc_u32_e32 v14, s40, v12
	v_cmp_le_u32_e32 vcc_lo, s40, v12
	v_dual_cndmask_b32 v12, v12, v14 :: v_dual_cndmask_b32 v3, v3, v13
	s_delay_alu instid0(VALU_DEP_1) | instskip(NEXT) | instid1(VALU_DEP_2)
	v_cmp_le_u32_e32 vcc_lo, s40, v12
	v_add_nc_u32_e32 v13, 1, v3
	s_delay_alu instid0(VALU_DEP_1)
	v_cndmask_b32_e32 v14, v3, v13, vcc_lo
	s_branch .LBB59_27
.LBB59_32:
	s_nop 0
	s_sendmsg sendmsg(MSG_DEALLOC_VGPRS)
	s_endpgm
	.section	.rodata,"a",@progbits
	.p2align	6, 0x0
	.amdhsa_kernel _ZN2at6native16triu_tril_kernelIalLb1ELi4ELb0EEEvNS_4cuda6detail10TensorInfoIT_T0_EENS4_IKS5_S6_EEllS6_
		.amdhsa_group_segment_fixed_size 0
		.amdhsa_private_segment_fixed_size 0
		.amdhsa_kernarg_size 1112
		.amdhsa_user_sgpr_count 15
		.amdhsa_user_sgpr_dispatch_ptr 0
		.amdhsa_user_sgpr_queue_ptr 0
		.amdhsa_user_sgpr_kernarg_segment_ptr 1
		.amdhsa_user_sgpr_dispatch_id 0
		.amdhsa_user_sgpr_private_segment_size 0
		.amdhsa_wavefront_size32 1
		.amdhsa_uses_dynamic_stack 0
		.amdhsa_enable_private_segment 0
		.amdhsa_system_sgpr_workgroup_id_x 1
		.amdhsa_system_sgpr_workgroup_id_y 0
		.amdhsa_system_sgpr_workgroup_id_z 0
		.amdhsa_system_sgpr_workgroup_info 0
		.amdhsa_system_vgpr_workitem_id 0
		.amdhsa_next_free_vgpr 26
		.amdhsa_next_free_sgpr 47
		.amdhsa_reserve_vcc 1
		.amdhsa_float_round_mode_32 0
		.amdhsa_float_round_mode_16_64 0
		.amdhsa_float_denorm_mode_32 3
		.amdhsa_float_denorm_mode_16_64 3
		.amdhsa_dx10_clamp 1
		.amdhsa_ieee_mode 1
		.amdhsa_fp16_overflow 0
		.amdhsa_workgroup_processor_mode 1
		.amdhsa_memory_ordered 1
		.amdhsa_forward_progress 0
		.amdhsa_shared_vgpr_count 0
		.amdhsa_exception_fp_ieee_invalid_op 0
		.amdhsa_exception_fp_denorm_src 0
		.amdhsa_exception_fp_ieee_div_zero 0
		.amdhsa_exception_fp_ieee_overflow 0
		.amdhsa_exception_fp_ieee_underflow 0
		.amdhsa_exception_fp_ieee_inexact 0
		.amdhsa_exception_int_div_zero 0
	.end_amdhsa_kernel
	.section	.text._ZN2at6native16triu_tril_kernelIalLb1ELi4ELb0EEEvNS_4cuda6detail10TensorInfoIT_T0_EENS4_IKS5_S6_EEllS6_,"axG",@progbits,_ZN2at6native16triu_tril_kernelIalLb1ELi4ELb0EEEvNS_4cuda6detail10TensorInfoIT_T0_EENS4_IKS5_S6_EEllS6_,comdat
.Lfunc_end59:
	.size	_ZN2at6native16triu_tril_kernelIalLb1ELi4ELb0EEEvNS_4cuda6detail10TensorInfoIT_T0_EENS4_IKS5_S6_EEllS6_, .Lfunc_end59-_ZN2at6native16triu_tril_kernelIalLb1ELi4ELb0EEEvNS_4cuda6detail10TensorInfoIT_T0_EENS4_IKS5_S6_EEllS6_
                                        ; -- End function
	.section	.AMDGPU.csdata,"",@progbits
; Kernel info:
; codeLenInByte = 4568
; NumSgprs: 49
; NumVgprs: 26
; ScratchSize: 0
; MemoryBound: 0
; FloatMode: 240
; IeeeMode: 1
; LDSByteSize: 0 bytes/workgroup (compile time only)
; SGPRBlocks: 6
; VGPRBlocks: 3
; NumSGPRsForWavesPerEU: 49
; NumVGPRsForWavesPerEU: 26
; Occupancy: 16
; WaveLimiterHint : 0
; COMPUTE_PGM_RSRC2:SCRATCH_EN: 0
; COMPUTE_PGM_RSRC2:USER_SGPR: 15
; COMPUTE_PGM_RSRC2:TRAP_HANDLER: 0
; COMPUTE_PGM_RSRC2:TGID_X_EN: 1
; COMPUTE_PGM_RSRC2:TGID_Y_EN: 0
; COMPUTE_PGM_RSRC2:TGID_Z_EN: 0
; COMPUTE_PGM_RSRC2:TIDIG_COMP_CNT: 0
	.section	.text._ZN2at6native16triu_tril_kernelIiiLb1ELi2ELb1EEEvNS_4cuda6detail10TensorInfoIT_T0_EENS4_IKS5_S6_EEllS6_,"axG",@progbits,_ZN2at6native16triu_tril_kernelIiiLb1ELi2ELb1EEEvNS_4cuda6detail10TensorInfoIT_T0_EENS4_IKS5_S6_EEllS6_,comdat
	.protected	_ZN2at6native16triu_tril_kernelIiiLb1ELi2ELb1EEEvNS_4cuda6detail10TensorInfoIT_T0_EENS4_IKS5_S6_EEllS6_ ; -- Begin function _ZN2at6native16triu_tril_kernelIiiLb1ELi2ELb1EEEvNS_4cuda6detail10TensorInfoIT_T0_EENS4_IKS5_S6_EEllS6_
	.globl	_ZN2at6native16triu_tril_kernelIiiLb1ELi2ELb1EEEvNS_4cuda6detail10TensorInfoIT_T0_EENS4_IKS5_S6_EEllS6_
	.p2align	8
	.type	_ZN2at6native16triu_tril_kernelIiiLb1ELi2ELb1EEEvNS_4cuda6detail10TensorInfoIT_T0_EENS4_IKS5_S6_EEllS6_,@function
_ZN2at6native16triu_tril_kernelIiiLb1ELi2ELb1EEEvNS_4cuda6detail10TensorInfoIT_T0_EENS4_IKS5_S6_EEllS6_: ; @_ZN2at6native16triu_tril_kernelIiiLb1ELi2ELb1EEEvNS_4cuda6detail10TensorInfoIT_T0_EENS4_IKS5_S6_EEllS6_
; %bb.0:
	s_clause 0x1
	s_load_b32 s2, s[0:1], 0x1d4
	s_load_b128 s[4:7], s[0:1], 0x1b0
	v_mov_b32_e32 v2, 0
	s_add_u32 s8, s0, 0x1c8
	s_addc_u32 s9, s1, 0
	s_delay_alu instid0(VALU_DEP_1) | instskip(SKIP_3) | instid1(VALU_DEP_1)
	v_mov_b32_e32 v1, v2
	s_waitcnt lgkmcnt(0)
	s_and_b32 s14, s2, 0xffff
	s_mov_b32 s2, exec_lo
	v_mad_u64_u32 v[3:4], null, s14, s15, v[0:1]
	s_delay_alu instid0(VALU_DEP_1) | instskip(NEXT) | instid1(VALU_DEP_1)
	v_lshlrev_b64 v[0:1], 1, v[3:4]
	v_cmpx_gt_i64_e64 s[6:7], v[0:1]
	s_cbranch_execz .LBB60_62
; %bb.1:
	s_clause 0x2
	s_load_b32 s24, s[0:1], 0x1c0
	s_load_b32 s16, s[0:1], 0x1a8
	s_load_b64 s[2:3], s[0:1], 0x0
	s_load_b32 s19, s[8:9], 0x0
	s_mov_b32 s38, 0
	s_waitcnt lgkmcnt(0)
	s_ashr_i32 s25, s24, 31
	s_ashr_i32 s17, s16, 31
	s_add_u32 s26, s0, 0xe0
	s_addc_u32 s27, s1, 0
	s_lshl_b64 s[10:11], s[16:17], 2
	v_cvt_f32_u32_e32 v3, s24
	s_add_u32 s15, s10, -8
	s_addc_u32 s18, s11, -1
	s_add_u32 s12, s26, s15
	s_addc_u32 s13, s27, s18
	v_rcp_iflag_f32_e32 v3, v3
	s_load_b32 s28, s[12:13], 0x0
	s_mul_i32 s19, s19, s14
	v_cmp_gt_i64_e64 s37, s[16:17], 2
	s_waitcnt_depctr 0xfff
	v_mul_f32_e32 v3, 0x4f7ffffe, v3
	s_delay_alu instid0(VALU_DEP_1)
	v_cvt_u32_f32_e32 v3, v3
	s_waitcnt lgkmcnt(0)
	s_ashr_i32 s29, s28, 31
	s_add_u32 s12, s10, -4
	s_addc_u32 s13, s11, -1
	s_add_u32 s30, s0, 0x6c
	s_addc_u32 s1, s1, 0
	s_add_u32 s8, s30, s12
	s_addc_u32 s9, s1, s13
	;; [unrolled: 2-line block ×3, first 2 shown]
	s_add_i32 s31, s16, -3
	s_add_u32 s12, s26, s12
	s_addc_u32 s13, s27, s13
	s_add_i32 s0, s16, 6
	s_lshl_b32 s34, s19, 1
	s_and_b32 s33, s0, 7
	s_mov_b32 s15, 0
	s_cmp_lg_u32 s33, 0
	s_cselect_b32 s35, -1, 0
	s_cmp_gt_u32 s31, 6
	s_cselect_b32 s36, -1, 0
	s_sub_i32 s0, 0, s24
	s_delay_alu instid0(SALU_CYCLE_1) | instskip(NEXT) | instid1(VALU_DEP_1)
	v_mul_lo_u32 v4, s0, v3
	v_mul_hi_u32 v4, v3, v4
	s_delay_alu instid0(VALU_DEP_1)
	v_add_nc_u32_e32 v24, v3, v4
	s_branch .LBB60_3
.LBB60_2:                               ;   in Loop: Header=BB60_3 Depth=1
	s_or_b32 exec_lo, exec_lo, s39
	v_add_co_u32 v0, vcc_lo, v0, s34
	v_add_co_ci_u32_e32 v1, vcc_lo, 0, v1, vcc_lo
	s_delay_alu instid0(VALU_DEP_1) | instskip(SKIP_1) | instid1(SALU_CYCLE_1)
	v_cmp_le_i64_e32 vcc_lo, s[6:7], v[0:1]
	s_or_b32 s38, vcc_lo, s38
	s_and_not1_b32 exec_lo, exec_lo, s38
	s_cbranch_execz .LBB60_62
.LBB60_3:                               ; =>This Loop Header: Depth=1
                                        ;     Child Loop BB60_15 Depth 2
                                        ;     Child Loop BB60_24 Depth 2
	v_or_b32_e32 v3, s25, v1
                                        ; implicit-def: $vgpr4_vgpr5
	s_mov_b32 s0, exec_lo
	s_delay_alu instid0(VALU_DEP_1)
	v_cmpx_ne_u64_e32 0, v[2:3]
	s_xor_b32 s14, exec_lo, s0
	s_cbranch_execz .LBB60_5
; %bb.4:                                ;   in Loop: Header=BB60_3 Depth=1
	s_add_u32 s18, s24, s25
	s_mov_b32 s16, s25
	s_mov_b32 s17, s25
	s_addc_u32 s19, s25, s25
	s_delay_alu instid0(SALU_CYCLE_1) | instskip(NEXT) | instid1(SALU_CYCLE_1)
	s_xor_b64 s[18:19], s[18:19], s[16:17]
	v_cvt_f32_u32_e32 v3, s18
	v_cvt_f32_u32_e32 v4, s19
	s_sub_u32 s0, 0, s18
	s_subb_u32 s20, 0, s19
	s_delay_alu instid0(VALU_DEP_1) | instskip(NEXT) | instid1(VALU_DEP_1)
	v_fmac_f32_e32 v3, 0x4f800000, v4
	v_rcp_f32_e32 v3, v3
	s_waitcnt_depctr 0xfff
	v_mul_f32_e32 v3, 0x5f7ffffc, v3
	s_delay_alu instid0(VALU_DEP_1) | instskip(NEXT) | instid1(VALU_DEP_1)
	v_mul_f32_e32 v4, 0x2f800000, v3
	v_trunc_f32_e32 v4, v4
	s_delay_alu instid0(VALU_DEP_1) | instskip(SKIP_1) | instid1(VALU_DEP_2)
	v_fmac_f32_e32 v3, 0xcf800000, v4
	v_cvt_u32_f32_e32 v4, v4
	v_cvt_u32_f32_e32 v3, v3
	s_delay_alu instid0(VALU_DEP_2) | instskip(NEXT) | instid1(VALU_DEP_2)
	v_mul_lo_u32 v5, s0, v4
	v_mul_hi_u32 v6, s0, v3
	v_mul_lo_u32 v7, s20, v3
	s_delay_alu instid0(VALU_DEP_2) | instskip(SKIP_1) | instid1(VALU_DEP_2)
	v_add_nc_u32_e32 v5, v6, v5
	v_mul_lo_u32 v6, s0, v3
	v_add_nc_u32_e32 v5, v5, v7
	s_delay_alu instid0(VALU_DEP_2) | instskip(NEXT) | instid1(VALU_DEP_2)
	v_mul_hi_u32 v7, v3, v6
	v_mul_lo_u32 v8, v3, v5
	v_mul_hi_u32 v9, v3, v5
	v_mul_hi_u32 v10, v4, v6
	v_mul_lo_u32 v6, v4, v6
	v_mul_hi_u32 v11, v4, v5
	v_mul_lo_u32 v5, v4, v5
	v_add_co_u32 v7, vcc_lo, v7, v8
	v_add_co_ci_u32_e32 v8, vcc_lo, 0, v9, vcc_lo
	s_delay_alu instid0(VALU_DEP_2) | instskip(NEXT) | instid1(VALU_DEP_2)
	v_add_co_u32 v6, vcc_lo, v7, v6
	v_add_co_ci_u32_e32 v6, vcc_lo, v8, v10, vcc_lo
	v_add_co_ci_u32_e32 v7, vcc_lo, 0, v11, vcc_lo
	v_ashrrev_i32_e32 v10, 31, v1
	s_delay_alu instid0(VALU_DEP_3) | instskip(NEXT) | instid1(VALU_DEP_3)
	v_add_co_u32 v5, vcc_lo, v6, v5
	v_add_co_ci_u32_e32 v6, vcc_lo, 0, v7, vcc_lo
	s_delay_alu instid0(VALU_DEP_2) | instskip(NEXT) | instid1(VALU_DEP_2)
	v_add_co_u32 v3, vcc_lo, v3, v5
	v_add_co_ci_u32_e32 v4, vcc_lo, v4, v6, vcc_lo
	s_delay_alu instid0(VALU_DEP_2) | instskip(SKIP_1) | instid1(VALU_DEP_3)
	v_mul_hi_u32 v5, s0, v3
	v_mul_lo_u32 v7, s20, v3
	v_mul_lo_u32 v6, s0, v4
	s_delay_alu instid0(VALU_DEP_1) | instskip(SKIP_1) | instid1(VALU_DEP_2)
	v_add_nc_u32_e32 v5, v5, v6
	v_mul_lo_u32 v6, s0, v3
	v_add_nc_u32_e32 v5, v5, v7
	s_delay_alu instid0(VALU_DEP_2) | instskip(NEXT) | instid1(VALU_DEP_2)
	v_mul_hi_u32 v7, v3, v6
	v_mul_lo_u32 v8, v3, v5
	v_mul_hi_u32 v9, v3, v5
	v_mul_hi_u32 v11, v4, v6
	v_mul_lo_u32 v6, v4, v6
	v_mul_hi_u32 v12, v4, v5
	v_mul_lo_u32 v5, v4, v5
	v_add_co_u32 v7, vcc_lo, v7, v8
	v_add_co_ci_u32_e32 v8, vcc_lo, 0, v9, vcc_lo
	s_delay_alu instid0(VALU_DEP_2) | instskip(NEXT) | instid1(VALU_DEP_2)
	v_add_co_u32 v6, vcc_lo, v7, v6
	v_add_co_ci_u32_e32 v6, vcc_lo, v8, v11, vcc_lo
	v_add_co_ci_u32_e32 v7, vcc_lo, 0, v12, vcc_lo
	v_add_co_u32 v8, vcc_lo, v0, v10
	v_add_co_ci_u32_e32 v9, vcc_lo, v1, v10, vcc_lo
	s_delay_alu instid0(VALU_DEP_4) | instskip(NEXT) | instid1(VALU_DEP_4)
	v_add_co_u32 v5, vcc_lo, v6, v5
	v_add_co_ci_u32_e32 v6, vcc_lo, 0, v7, vcc_lo
	s_delay_alu instid0(VALU_DEP_4) | instskip(NEXT) | instid1(VALU_DEP_3)
	v_xor_b32_e32 v11, v8, v10
	v_add_co_u32 v7, vcc_lo, v3, v5
	s_delay_alu instid0(VALU_DEP_3) | instskip(SKIP_1) | instid1(VALU_DEP_3)
	v_add_co_ci_u32_e32 v12, vcc_lo, v4, v6, vcc_lo
	v_xor_b32_e32 v9, v9, v10
	v_mul_hi_u32 v13, v11, v7
	s_delay_alu instid0(VALU_DEP_3) | instskip(NEXT) | instid1(VALU_DEP_3)
	v_mad_u64_u32 v[3:4], null, v11, v12, 0
	v_mad_u64_u32 v[5:6], null, v9, v7, 0
	;; [unrolled: 1-line block ×3, first 2 shown]
	s_delay_alu instid0(VALU_DEP_3) | instskip(NEXT) | instid1(VALU_DEP_4)
	v_add_co_u32 v3, vcc_lo, v13, v3
	v_add_co_ci_u32_e32 v4, vcc_lo, 0, v4, vcc_lo
	s_delay_alu instid0(VALU_DEP_2) | instskip(NEXT) | instid1(VALU_DEP_2)
	v_add_co_u32 v3, vcc_lo, v3, v5
	v_add_co_ci_u32_e32 v3, vcc_lo, v4, v6, vcc_lo
	v_add_co_ci_u32_e32 v4, vcc_lo, 0, v8, vcc_lo
	s_delay_alu instid0(VALU_DEP_2) | instskip(NEXT) | instid1(VALU_DEP_2)
	v_add_co_u32 v5, vcc_lo, v3, v7
	v_add_co_ci_u32_e32 v6, vcc_lo, 0, v4, vcc_lo
	s_delay_alu instid0(VALU_DEP_2) | instskip(SKIP_1) | instid1(VALU_DEP_3)
	v_mul_lo_u32 v7, s19, v5
	v_mad_u64_u32 v[3:4], null, s18, v5, 0
	v_mul_lo_u32 v8, s18, v6
	s_delay_alu instid0(VALU_DEP_2) | instskip(NEXT) | instid1(VALU_DEP_2)
	v_sub_co_u32 v3, vcc_lo, v11, v3
	v_add3_u32 v4, v4, v8, v7
	s_delay_alu instid0(VALU_DEP_1) | instskip(NEXT) | instid1(VALU_DEP_1)
	v_sub_nc_u32_e32 v7, v9, v4
	v_subrev_co_ci_u32_e64 v7, s0, s19, v7, vcc_lo
	v_add_co_u32 v8, s0, v5, 2
	s_delay_alu instid0(VALU_DEP_1) | instskip(SKIP_3) | instid1(VALU_DEP_3)
	v_add_co_ci_u32_e64 v11, s0, 0, v6, s0
	v_sub_co_u32 v12, s0, v3, s18
	v_sub_co_ci_u32_e32 v4, vcc_lo, v9, v4, vcc_lo
	v_subrev_co_ci_u32_e64 v7, s0, 0, v7, s0
	v_cmp_le_u32_e32 vcc_lo, s18, v12
	s_delay_alu instid0(VALU_DEP_3) | instskip(SKIP_1) | instid1(VALU_DEP_4)
	v_cmp_eq_u32_e64 s0, s19, v4
	v_cndmask_b32_e64 v9, 0, -1, vcc_lo
	v_cmp_le_u32_e32 vcc_lo, s19, v7
	v_cndmask_b32_e64 v12, 0, -1, vcc_lo
	v_cmp_le_u32_e32 vcc_lo, s18, v3
	;; [unrolled: 2-line block ×3, first 2 shown]
	v_cndmask_b32_e64 v13, 0, -1, vcc_lo
	v_cmp_eq_u32_e32 vcc_lo, s19, v7
	s_delay_alu instid0(VALU_DEP_2) | instskip(SKIP_3) | instid1(VALU_DEP_3)
	v_cndmask_b32_e64 v3, v13, v3, s0
	v_cndmask_b32_e32 v7, v12, v9, vcc_lo
	v_add_co_u32 v9, vcc_lo, v5, 1
	v_add_co_ci_u32_e32 v12, vcc_lo, 0, v6, vcc_lo
	v_cmp_ne_u32_e32 vcc_lo, 0, v7
	s_delay_alu instid0(VALU_DEP_2) | instskip(SKIP_2) | instid1(VALU_DEP_3)
	v_dual_cndmask_b32 v4, v12, v11 :: v_dual_cndmask_b32 v7, v9, v8
	v_cmp_ne_u32_e32 vcc_lo, 0, v3
	v_xor_b32_e32 v3, s16, v10
	v_dual_cndmask_b32 v5, v5, v7 :: v_dual_cndmask_b32 v4, v6, v4
	v_xor_b32_e32 v6, s17, v10
	s_delay_alu instid0(VALU_DEP_2) | instskip(NEXT) | instid1(VALU_DEP_2)
	v_xor_b32_e32 v5, v5, v3
	v_xor_b32_e32 v7, v4, v6
	s_delay_alu instid0(VALU_DEP_2) | instskip(NEXT) | instid1(VALU_DEP_2)
	v_sub_co_u32 v4, vcc_lo, v5, v3
	v_sub_co_ci_u32_e32 v5, vcc_lo, v7, v6, vcc_lo
.LBB60_5:                               ;   in Loop: Header=BB60_3 Depth=1
	s_and_not1_saveexec_b32 s0, s14
; %bb.6:                                ;   in Loop: Header=BB60_3 Depth=1
	v_mul_hi_u32 v3, v0, v24
	s_delay_alu instid0(VALU_DEP_1) | instskip(NEXT) | instid1(VALU_DEP_1)
	v_mul_lo_u32 v4, v3, s24
	v_sub_nc_u32_e32 v4, v0, v4
	s_delay_alu instid0(VALU_DEP_1) | instskip(SKIP_1) | instid1(VALU_DEP_2)
	v_subrev_nc_u32_e32 v6, s24, v4
	v_cmp_le_u32_e32 vcc_lo, s24, v4
	v_dual_cndmask_b32 v4, v4, v6 :: v_dual_add_nc_u32 v5, 1, v3
	s_delay_alu instid0(VALU_DEP_1) | instskip(NEXT) | instid1(VALU_DEP_2)
	v_cndmask_b32_e32 v3, v3, v5, vcc_lo
	v_cmp_le_u32_e32 vcc_lo, s24, v4
	s_delay_alu instid0(VALU_DEP_2) | instskip(NEXT) | instid1(VALU_DEP_1)
	v_add_nc_u32_e32 v5, 1, v3
	v_dual_cndmask_b32 v4, v3, v5 :: v_dual_mov_b32 v5, v2
; %bb.7:                                ;   in Loop: Header=BB60_3 Depth=1
	s_or_b32 exec_lo, exec_lo, s0
	s_delay_alu instid0(VALU_DEP_1) | instskip(SKIP_1) | instid1(VALU_DEP_1)
	v_or_b32_e32 v3, s29, v5
                                        ; implicit-def: $vgpr6_vgpr7
	s_mov_b32 s0, exec_lo
	v_cmpx_ne_u64_e32 0, v[2:3]
	s_xor_b32 s14, exec_lo, s0
	s_cbranch_execz .LBB60_9
; %bb.8:                                ;   in Loop: Header=BB60_3 Depth=1
	s_add_u32 s18, s28, s29
	s_mov_b32 s16, s29
	s_mov_b32 s17, s29
	s_addc_u32 s19, s29, s29
	s_delay_alu instid0(SALU_CYCLE_1) | instskip(NEXT) | instid1(SALU_CYCLE_1)
	s_xor_b64 s[18:19], s[18:19], s[16:17]
	v_cvt_f32_u32_e32 v3, s18
	v_cvt_f32_u32_e32 v6, s19
	s_sub_u32 s0, 0, s18
	s_subb_u32 s20, 0, s19
	s_delay_alu instid0(VALU_DEP_1) | instskip(NEXT) | instid1(VALU_DEP_1)
	v_fmac_f32_e32 v3, 0x4f800000, v6
	v_rcp_f32_e32 v3, v3
	s_waitcnt_depctr 0xfff
	v_mul_f32_e32 v3, 0x5f7ffffc, v3
	s_delay_alu instid0(VALU_DEP_1) | instskip(NEXT) | instid1(VALU_DEP_1)
	v_mul_f32_e32 v6, 0x2f800000, v3
	v_trunc_f32_e32 v6, v6
	s_delay_alu instid0(VALU_DEP_1) | instskip(SKIP_1) | instid1(VALU_DEP_2)
	v_fmac_f32_e32 v3, 0xcf800000, v6
	v_cvt_u32_f32_e32 v6, v6
	v_cvt_u32_f32_e32 v3, v3
	s_delay_alu instid0(VALU_DEP_2) | instskip(NEXT) | instid1(VALU_DEP_2)
	v_mul_lo_u32 v7, s0, v6
	v_mul_hi_u32 v8, s0, v3
	v_mul_lo_u32 v9, s20, v3
	s_delay_alu instid0(VALU_DEP_2) | instskip(SKIP_1) | instid1(VALU_DEP_2)
	v_add_nc_u32_e32 v7, v8, v7
	v_mul_lo_u32 v8, s0, v3
	v_add_nc_u32_e32 v7, v7, v9
	s_delay_alu instid0(VALU_DEP_2) | instskip(NEXT) | instid1(VALU_DEP_2)
	v_mul_hi_u32 v9, v3, v8
	v_mul_lo_u32 v10, v3, v7
	v_mul_hi_u32 v11, v3, v7
	v_mul_hi_u32 v12, v6, v8
	v_mul_lo_u32 v8, v6, v8
	v_mul_hi_u32 v13, v6, v7
	v_mul_lo_u32 v7, v6, v7
	v_add_co_u32 v9, vcc_lo, v9, v10
	v_add_co_ci_u32_e32 v10, vcc_lo, 0, v11, vcc_lo
	s_delay_alu instid0(VALU_DEP_2) | instskip(NEXT) | instid1(VALU_DEP_2)
	v_add_co_u32 v8, vcc_lo, v9, v8
	v_add_co_ci_u32_e32 v8, vcc_lo, v10, v12, vcc_lo
	v_add_co_ci_u32_e32 v9, vcc_lo, 0, v13, vcc_lo
	v_ashrrev_i32_e32 v12, 31, v5
	s_delay_alu instid0(VALU_DEP_3) | instskip(NEXT) | instid1(VALU_DEP_3)
	v_add_co_u32 v7, vcc_lo, v8, v7
	v_add_co_ci_u32_e32 v8, vcc_lo, 0, v9, vcc_lo
	s_delay_alu instid0(VALU_DEP_2) | instskip(NEXT) | instid1(VALU_DEP_2)
	v_add_co_u32 v3, vcc_lo, v3, v7
	v_add_co_ci_u32_e32 v6, vcc_lo, v6, v8, vcc_lo
	s_delay_alu instid0(VALU_DEP_2) | instskip(SKIP_1) | instid1(VALU_DEP_3)
	v_mul_hi_u32 v7, s0, v3
	v_mul_lo_u32 v9, s20, v3
	v_mul_lo_u32 v8, s0, v6
	s_delay_alu instid0(VALU_DEP_1) | instskip(SKIP_1) | instid1(VALU_DEP_2)
	v_add_nc_u32_e32 v7, v7, v8
	v_mul_lo_u32 v8, s0, v3
	v_add_nc_u32_e32 v7, v7, v9
	s_delay_alu instid0(VALU_DEP_2) | instskip(NEXT) | instid1(VALU_DEP_2)
	v_mul_hi_u32 v9, v3, v8
	v_mul_lo_u32 v10, v3, v7
	v_mul_hi_u32 v11, v3, v7
	v_mul_hi_u32 v13, v6, v8
	v_mul_lo_u32 v8, v6, v8
	v_mul_hi_u32 v14, v6, v7
	v_mul_lo_u32 v7, v6, v7
	v_add_co_u32 v9, vcc_lo, v9, v10
	v_add_co_ci_u32_e32 v10, vcc_lo, 0, v11, vcc_lo
	s_delay_alu instid0(VALU_DEP_2) | instskip(NEXT) | instid1(VALU_DEP_2)
	v_add_co_u32 v8, vcc_lo, v9, v8
	v_add_co_ci_u32_e32 v8, vcc_lo, v10, v13, vcc_lo
	v_add_co_ci_u32_e32 v9, vcc_lo, 0, v14, vcc_lo
	v_add_co_u32 v10, vcc_lo, v4, v12
	v_add_co_ci_u32_e32 v5, vcc_lo, v5, v12, vcc_lo
	s_delay_alu instid0(VALU_DEP_4) | instskip(NEXT) | instid1(VALU_DEP_4)
	v_add_co_u32 v7, vcc_lo, v8, v7
	v_add_co_ci_u32_e32 v8, vcc_lo, 0, v9, vcc_lo
	s_delay_alu instid0(VALU_DEP_4) | instskip(NEXT) | instid1(VALU_DEP_3)
	v_xor_b32_e32 v11, v10, v12
	v_add_co_u32 v3, vcc_lo, v3, v7
	s_delay_alu instid0(VALU_DEP_3) | instskip(SKIP_1) | instid1(VALU_DEP_3)
	v_add_co_ci_u32_e32 v13, vcc_lo, v6, v8, vcc_lo
	v_xor_b32_e32 v14, v5, v12
	v_mul_hi_u32 v15, v11, v3
	s_delay_alu instid0(VALU_DEP_3) | instskip(NEXT) | instid1(VALU_DEP_3)
	v_mad_u64_u32 v[5:6], null, v11, v13, 0
	v_mad_u64_u32 v[7:8], null, v14, v3, 0
	v_mad_u64_u32 v[9:10], null, v14, v13, 0
	s_delay_alu instid0(VALU_DEP_3) | instskip(NEXT) | instid1(VALU_DEP_4)
	v_add_co_u32 v3, vcc_lo, v15, v5
	v_add_co_ci_u32_e32 v5, vcc_lo, 0, v6, vcc_lo
	s_delay_alu instid0(VALU_DEP_2) | instskip(NEXT) | instid1(VALU_DEP_2)
	v_add_co_u32 v3, vcc_lo, v3, v7
	v_add_co_ci_u32_e32 v3, vcc_lo, v5, v8, vcc_lo
	v_add_co_ci_u32_e32 v5, vcc_lo, 0, v10, vcc_lo
	s_delay_alu instid0(VALU_DEP_2) | instskip(NEXT) | instid1(VALU_DEP_2)
	v_add_co_u32 v3, vcc_lo, v3, v9
	v_add_co_ci_u32_e32 v7, vcc_lo, 0, v5, vcc_lo
	s_delay_alu instid0(VALU_DEP_2) | instskip(SKIP_1) | instid1(VALU_DEP_3)
	v_mul_lo_u32 v8, s19, v3
	v_mad_u64_u32 v[5:6], null, s18, v3, 0
	v_mul_lo_u32 v9, s18, v7
	s_delay_alu instid0(VALU_DEP_2) | instskip(NEXT) | instid1(VALU_DEP_2)
	v_sub_co_u32 v5, vcc_lo, v11, v5
	v_add3_u32 v6, v6, v9, v8
	s_delay_alu instid0(VALU_DEP_1) | instskip(NEXT) | instid1(VALU_DEP_1)
	v_sub_nc_u32_e32 v8, v14, v6
	v_subrev_co_ci_u32_e64 v8, s0, s19, v8, vcc_lo
	v_add_co_u32 v9, s0, v3, 2
	s_delay_alu instid0(VALU_DEP_1) | instskip(SKIP_3) | instid1(VALU_DEP_3)
	v_add_co_ci_u32_e64 v10, s0, 0, v7, s0
	v_sub_co_u32 v11, s0, v5, s18
	v_sub_co_ci_u32_e32 v6, vcc_lo, v14, v6, vcc_lo
	v_subrev_co_ci_u32_e64 v8, s0, 0, v8, s0
	v_cmp_le_u32_e32 vcc_lo, s18, v11
	s_delay_alu instid0(VALU_DEP_3) | instskip(SKIP_1) | instid1(VALU_DEP_4)
	v_cmp_eq_u32_e64 s0, s19, v6
	v_cndmask_b32_e64 v11, 0, -1, vcc_lo
	v_cmp_le_u32_e32 vcc_lo, s19, v8
	v_cndmask_b32_e64 v13, 0, -1, vcc_lo
	v_cmp_le_u32_e32 vcc_lo, s18, v5
	;; [unrolled: 2-line block ×3, first 2 shown]
	v_cndmask_b32_e64 v14, 0, -1, vcc_lo
	v_cmp_eq_u32_e32 vcc_lo, s19, v8
	s_delay_alu instid0(VALU_DEP_2) | instskip(SKIP_3) | instid1(VALU_DEP_3)
	v_cndmask_b32_e64 v5, v14, v5, s0
	v_cndmask_b32_e32 v8, v13, v11, vcc_lo
	v_add_co_u32 v11, vcc_lo, v3, 1
	v_add_co_ci_u32_e32 v13, vcc_lo, 0, v7, vcc_lo
	v_cmp_ne_u32_e32 vcc_lo, 0, v8
	s_delay_alu instid0(VALU_DEP_3) | instskip(NEXT) | instid1(VALU_DEP_3)
	v_cndmask_b32_e32 v8, v11, v9, vcc_lo
	v_cndmask_b32_e32 v6, v13, v10, vcc_lo
	v_cmp_ne_u32_e32 vcc_lo, 0, v5
	v_xor_b32_e32 v5, s16, v12
	s_delay_alu instid0(VALU_DEP_4) | instskip(NEXT) | instid1(VALU_DEP_4)
	v_cndmask_b32_e32 v3, v3, v8, vcc_lo
	v_cndmask_b32_e32 v6, v7, v6, vcc_lo
	v_xor_b32_e32 v7, s17, v12
	s_delay_alu instid0(VALU_DEP_3) | instskip(NEXT) | instid1(VALU_DEP_2)
	v_xor_b32_e32 v3, v3, v5
	v_xor_b32_e32 v8, v6, v7
	s_delay_alu instid0(VALU_DEP_2) | instskip(NEXT) | instid1(VALU_DEP_2)
	v_sub_co_u32 v6, vcc_lo, v3, v5
	v_sub_co_ci_u32_e32 v7, vcc_lo, v8, v7, vcc_lo
.LBB60_9:                               ;   in Loop: Header=BB60_3 Depth=1
	s_and_not1_saveexec_b32 s0, s14
	s_cbranch_execz .LBB60_11
; %bb.10:                               ;   in Loop: Header=BB60_3 Depth=1
	v_cvt_f32_u32_e32 v3, s28
	s_sub_i32 s14, 0, s28
	s_delay_alu instid0(VALU_DEP_1) | instskip(SKIP_2) | instid1(VALU_DEP_1)
	v_rcp_iflag_f32_e32 v3, v3
	s_waitcnt_depctr 0xfff
	v_mul_f32_e32 v3, 0x4f7ffffe, v3
	v_cvt_u32_f32_e32 v3, v3
	s_delay_alu instid0(VALU_DEP_1) | instskip(NEXT) | instid1(VALU_DEP_1)
	v_mul_lo_u32 v5, s14, v3
	v_mul_hi_u32 v5, v3, v5
	s_delay_alu instid0(VALU_DEP_1) | instskip(NEXT) | instid1(VALU_DEP_1)
	v_add_nc_u32_e32 v3, v3, v5
	v_mul_hi_u32 v3, v4, v3
	s_delay_alu instid0(VALU_DEP_1) | instskip(SKIP_1) | instid1(VALU_DEP_2)
	v_mul_lo_u32 v5, v3, s28
	v_add_nc_u32_e32 v6, 1, v3
	v_sub_nc_u32_e32 v5, v4, v5
	s_delay_alu instid0(VALU_DEP_1) | instskip(SKIP_1) | instid1(VALU_DEP_2)
	v_subrev_nc_u32_e32 v7, s28, v5
	v_cmp_le_u32_e32 vcc_lo, s28, v5
	v_cndmask_b32_e32 v5, v5, v7, vcc_lo
	v_mov_b32_e32 v7, v2
	v_cndmask_b32_e32 v3, v3, v6, vcc_lo
	s_delay_alu instid0(VALU_DEP_3) | instskip(NEXT) | instid1(VALU_DEP_2)
	v_cmp_le_u32_e32 vcc_lo, s28, v5
	v_add_nc_u32_e32 v6, 1, v3
	s_delay_alu instid0(VALU_DEP_1)
	v_cndmask_b32_e32 v6, v3, v6, vcc_lo
.LBB60_11:                              ;   in Loop: Header=BB60_3 Depth=1
	s_or_b32 exec_lo, exec_lo, s0
	v_mad_u64_u32 v[8:9], null, v4, s24, 0
	s_delay_alu instid0(VALU_DEP_2) | instskip(SKIP_1) | instid1(VALU_DEP_2)
	v_mad_u64_u32 v[9:10], null, v6, s28, 0
	s_mov_b32 s39, exec_lo
	v_sub_co_u32 v26, null, v0, v8
	s_delay_alu instid0(VALU_DEP_2) | instskip(NEXT) | instid1(VALU_DEP_1)
	v_sub_co_u32 v25, null, v4, v9
	v_sub_nc_u32_e32 v3, v26, v25
	s_delay_alu instid0(VALU_DEP_1) | instskip(NEXT) | instid1(VALU_DEP_1)
	v_ashrrev_i32_e32 v4, 31, v3
	v_cmpx_gt_i64_e64 s[4:5], v[3:4]
	s_cbranch_execz .LBB60_2
; %bb.12:                               ;   in Loop: Header=BB60_3 Depth=1
	s_clause 0x1
	s_load_b32 s40, s[8:9], 0x0
	s_load_b32 s0, s[10:11], 0x0
	s_and_not1_b32 vcc_lo, exec_lo, s37
	s_waitcnt lgkmcnt(0)
	v_mul_lo_u32 v3, s40, v26
	s_delay_alu instid0(VALU_DEP_1)
	v_mad_u64_u32 v[4:5], null, s0, v25, v[3:4]
	s_cbranch_vccnz .LBB60_58
; %bb.13:                               ;   in Loop: Header=BB60_3 Depth=1
	s_and_not1_b32 vcc_lo, exec_lo, s35
	s_cbranch_vccnz .LBB60_21
; %bb.14:                               ;   in Loop: Header=BB60_3 Depth=1
	v_dual_mov_b32 v9, v7 :: v_dual_mov_b32 v8, v6
	s_mov_b32 s22, s33
	s_mov_b32 s14, s31
.LBB60_15:                              ;   Parent Loop BB60_3 Depth=1
                                        ; =>  This Inner Loop Header: Depth=2
	s_delay_alu instid0(SALU_CYCLE_1) | instskip(NEXT) | instid1(SALU_CYCLE_1)
	s_lshl_b64 s[16:17], s[14:15], 2
                                        ; implicit-def: $vgpr6_vgpr7
	s_add_u32 s18, s26, s16
	s_addc_u32 s19, s27, s17
	s_load_b32 s23, s[18:19], 0x0
	s_mov_b32 s18, exec_lo
	s_waitcnt lgkmcnt(0)
	s_ashr_i32 s0, s23, 31
	s_delay_alu instid0(SALU_CYCLE_1) | instskip(NEXT) | instid1(VALU_DEP_1)
	v_or_b32_e32 v3, s0, v9
	v_cmpx_ne_u64_e32 0, v[2:3]
	s_xor_b32 s41, exec_lo, s18
	s_cbranch_execz .LBB60_17
; %bb.16:                               ;   in Loop: Header=BB60_15 Depth=2
	s_add_u32 s20, s23, s0
	s_mov_b32 s18, s0
	s_mov_b32 s19, s0
	s_addc_u32 s21, s0, s0
	s_delay_alu instid0(SALU_CYCLE_1) | instskip(NEXT) | instid1(SALU_CYCLE_1)
	s_xor_b64 s[20:21], s[20:21], s[18:19]
	v_cvt_f32_u32_e32 v3, s20
	v_cvt_f32_u32_e32 v5, s21
	s_sub_u32 s0, 0, s20
	s_subb_u32 s42, 0, s21
	s_delay_alu instid0(VALU_DEP_1) | instskip(NEXT) | instid1(VALU_DEP_1)
	v_fmac_f32_e32 v3, 0x4f800000, v5
	v_rcp_f32_e32 v3, v3
	s_waitcnt_depctr 0xfff
	v_mul_f32_e32 v3, 0x5f7ffffc, v3
	s_delay_alu instid0(VALU_DEP_1) | instskip(NEXT) | instid1(VALU_DEP_1)
	v_mul_f32_e32 v5, 0x2f800000, v3
	v_trunc_f32_e32 v5, v5
	s_delay_alu instid0(VALU_DEP_1) | instskip(SKIP_1) | instid1(VALU_DEP_2)
	v_fmac_f32_e32 v3, 0xcf800000, v5
	v_cvt_u32_f32_e32 v5, v5
	v_cvt_u32_f32_e32 v3, v3
	s_delay_alu instid0(VALU_DEP_2) | instskip(NEXT) | instid1(VALU_DEP_2)
	v_mul_lo_u32 v6, s0, v5
	v_mul_hi_u32 v7, s0, v3
	v_mul_lo_u32 v10, s42, v3
	s_delay_alu instid0(VALU_DEP_2) | instskip(SKIP_1) | instid1(VALU_DEP_2)
	v_add_nc_u32_e32 v6, v7, v6
	v_mul_lo_u32 v7, s0, v3
	v_add_nc_u32_e32 v6, v6, v10
	s_delay_alu instid0(VALU_DEP_2) | instskip(NEXT) | instid1(VALU_DEP_2)
	v_mul_hi_u32 v10, v3, v7
	v_mul_lo_u32 v11, v3, v6
	v_mul_hi_u32 v12, v3, v6
	v_mul_hi_u32 v13, v5, v7
	v_mul_lo_u32 v7, v5, v7
	v_mul_hi_u32 v14, v5, v6
	v_mul_lo_u32 v6, v5, v6
	v_add_co_u32 v10, vcc_lo, v10, v11
	v_add_co_ci_u32_e32 v11, vcc_lo, 0, v12, vcc_lo
	s_delay_alu instid0(VALU_DEP_2) | instskip(NEXT) | instid1(VALU_DEP_2)
	v_add_co_u32 v7, vcc_lo, v10, v7
	v_add_co_ci_u32_e32 v7, vcc_lo, v11, v13, vcc_lo
	v_add_co_ci_u32_e32 v10, vcc_lo, 0, v14, vcc_lo
	v_ashrrev_i32_e32 v13, 31, v9
	s_delay_alu instid0(VALU_DEP_3) | instskip(NEXT) | instid1(VALU_DEP_3)
	v_add_co_u32 v6, vcc_lo, v7, v6
	v_add_co_ci_u32_e32 v7, vcc_lo, 0, v10, vcc_lo
	s_delay_alu instid0(VALU_DEP_2) | instskip(NEXT) | instid1(VALU_DEP_2)
	v_add_co_u32 v3, vcc_lo, v3, v6
	v_add_co_ci_u32_e32 v5, vcc_lo, v5, v7, vcc_lo
	s_delay_alu instid0(VALU_DEP_2) | instskip(SKIP_1) | instid1(VALU_DEP_3)
	v_mul_hi_u32 v6, s0, v3
	v_mul_lo_u32 v10, s42, v3
	v_mul_lo_u32 v7, s0, v5
	s_delay_alu instid0(VALU_DEP_1) | instskip(SKIP_1) | instid1(VALU_DEP_2)
	v_add_nc_u32_e32 v6, v6, v7
	v_mul_lo_u32 v7, s0, v3
	v_add_nc_u32_e32 v6, v6, v10
	s_delay_alu instid0(VALU_DEP_2) | instskip(NEXT) | instid1(VALU_DEP_2)
	v_mul_hi_u32 v10, v3, v7
	v_mul_lo_u32 v11, v3, v6
	v_mul_hi_u32 v12, v3, v6
	v_mul_hi_u32 v14, v5, v7
	v_mul_lo_u32 v7, v5, v7
	v_mul_hi_u32 v15, v5, v6
	v_mul_lo_u32 v6, v5, v6
	v_add_co_u32 v10, vcc_lo, v10, v11
	v_add_co_ci_u32_e32 v11, vcc_lo, 0, v12, vcc_lo
	s_delay_alu instid0(VALU_DEP_2) | instskip(NEXT) | instid1(VALU_DEP_2)
	v_add_co_u32 v7, vcc_lo, v10, v7
	v_add_co_ci_u32_e32 v7, vcc_lo, v11, v14, vcc_lo
	v_add_co_ci_u32_e32 v10, vcc_lo, 0, v15, vcc_lo
	v_add_co_u32 v11, vcc_lo, v8, v13
	v_add_co_ci_u32_e32 v9, vcc_lo, v9, v13, vcc_lo
	s_delay_alu instid0(VALU_DEP_4) | instskip(NEXT) | instid1(VALU_DEP_4)
	v_add_co_u32 v6, vcc_lo, v7, v6
	v_add_co_ci_u32_e32 v7, vcc_lo, 0, v10, vcc_lo
	s_delay_alu instid0(VALU_DEP_4) | instskip(NEXT) | instid1(VALU_DEP_3)
	v_xor_b32_e32 v14, v11, v13
	v_add_co_u32 v3, vcc_lo, v3, v6
	s_delay_alu instid0(VALU_DEP_3) | instskip(SKIP_1) | instid1(VALU_DEP_3)
	v_add_co_ci_u32_e32 v7, vcc_lo, v5, v7, vcc_lo
	v_xor_b32_e32 v15, v9, v13
	v_mul_hi_u32 v16, v14, v3
	s_delay_alu instid0(VALU_DEP_3) | instskip(NEXT) | instid1(VALU_DEP_3)
	v_mad_u64_u32 v[5:6], null, v14, v7, 0
	v_mad_u64_u32 v[9:10], null, v15, v3, 0
	v_mad_u64_u32 v[11:12], null, v15, v7, 0
	s_delay_alu instid0(VALU_DEP_3) | instskip(NEXT) | instid1(VALU_DEP_4)
	v_add_co_u32 v3, vcc_lo, v16, v5
	v_add_co_ci_u32_e32 v5, vcc_lo, 0, v6, vcc_lo
	s_delay_alu instid0(VALU_DEP_2) | instskip(NEXT) | instid1(VALU_DEP_2)
	v_add_co_u32 v3, vcc_lo, v3, v9
	v_add_co_ci_u32_e32 v3, vcc_lo, v5, v10, vcc_lo
	v_add_co_ci_u32_e32 v5, vcc_lo, 0, v12, vcc_lo
	s_delay_alu instid0(VALU_DEP_2) | instskip(NEXT) | instid1(VALU_DEP_2)
	v_add_co_u32 v3, vcc_lo, v3, v11
	v_add_co_ci_u32_e32 v7, vcc_lo, 0, v5, vcc_lo
	s_delay_alu instid0(VALU_DEP_2) | instskip(SKIP_1) | instid1(VALU_DEP_3)
	v_mul_lo_u32 v9, s21, v3
	v_mad_u64_u32 v[5:6], null, s20, v3, 0
	v_mul_lo_u32 v10, s20, v7
	s_delay_alu instid0(VALU_DEP_2) | instskip(NEXT) | instid1(VALU_DEP_2)
	v_sub_co_u32 v5, vcc_lo, v14, v5
	v_add3_u32 v6, v6, v10, v9
	s_delay_alu instid0(VALU_DEP_1) | instskip(NEXT) | instid1(VALU_DEP_1)
	v_sub_nc_u32_e32 v9, v15, v6
	v_subrev_co_ci_u32_e64 v9, s0, s21, v9, vcc_lo
	v_add_co_u32 v10, s0, v3, 2
	s_delay_alu instid0(VALU_DEP_1) | instskip(SKIP_3) | instid1(VALU_DEP_3)
	v_add_co_ci_u32_e64 v11, s0, 0, v7, s0
	v_sub_co_u32 v12, s0, v5, s20
	v_sub_co_ci_u32_e32 v6, vcc_lo, v15, v6, vcc_lo
	v_subrev_co_ci_u32_e64 v9, s0, 0, v9, s0
	v_cmp_le_u32_e32 vcc_lo, s20, v12
	s_delay_alu instid0(VALU_DEP_3) | instskip(SKIP_1) | instid1(VALU_DEP_4)
	v_cmp_eq_u32_e64 s0, s21, v6
	v_cndmask_b32_e64 v12, 0, -1, vcc_lo
	v_cmp_le_u32_e32 vcc_lo, s21, v9
	v_cndmask_b32_e64 v14, 0, -1, vcc_lo
	v_cmp_le_u32_e32 vcc_lo, s20, v5
	;; [unrolled: 2-line block ×3, first 2 shown]
	v_cndmask_b32_e64 v15, 0, -1, vcc_lo
	v_cmp_eq_u32_e32 vcc_lo, s21, v9
	s_delay_alu instid0(VALU_DEP_2) | instskip(SKIP_3) | instid1(VALU_DEP_3)
	v_cndmask_b32_e64 v5, v15, v5, s0
	v_cndmask_b32_e32 v9, v14, v12, vcc_lo
	v_add_co_u32 v12, vcc_lo, v3, 1
	v_add_co_ci_u32_e32 v14, vcc_lo, 0, v7, vcc_lo
	v_cmp_ne_u32_e32 vcc_lo, 0, v9
	s_delay_alu instid0(VALU_DEP_2) | instskip(SKIP_2) | instid1(VALU_DEP_3)
	v_dual_cndmask_b32 v6, v14, v11 :: v_dual_cndmask_b32 v9, v12, v10
	v_cmp_ne_u32_e32 vcc_lo, 0, v5
	v_xor_b32_e32 v5, s18, v13
	v_cndmask_b32_e32 v3, v3, v9, vcc_lo
	s_delay_alu instid0(VALU_DEP_4) | instskip(SKIP_1) | instid1(VALU_DEP_3)
	v_cndmask_b32_e32 v6, v7, v6, vcc_lo
	v_xor_b32_e32 v7, s19, v13
	v_xor_b32_e32 v3, v3, v5
	s_delay_alu instid0(VALU_DEP_2) | instskip(NEXT) | instid1(VALU_DEP_2)
	v_xor_b32_e32 v9, v6, v7
	v_sub_co_u32 v6, vcc_lo, v3, v5
	s_delay_alu instid0(VALU_DEP_2)
	v_sub_co_ci_u32_e32 v7, vcc_lo, v9, v7, vcc_lo
.LBB60_17:                              ;   in Loop: Header=BB60_15 Depth=2
	s_and_not1_saveexec_b32 s0, s41
	s_cbranch_execz .LBB60_19
; %bb.18:                               ;   in Loop: Header=BB60_15 Depth=2
	v_cvt_f32_u32_e32 v3, s23
	s_sub_i32 s18, 0, s23
	s_delay_alu instid0(VALU_DEP_1) | instskip(SKIP_2) | instid1(VALU_DEP_1)
	v_rcp_iflag_f32_e32 v3, v3
	s_waitcnt_depctr 0xfff
	v_mul_f32_e32 v3, 0x4f7ffffe, v3
	v_cvt_u32_f32_e32 v3, v3
	s_delay_alu instid0(VALU_DEP_1) | instskip(NEXT) | instid1(VALU_DEP_1)
	v_mul_lo_u32 v5, s18, v3
	v_mul_hi_u32 v5, v3, v5
	s_delay_alu instid0(VALU_DEP_1) | instskip(NEXT) | instid1(VALU_DEP_1)
	v_add_nc_u32_e32 v3, v3, v5
	v_mul_hi_u32 v3, v8, v3
	s_delay_alu instid0(VALU_DEP_1) | instskip(SKIP_1) | instid1(VALU_DEP_2)
	v_mul_lo_u32 v5, v3, s23
	v_add_nc_u32_e32 v6, 1, v3
	v_sub_nc_u32_e32 v5, v8, v5
	s_delay_alu instid0(VALU_DEP_1) | instskip(SKIP_1) | instid1(VALU_DEP_2)
	v_subrev_nc_u32_e32 v7, s23, v5
	v_cmp_le_u32_e32 vcc_lo, s23, v5
	v_cndmask_b32_e32 v5, v5, v7, vcc_lo
	v_mov_b32_e32 v7, v2
	v_cndmask_b32_e32 v3, v3, v6, vcc_lo
	s_delay_alu instid0(VALU_DEP_3) | instskip(NEXT) | instid1(VALU_DEP_2)
	v_cmp_le_u32_e32 vcc_lo, s23, v5
	v_add_nc_u32_e32 v6, 1, v3
	s_delay_alu instid0(VALU_DEP_1)
	v_cndmask_b32_e32 v6, v3, v6, vcc_lo
.LBB60_19:                              ;   in Loop: Header=BB60_15 Depth=2
	s_or_b32 exec_lo, exec_lo, s0
	s_add_u32 s16, s30, s16
	s_addc_u32 s17, s1, s17
	s_delay_alu instid0(VALU_DEP_1) | instskip(SKIP_4) | instid1(VALU_DEP_1)
	v_mul_lo_u32 v3, v6, s23
	s_load_b32 s0, s[16:17], 0x0
	s_add_i32 s22, s22, -1
	s_add_i32 s14, s14, -1
	s_cmp_lg_u32 s22, 0
	v_sub_nc_u32_e32 v3, v8, v3
	s_waitcnt lgkmcnt(0)
	s_delay_alu instid0(VALU_DEP_1) | instskip(NEXT) | instid1(VALU_DEP_1)
	v_mad_u64_u32 v[8:9], null, s0, v3, v[4:5]
	v_mov_b32_e32 v4, v8
	s_cbranch_scc0 .LBB60_22
; %bb.20:                               ;   in Loop: Header=BB60_15 Depth=2
	v_dual_mov_b32 v9, v7 :: v_dual_mov_b32 v8, v6
	s_branch .LBB60_15
.LBB60_21:                              ;   in Loop: Header=BB60_3 Depth=1
	s_mov_b32 s14, s31
.LBB60_22:                              ;   in Loop: Header=BB60_3 Depth=1
	s_and_not1_b32 vcc_lo, exec_lo, s36
	s_cbranch_vccnz .LBB60_58
; %bb.23:                               ;   in Loop: Header=BB60_3 Depth=1
	s_add_i32 s16, s14, -7
.LBB60_24:                              ;   Parent Loop BB60_3 Depth=1
                                        ; =>  This Inner Loop Header: Depth=2
	s_delay_alu instid0(SALU_CYCLE_1) | instskip(NEXT) | instid1(SALU_CYCLE_1)
	s_add_i32 s14, s16, 7
                                        ; implicit-def: $vgpr8_vgpr9
	s_lshl_b64 s[18:19], s[14:15], 2
	s_mov_b32 s14, exec_lo
	s_add_u32 s20, s26, s18
	s_addc_u32 s21, s27, s19
	s_load_b32 s41, s[20:21], 0x0
	s_waitcnt lgkmcnt(0)
	s_ashr_i32 s0, s41, 31
	s_delay_alu instid0(SALU_CYCLE_1) | instskip(NEXT) | instid1(VALU_DEP_1)
	v_or_b32_e32 v3, s0, v7
	v_cmpx_ne_u64_e32 0, v[2:3]
	s_xor_b32 s14, exec_lo, s14
	s_cbranch_execz .LBB60_26
; %bb.25:                               ;   in Loop: Header=BB60_24 Depth=2
	s_add_u32 s22, s41, s0
	s_mov_b32 s20, s0
	s_mov_b32 s21, s0
	s_addc_u32 s23, s0, s0
	s_delay_alu instid0(SALU_CYCLE_1) | instskip(NEXT) | instid1(SALU_CYCLE_1)
	s_xor_b64 s[22:23], s[22:23], s[20:21]
	v_cvt_f32_u32_e32 v3, s22
	v_cvt_f32_u32_e32 v5, s23
	s_sub_u32 s0, 0, s22
	s_subb_u32 s17, 0, s23
	s_delay_alu instid0(VALU_DEP_1) | instskip(NEXT) | instid1(VALU_DEP_1)
	v_fmac_f32_e32 v3, 0x4f800000, v5
	v_rcp_f32_e32 v3, v3
	s_waitcnt_depctr 0xfff
	v_mul_f32_e32 v3, 0x5f7ffffc, v3
	s_delay_alu instid0(VALU_DEP_1) | instskip(NEXT) | instid1(VALU_DEP_1)
	v_mul_f32_e32 v5, 0x2f800000, v3
	v_trunc_f32_e32 v5, v5
	s_delay_alu instid0(VALU_DEP_1) | instskip(SKIP_1) | instid1(VALU_DEP_2)
	v_fmac_f32_e32 v3, 0xcf800000, v5
	v_cvt_u32_f32_e32 v5, v5
	v_cvt_u32_f32_e32 v3, v3
	s_delay_alu instid0(VALU_DEP_2) | instskip(NEXT) | instid1(VALU_DEP_2)
	v_mul_lo_u32 v8, s0, v5
	v_mul_hi_u32 v9, s0, v3
	v_mul_lo_u32 v10, s17, v3
	s_delay_alu instid0(VALU_DEP_2) | instskip(SKIP_1) | instid1(VALU_DEP_2)
	v_add_nc_u32_e32 v8, v9, v8
	v_mul_lo_u32 v9, s0, v3
	v_add_nc_u32_e32 v8, v8, v10
	s_delay_alu instid0(VALU_DEP_2) | instskip(NEXT) | instid1(VALU_DEP_2)
	v_mul_hi_u32 v10, v3, v9
	v_mul_lo_u32 v11, v3, v8
	v_mul_hi_u32 v12, v3, v8
	v_mul_hi_u32 v13, v5, v9
	v_mul_lo_u32 v9, v5, v9
	v_mul_hi_u32 v14, v5, v8
	v_mul_lo_u32 v8, v5, v8
	v_add_co_u32 v10, vcc_lo, v10, v11
	v_add_co_ci_u32_e32 v11, vcc_lo, 0, v12, vcc_lo
	s_delay_alu instid0(VALU_DEP_2) | instskip(NEXT) | instid1(VALU_DEP_2)
	v_add_co_u32 v9, vcc_lo, v10, v9
	v_add_co_ci_u32_e32 v9, vcc_lo, v11, v13, vcc_lo
	v_add_co_ci_u32_e32 v10, vcc_lo, 0, v14, vcc_lo
	v_ashrrev_i32_e32 v13, 31, v7
	s_delay_alu instid0(VALU_DEP_3) | instskip(NEXT) | instid1(VALU_DEP_3)
	v_add_co_u32 v8, vcc_lo, v9, v8
	v_add_co_ci_u32_e32 v9, vcc_lo, 0, v10, vcc_lo
	s_delay_alu instid0(VALU_DEP_2) | instskip(NEXT) | instid1(VALU_DEP_2)
	v_add_co_u32 v3, vcc_lo, v3, v8
	v_add_co_ci_u32_e32 v5, vcc_lo, v5, v9, vcc_lo
	s_delay_alu instid0(VALU_DEP_2) | instskip(SKIP_1) | instid1(VALU_DEP_3)
	v_mul_hi_u32 v8, s0, v3
	v_mul_lo_u32 v10, s17, v3
	v_mul_lo_u32 v9, s0, v5
	s_delay_alu instid0(VALU_DEP_1) | instskip(SKIP_1) | instid1(VALU_DEP_2)
	v_add_nc_u32_e32 v8, v8, v9
	v_mul_lo_u32 v9, s0, v3
	v_add_nc_u32_e32 v8, v8, v10
	s_delay_alu instid0(VALU_DEP_2) | instskip(NEXT) | instid1(VALU_DEP_2)
	v_mul_hi_u32 v10, v3, v9
	v_mul_lo_u32 v11, v3, v8
	v_mul_hi_u32 v12, v3, v8
	v_mul_hi_u32 v14, v5, v9
	v_mul_lo_u32 v9, v5, v9
	v_mul_hi_u32 v15, v5, v8
	v_mul_lo_u32 v8, v5, v8
	v_add_co_u32 v10, vcc_lo, v10, v11
	v_add_co_ci_u32_e32 v11, vcc_lo, 0, v12, vcc_lo
	s_delay_alu instid0(VALU_DEP_2) | instskip(NEXT) | instid1(VALU_DEP_2)
	v_add_co_u32 v9, vcc_lo, v10, v9
	v_add_co_ci_u32_e32 v9, vcc_lo, v11, v14, vcc_lo
	v_add_co_ci_u32_e32 v10, vcc_lo, 0, v15, vcc_lo
	v_add_co_u32 v11, vcc_lo, v6, v13
	v_add_co_ci_u32_e32 v7, vcc_lo, v7, v13, vcc_lo
	s_delay_alu instid0(VALU_DEP_4) | instskip(NEXT) | instid1(VALU_DEP_4)
	v_add_co_u32 v8, vcc_lo, v9, v8
	v_add_co_ci_u32_e32 v9, vcc_lo, 0, v10, vcc_lo
	s_delay_alu instid0(VALU_DEP_4) | instskip(NEXT) | instid1(VALU_DEP_3)
	v_xor_b32_e32 v14, v11, v13
	v_add_co_u32 v3, vcc_lo, v3, v8
	s_delay_alu instid0(VALU_DEP_3) | instskip(SKIP_1) | instid1(VALU_DEP_3)
	v_add_co_ci_u32_e32 v5, vcc_lo, v5, v9, vcc_lo
	v_xor_b32_e32 v15, v7, v13
	v_mul_hi_u32 v16, v14, v3
	s_delay_alu instid0(VALU_DEP_3) | instskip(NEXT) | instid1(VALU_DEP_3)
	v_mad_u64_u32 v[7:8], null, v14, v5, 0
	v_mad_u64_u32 v[9:10], null, v15, v3, 0
	;; [unrolled: 1-line block ×3, first 2 shown]
	s_delay_alu instid0(VALU_DEP_3) | instskip(NEXT) | instid1(VALU_DEP_4)
	v_add_co_u32 v3, vcc_lo, v16, v7
	v_add_co_ci_u32_e32 v5, vcc_lo, 0, v8, vcc_lo
	s_delay_alu instid0(VALU_DEP_2) | instskip(NEXT) | instid1(VALU_DEP_2)
	v_add_co_u32 v3, vcc_lo, v3, v9
	v_add_co_ci_u32_e32 v3, vcc_lo, v5, v10, vcc_lo
	v_add_co_ci_u32_e32 v5, vcc_lo, 0, v12, vcc_lo
	s_delay_alu instid0(VALU_DEP_2) | instskip(NEXT) | instid1(VALU_DEP_2)
	v_add_co_u32 v3, vcc_lo, v3, v11
	v_add_co_ci_u32_e32 v5, vcc_lo, 0, v5, vcc_lo
	s_delay_alu instid0(VALU_DEP_2) | instskip(SKIP_1) | instid1(VALU_DEP_3)
	v_mul_lo_u32 v9, s23, v3
	v_mad_u64_u32 v[7:8], null, s22, v3, 0
	v_mul_lo_u32 v10, s22, v5
	s_delay_alu instid0(VALU_DEP_2) | instskip(NEXT) | instid1(VALU_DEP_2)
	v_sub_co_u32 v7, vcc_lo, v14, v7
	v_add3_u32 v8, v8, v10, v9
	s_delay_alu instid0(VALU_DEP_1) | instskip(NEXT) | instid1(VALU_DEP_1)
	v_sub_nc_u32_e32 v9, v15, v8
	v_subrev_co_ci_u32_e64 v9, s0, s23, v9, vcc_lo
	v_add_co_u32 v10, s0, v3, 2
	s_delay_alu instid0(VALU_DEP_1) | instskip(SKIP_3) | instid1(VALU_DEP_3)
	v_add_co_ci_u32_e64 v11, s0, 0, v5, s0
	v_sub_co_u32 v12, s0, v7, s22
	v_sub_co_ci_u32_e32 v8, vcc_lo, v15, v8, vcc_lo
	v_subrev_co_ci_u32_e64 v9, s0, 0, v9, s0
	v_cmp_le_u32_e32 vcc_lo, s22, v12
	s_delay_alu instid0(VALU_DEP_3) | instskip(SKIP_1) | instid1(VALU_DEP_4)
	v_cmp_eq_u32_e64 s0, s23, v8
	v_cndmask_b32_e64 v12, 0, -1, vcc_lo
	v_cmp_le_u32_e32 vcc_lo, s23, v9
	v_cndmask_b32_e64 v14, 0, -1, vcc_lo
	v_cmp_le_u32_e32 vcc_lo, s22, v7
	;; [unrolled: 2-line block ×3, first 2 shown]
	v_cndmask_b32_e64 v15, 0, -1, vcc_lo
	v_cmp_eq_u32_e32 vcc_lo, s23, v9
	s_delay_alu instid0(VALU_DEP_2) | instskip(SKIP_3) | instid1(VALU_DEP_3)
	v_cndmask_b32_e64 v7, v15, v7, s0
	v_cndmask_b32_e32 v9, v14, v12, vcc_lo
	v_add_co_u32 v12, vcc_lo, v3, 1
	v_add_co_ci_u32_e32 v14, vcc_lo, 0, v5, vcc_lo
	v_cmp_ne_u32_e32 vcc_lo, 0, v9
	s_delay_alu instid0(VALU_DEP_2) | instskip(SKIP_2) | instid1(VALU_DEP_3)
	v_dual_cndmask_b32 v8, v14, v11 :: v_dual_cndmask_b32 v9, v12, v10
	v_cmp_ne_u32_e32 vcc_lo, 0, v7
	v_xor_b32_e32 v7, s20, v13
	v_cndmask_b32_e32 v3, v3, v9, vcc_lo
	s_delay_alu instid0(VALU_DEP_4) | instskip(SKIP_1) | instid1(VALU_DEP_3)
	v_cndmask_b32_e32 v5, v5, v8, vcc_lo
	v_xor_b32_e32 v9, s21, v13
	v_xor_b32_e32 v3, v3, v7
	s_delay_alu instid0(VALU_DEP_2) | instskip(NEXT) | instid1(VALU_DEP_2)
	v_xor_b32_e32 v5, v5, v9
	v_sub_co_u32 v8, vcc_lo, v3, v7
	s_delay_alu instid0(VALU_DEP_2)
	v_sub_co_ci_u32_e32 v9, vcc_lo, v5, v9, vcc_lo
.LBB60_26:                              ;   in Loop: Header=BB60_24 Depth=2
	s_and_not1_saveexec_b32 s0, s14
	s_cbranch_execz .LBB60_28
; %bb.27:                               ;   in Loop: Header=BB60_24 Depth=2
	v_cvt_f32_u32_e32 v3, s41
	s_sub_i32 s14, 0, s41
	v_mov_b32_e32 v9, v2
	s_delay_alu instid0(VALU_DEP_2) | instskip(SKIP_2) | instid1(VALU_DEP_1)
	v_rcp_iflag_f32_e32 v3, v3
	s_waitcnt_depctr 0xfff
	v_mul_f32_e32 v3, 0x4f7ffffe, v3
	v_cvt_u32_f32_e32 v3, v3
	s_delay_alu instid0(VALU_DEP_1) | instskip(NEXT) | instid1(VALU_DEP_1)
	v_mul_lo_u32 v5, s14, v3
	v_mul_hi_u32 v5, v3, v5
	s_delay_alu instid0(VALU_DEP_1) | instskip(NEXT) | instid1(VALU_DEP_1)
	v_add_nc_u32_e32 v3, v3, v5
	v_mul_hi_u32 v3, v6, v3
	s_delay_alu instid0(VALU_DEP_1) | instskip(SKIP_1) | instid1(VALU_DEP_2)
	v_mul_lo_u32 v5, v3, s41
	v_add_nc_u32_e32 v7, 1, v3
	v_sub_nc_u32_e32 v5, v6, v5
	s_delay_alu instid0(VALU_DEP_1) | instskip(SKIP_1) | instid1(VALU_DEP_4)
	v_cmp_le_u32_e32 vcc_lo, s41, v5
	v_subrev_nc_u32_e32 v8, s41, v5
	v_cndmask_b32_e32 v3, v3, v7, vcc_lo
	s_delay_alu instid0(VALU_DEP_1) | instskip(NEXT) | instid1(VALU_DEP_3)
	v_add_nc_u32_e32 v7, 1, v3
	v_cndmask_b32_e32 v5, v5, v8, vcc_lo
	s_delay_alu instid0(VALU_DEP_1) | instskip(NEXT) | instid1(VALU_DEP_3)
	v_cmp_le_u32_e32 vcc_lo, s41, v5
	v_cndmask_b32_e32 v8, v3, v7, vcc_lo
.LBB60_28:                              ;   in Loop: Header=BB60_24 Depth=2
	s_or_b32 exec_lo, exec_lo, s0
	s_add_u32 s20, s30, s18
	s_addc_u32 s21, s1, s19
	s_add_i32 s14, s16, 6
                                        ; implicit-def: $vgpr10_vgpr11
	s_delay_alu instid0(SALU_CYCLE_1)
	s_lshl_b64 s[18:19], s[14:15], 2
	s_mov_b32 s14, exec_lo
	s_add_u32 s22, s26, s18
	s_addc_u32 s23, s27, s19
	s_clause 0x1
	s_load_b32 s43, s[22:23], 0x0
	s_load_b32 s42, s[20:21], 0x0
	s_waitcnt lgkmcnt(0)
	s_ashr_i32 s0, s43, 31
	s_delay_alu instid0(SALU_CYCLE_1) | instskip(NEXT) | instid1(VALU_DEP_1)
	v_or_b32_e32 v3, s0, v9
	v_cmpx_ne_u64_e32 0, v[2:3]
	s_xor_b32 s14, exec_lo, s14
	s_cbranch_execz .LBB60_30
; %bb.29:                               ;   in Loop: Header=BB60_24 Depth=2
	s_add_u32 s22, s43, s0
	s_mov_b32 s20, s0
	s_mov_b32 s21, s0
	s_addc_u32 s23, s0, s0
	s_delay_alu instid0(SALU_CYCLE_1) | instskip(NEXT) | instid1(SALU_CYCLE_1)
	s_xor_b64 s[22:23], s[22:23], s[20:21]
	v_cvt_f32_u32_e32 v3, s22
	v_cvt_f32_u32_e32 v5, s23
	s_sub_u32 s0, 0, s22
	s_subb_u32 s17, 0, s23
	s_delay_alu instid0(VALU_DEP_1) | instskip(NEXT) | instid1(VALU_DEP_1)
	v_fmac_f32_e32 v3, 0x4f800000, v5
	v_rcp_f32_e32 v3, v3
	s_waitcnt_depctr 0xfff
	v_mul_f32_e32 v3, 0x5f7ffffc, v3
	s_delay_alu instid0(VALU_DEP_1) | instskip(NEXT) | instid1(VALU_DEP_1)
	v_mul_f32_e32 v5, 0x2f800000, v3
	v_trunc_f32_e32 v5, v5
	s_delay_alu instid0(VALU_DEP_1) | instskip(SKIP_1) | instid1(VALU_DEP_2)
	v_fmac_f32_e32 v3, 0xcf800000, v5
	v_cvt_u32_f32_e32 v5, v5
	v_cvt_u32_f32_e32 v3, v3
	s_delay_alu instid0(VALU_DEP_2) | instskip(NEXT) | instid1(VALU_DEP_2)
	v_mul_lo_u32 v7, s0, v5
	v_mul_hi_u32 v10, s0, v3
	v_mul_lo_u32 v11, s17, v3
	s_delay_alu instid0(VALU_DEP_2) | instskip(SKIP_1) | instid1(VALU_DEP_2)
	v_add_nc_u32_e32 v7, v10, v7
	v_mul_lo_u32 v10, s0, v3
	v_add_nc_u32_e32 v7, v7, v11
	s_delay_alu instid0(VALU_DEP_2) | instskip(NEXT) | instid1(VALU_DEP_2)
	v_mul_hi_u32 v11, v3, v10
	v_mul_lo_u32 v12, v3, v7
	v_mul_hi_u32 v13, v3, v7
	v_mul_hi_u32 v14, v5, v10
	v_mul_lo_u32 v10, v5, v10
	v_mul_hi_u32 v15, v5, v7
	v_mul_lo_u32 v7, v5, v7
	v_add_co_u32 v11, vcc_lo, v11, v12
	v_add_co_ci_u32_e32 v12, vcc_lo, 0, v13, vcc_lo
	s_delay_alu instid0(VALU_DEP_2) | instskip(NEXT) | instid1(VALU_DEP_2)
	v_add_co_u32 v10, vcc_lo, v11, v10
	v_add_co_ci_u32_e32 v10, vcc_lo, v12, v14, vcc_lo
	v_add_co_ci_u32_e32 v11, vcc_lo, 0, v15, vcc_lo
	v_ashrrev_i32_e32 v15, 31, v9
	s_delay_alu instid0(VALU_DEP_3) | instskip(NEXT) | instid1(VALU_DEP_3)
	v_add_co_u32 v7, vcc_lo, v10, v7
	v_add_co_ci_u32_e32 v10, vcc_lo, 0, v11, vcc_lo
	s_delay_alu instid0(VALU_DEP_2) | instskip(NEXT) | instid1(VALU_DEP_2)
	v_add_co_u32 v3, vcc_lo, v3, v7
	v_add_co_ci_u32_e32 v5, vcc_lo, v5, v10, vcc_lo
	s_delay_alu instid0(VALU_DEP_2) | instskip(SKIP_1) | instid1(VALU_DEP_3)
	v_mul_hi_u32 v7, s0, v3
	v_mul_lo_u32 v11, s17, v3
	v_mul_lo_u32 v10, s0, v5
	s_delay_alu instid0(VALU_DEP_1) | instskip(SKIP_1) | instid1(VALU_DEP_2)
	v_add_nc_u32_e32 v7, v7, v10
	v_mul_lo_u32 v10, s0, v3
	v_add_nc_u32_e32 v7, v7, v11
	s_delay_alu instid0(VALU_DEP_2) | instskip(NEXT) | instid1(VALU_DEP_2)
	v_mul_hi_u32 v11, v3, v10
	v_mul_lo_u32 v12, v3, v7
	v_mul_hi_u32 v13, v3, v7
	v_mul_hi_u32 v14, v5, v10
	v_mul_lo_u32 v10, v5, v10
	v_mul_hi_u32 v16, v5, v7
	v_mul_lo_u32 v7, v5, v7
	v_add_co_u32 v11, vcc_lo, v11, v12
	v_add_co_ci_u32_e32 v12, vcc_lo, 0, v13, vcc_lo
	s_delay_alu instid0(VALU_DEP_2) | instskip(NEXT) | instid1(VALU_DEP_2)
	v_add_co_u32 v10, vcc_lo, v11, v10
	v_add_co_ci_u32_e32 v10, vcc_lo, v12, v14, vcc_lo
	v_add_co_ci_u32_e32 v11, vcc_lo, 0, v16, vcc_lo
	v_add_co_u32 v12, vcc_lo, v8, v15
	v_add_co_ci_u32_e32 v9, vcc_lo, v9, v15, vcc_lo
	s_delay_alu instid0(VALU_DEP_4) | instskip(NEXT) | instid1(VALU_DEP_4)
	v_add_co_u32 v7, vcc_lo, v10, v7
	v_add_co_ci_u32_e32 v10, vcc_lo, 0, v11, vcc_lo
	s_delay_alu instid0(VALU_DEP_4) | instskip(NEXT) | instid1(VALU_DEP_3)
	v_xor_b32_e32 v16, v12, v15
	v_add_co_u32 v3, vcc_lo, v3, v7
	s_delay_alu instid0(VALU_DEP_3) | instskip(SKIP_1) | instid1(VALU_DEP_3)
	v_add_co_ci_u32_e32 v5, vcc_lo, v5, v10, vcc_lo
	v_xor_b32_e32 v7, v9, v15
	v_mul_hi_u32 v17, v16, v3
	s_delay_alu instid0(VALU_DEP_3) | instskip(NEXT) | instid1(VALU_DEP_3)
	v_mad_u64_u32 v[9:10], null, v16, v5, 0
	v_mad_u64_u32 v[11:12], null, v7, v3, 0
	;; [unrolled: 1-line block ×3, first 2 shown]
	s_delay_alu instid0(VALU_DEP_3) | instskip(NEXT) | instid1(VALU_DEP_4)
	v_add_co_u32 v3, vcc_lo, v17, v9
	v_add_co_ci_u32_e32 v5, vcc_lo, 0, v10, vcc_lo
	s_delay_alu instid0(VALU_DEP_2) | instskip(NEXT) | instid1(VALU_DEP_2)
	v_add_co_u32 v3, vcc_lo, v3, v11
	v_add_co_ci_u32_e32 v3, vcc_lo, v5, v12, vcc_lo
	v_add_co_ci_u32_e32 v5, vcc_lo, 0, v14, vcc_lo
	s_delay_alu instid0(VALU_DEP_2) | instskip(NEXT) | instid1(VALU_DEP_2)
	v_add_co_u32 v3, vcc_lo, v3, v13
	v_add_co_ci_u32_e32 v5, vcc_lo, 0, v5, vcc_lo
	s_delay_alu instid0(VALU_DEP_2) | instskip(SKIP_1) | instid1(VALU_DEP_3)
	v_mul_lo_u32 v11, s23, v3
	v_mad_u64_u32 v[9:10], null, s22, v3, 0
	v_mul_lo_u32 v12, s22, v5
	s_delay_alu instid0(VALU_DEP_2) | instskip(NEXT) | instid1(VALU_DEP_2)
	v_sub_co_u32 v9, vcc_lo, v16, v9
	v_add3_u32 v10, v10, v12, v11
	s_delay_alu instid0(VALU_DEP_1) | instskip(NEXT) | instid1(VALU_DEP_1)
	v_sub_nc_u32_e32 v11, v7, v10
	v_subrev_co_ci_u32_e64 v11, s0, s23, v11, vcc_lo
	v_add_co_u32 v12, s0, v3, 2
	s_delay_alu instid0(VALU_DEP_1) | instskip(SKIP_3) | instid1(VALU_DEP_3)
	v_add_co_ci_u32_e64 v13, s0, 0, v5, s0
	v_sub_co_u32 v14, s0, v9, s22
	v_sub_co_ci_u32_e32 v7, vcc_lo, v7, v10, vcc_lo
	v_subrev_co_ci_u32_e64 v11, s0, 0, v11, s0
	v_cmp_le_u32_e32 vcc_lo, s22, v14
	s_delay_alu instid0(VALU_DEP_3) | instskip(SKIP_1) | instid1(VALU_DEP_4)
	v_cmp_eq_u32_e64 s0, s23, v7
	v_cndmask_b32_e64 v10, 0, -1, vcc_lo
	v_cmp_le_u32_e32 vcc_lo, s23, v11
	v_cndmask_b32_e64 v14, 0, -1, vcc_lo
	v_cmp_le_u32_e32 vcc_lo, s22, v9
	;; [unrolled: 2-line block ×3, first 2 shown]
	v_cndmask_b32_e64 v16, 0, -1, vcc_lo
	v_cmp_eq_u32_e32 vcc_lo, s23, v11
	s_delay_alu instid0(VALU_DEP_2) | instskip(SKIP_3) | instid1(VALU_DEP_3)
	v_cndmask_b32_e64 v7, v16, v9, s0
	v_cndmask_b32_e32 v10, v14, v10, vcc_lo
	v_add_co_u32 v11, vcc_lo, v3, 1
	v_add_co_ci_u32_e32 v14, vcc_lo, 0, v5, vcc_lo
	v_cmp_ne_u32_e32 vcc_lo, 0, v10
	s_delay_alu instid0(VALU_DEP_2) | instskip(SKIP_2) | instid1(VALU_DEP_3)
	v_dual_cndmask_b32 v10, v11, v12 :: v_dual_cndmask_b32 v9, v14, v13
	v_cmp_ne_u32_e32 vcc_lo, 0, v7
	v_xor_b32_e32 v7, s20, v15
	v_cndmask_b32_e32 v3, v3, v10, vcc_lo
	s_delay_alu instid0(VALU_DEP_4) | instskip(SKIP_1) | instid1(VALU_DEP_3)
	v_cndmask_b32_e32 v5, v5, v9, vcc_lo
	v_xor_b32_e32 v9, s21, v15
	v_xor_b32_e32 v3, v3, v7
	s_delay_alu instid0(VALU_DEP_2) | instskip(NEXT) | instid1(VALU_DEP_2)
	v_xor_b32_e32 v5, v5, v9
	v_sub_co_u32 v10, vcc_lo, v3, v7
	s_delay_alu instid0(VALU_DEP_2)
	v_sub_co_ci_u32_e32 v11, vcc_lo, v5, v9, vcc_lo
.LBB60_30:                              ;   in Loop: Header=BB60_24 Depth=2
	s_and_not1_saveexec_b32 s0, s14
	s_cbranch_execz .LBB60_32
; %bb.31:                               ;   in Loop: Header=BB60_24 Depth=2
	v_cvt_f32_u32_e32 v3, s43
	s_sub_i32 s14, 0, s43
	v_mov_b32_e32 v11, v2
	s_delay_alu instid0(VALU_DEP_2) | instskip(SKIP_2) | instid1(VALU_DEP_1)
	v_rcp_iflag_f32_e32 v3, v3
	s_waitcnt_depctr 0xfff
	v_mul_f32_e32 v3, 0x4f7ffffe, v3
	v_cvt_u32_f32_e32 v3, v3
	s_delay_alu instid0(VALU_DEP_1) | instskip(NEXT) | instid1(VALU_DEP_1)
	v_mul_lo_u32 v5, s14, v3
	v_mul_hi_u32 v5, v3, v5
	s_delay_alu instid0(VALU_DEP_1) | instskip(NEXT) | instid1(VALU_DEP_1)
	v_add_nc_u32_e32 v3, v3, v5
	v_mul_hi_u32 v3, v8, v3
	s_delay_alu instid0(VALU_DEP_1) | instskip(SKIP_1) | instid1(VALU_DEP_2)
	v_mul_lo_u32 v5, v3, s43
	v_add_nc_u32_e32 v7, 1, v3
	v_sub_nc_u32_e32 v5, v8, v5
	s_delay_alu instid0(VALU_DEP_1) | instskip(SKIP_1) | instid1(VALU_DEP_4)
	v_cmp_le_u32_e32 vcc_lo, s43, v5
	v_subrev_nc_u32_e32 v9, s43, v5
	v_cndmask_b32_e32 v3, v3, v7, vcc_lo
	s_delay_alu instid0(VALU_DEP_1) | instskip(NEXT) | instid1(VALU_DEP_3)
	v_add_nc_u32_e32 v7, 1, v3
	v_cndmask_b32_e32 v5, v5, v9, vcc_lo
	s_delay_alu instid0(VALU_DEP_1) | instskip(NEXT) | instid1(VALU_DEP_3)
	v_cmp_le_u32_e32 vcc_lo, s43, v5
	v_cndmask_b32_e32 v10, v3, v7, vcc_lo
.LBB60_32:                              ;   in Loop: Header=BB60_24 Depth=2
	s_or_b32 exec_lo, exec_lo, s0
	s_add_u32 s20, s30, s18
	s_addc_u32 s21, s1, s19
	s_add_i32 s14, s16, 5
                                        ; implicit-def: $vgpr12_vgpr13
	s_delay_alu instid0(SALU_CYCLE_1)
	s_lshl_b64 s[18:19], s[14:15], 2
	s_mov_b32 s14, exec_lo
	s_add_u32 s22, s26, s18
	s_addc_u32 s23, s27, s19
	s_clause 0x1
	s_load_b32 s45, s[22:23], 0x0
	s_load_b32 s44, s[20:21], 0x0
	s_waitcnt lgkmcnt(0)
	s_ashr_i32 s0, s45, 31
	s_delay_alu instid0(SALU_CYCLE_1) | instskip(NEXT) | instid1(VALU_DEP_1)
	v_or_b32_e32 v3, s0, v11
	v_cmpx_ne_u64_e32 0, v[2:3]
	s_xor_b32 s14, exec_lo, s14
	s_cbranch_execz .LBB60_34
; %bb.33:                               ;   in Loop: Header=BB60_24 Depth=2
	s_add_u32 s22, s45, s0
	s_mov_b32 s20, s0
	s_mov_b32 s21, s0
	s_addc_u32 s23, s0, s0
	v_ashrrev_i32_e32 v17, 31, v11
	s_xor_b64 s[22:23], s[22:23], s[20:21]
	s_delay_alu instid0(SALU_CYCLE_1) | instskip(SKIP_3) | instid1(VALU_DEP_1)
	v_cvt_f32_u32_e32 v3, s22
	v_cvt_f32_u32_e32 v5, s23
	s_sub_u32 s0, 0, s22
	s_subb_u32 s17, 0, s23
	v_fmac_f32_e32 v3, 0x4f800000, v5
	s_delay_alu instid0(VALU_DEP_1) | instskip(SKIP_2) | instid1(VALU_DEP_1)
	v_rcp_f32_e32 v3, v3
	s_waitcnt_depctr 0xfff
	v_mul_f32_e32 v3, 0x5f7ffffc, v3
	v_mul_f32_e32 v5, 0x2f800000, v3
	s_delay_alu instid0(VALU_DEP_1) | instskip(NEXT) | instid1(VALU_DEP_1)
	v_trunc_f32_e32 v5, v5
	v_fmac_f32_e32 v3, 0xcf800000, v5
	v_cvt_u32_f32_e32 v5, v5
	s_delay_alu instid0(VALU_DEP_2) | instskip(NEXT) | instid1(VALU_DEP_2)
	v_cvt_u32_f32_e32 v3, v3
	v_mul_lo_u32 v7, s0, v5
	s_delay_alu instid0(VALU_DEP_2) | instskip(SKIP_1) | instid1(VALU_DEP_2)
	v_mul_hi_u32 v9, s0, v3
	v_mul_lo_u32 v12, s17, v3
	v_add_nc_u32_e32 v7, v9, v7
	v_mul_lo_u32 v9, s0, v3
	s_delay_alu instid0(VALU_DEP_2) | instskip(NEXT) | instid1(VALU_DEP_2)
	v_add_nc_u32_e32 v7, v7, v12
	v_mul_hi_u32 v12, v3, v9
	s_delay_alu instid0(VALU_DEP_2)
	v_mul_lo_u32 v13, v3, v7
	v_mul_hi_u32 v14, v3, v7
	v_mul_hi_u32 v15, v5, v9
	v_mul_lo_u32 v9, v5, v9
	v_mul_hi_u32 v16, v5, v7
	v_mul_lo_u32 v7, v5, v7
	v_add_co_u32 v12, vcc_lo, v12, v13
	v_add_co_ci_u32_e32 v13, vcc_lo, 0, v14, vcc_lo
	s_delay_alu instid0(VALU_DEP_2) | instskip(NEXT) | instid1(VALU_DEP_2)
	v_add_co_u32 v9, vcc_lo, v12, v9
	v_add_co_ci_u32_e32 v9, vcc_lo, v13, v15, vcc_lo
	v_add_co_ci_u32_e32 v12, vcc_lo, 0, v16, vcc_lo
	s_delay_alu instid0(VALU_DEP_2) | instskip(NEXT) | instid1(VALU_DEP_2)
	v_add_co_u32 v7, vcc_lo, v9, v7
	v_add_co_ci_u32_e32 v9, vcc_lo, 0, v12, vcc_lo
	s_delay_alu instid0(VALU_DEP_2) | instskip(NEXT) | instid1(VALU_DEP_2)
	v_add_co_u32 v3, vcc_lo, v3, v7
	v_add_co_ci_u32_e32 v5, vcc_lo, v5, v9, vcc_lo
	s_delay_alu instid0(VALU_DEP_2) | instskip(SKIP_1) | instid1(VALU_DEP_3)
	v_mul_hi_u32 v7, s0, v3
	v_mul_lo_u32 v12, s17, v3
	v_mul_lo_u32 v9, s0, v5
	s_delay_alu instid0(VALU_DEP_1) | instskip(SKIP_1) | instid1(VALU_DEP_2)
	v_add_nc_u32_e32 v7, v7, v9
	v_mul_lo_u32 v9, s0, v3
	v_add_nc_u32_e32 v7, v7, v12
	s_delay_alu instid0(VALU_DEP_2) | instskip(NEXT) | instid1(VALU_DEP_2)
	v_mul_hi_u32 v12, v3, v9
	v_mul_lo_u32 v13, v3, v7
	v_mul_hi_u32 v14, v3, v7
	v_mul_hi_u32 v15, v5, v9
	v_mul_lo_u32 v9, v5, v9
	v_mul_hi_u32 v16, v5, v7
	v_mul_lo_u32 v7, v5, v7
	v_add_co_u32 v12, vcc_lo, v12, v13
	v_add_co_ci_u32_e32 v13, vcc_lo, 0, v14, vcc_lo
	s_delay_alu instid0(VALU_DEP_2) | instskip(NEXT) | instid1(VALU_DEP_2)
	v_add_co_u32 v9, vcc_lo, v12, v9
	v_add_co_ci_u32_e32 v9, vcc_lo, v13, v15, vcc_lo
	v_add_co_ci_u32_e32 v12, vcc_lo, 0, v16, vcc_lo
	v_add_co_u32 v13, vcc_lo, v10, v17
	v_add_co_ci_u32_e32 v11, vcc_lo, v11, v17, vcc_lo
	s_delay_alu instid0(VALU_DEP_4) | instskip(NEXT) | instid1(VALU_DEP_4)
	v_add_co_u32 v7, vcc_lo, v9, v7
	v_add_co_ci_u32_e32 v9, vcc_lo, 0, v12, vcc_lo
	s_delay_alu instid0(VALU_DEP_4) | instskip(NEXT) | instid1(VALU_DEP_3)
	v_xor_b32_e32 v18, v13, v17
	v_add_co_u32 v3, vcc_lo, v3, v7
	s_delay_alu instid0(VALU_DEP_3) | instskip(SKIP_1) | instid1(VALU_DEP_3)
	v_add_co_ci_u32_e32 v5, vcc_lo, v5, v9, vcc_lo
	v_xor_b32_e32 v7, v11, v17
	v_mul_hi_u32 v9, v18, v3
	s_delay_alu instid0(VALU_DEP_3) | instskip(NEXT) | instid1(VALU_DEP_3)
	v_mad_u64_u32 v[11:12], null, v18, v5, 0
	v_mad_u64_u32 v[13:14], null, v7, v3, 0
	v_mad_u64_u32 v[15:16], null, v7, v5, 0
	s_delay_alu instid0(VALU_DEP_3) | instskip(NEXT) | instid1(VALU_DEP_4)
	v_add_co_u32 v3, vcc_lo, v9, v11
	v_add_co_ci_u32_e32 v5, vcc_lo, 0, v12, vcc_lo
	s_delay_alu instid0(VALU_DEP_2) | instskip(NEXT) | instid1(VALU_DEP_2)
	v_add_co_u32 v3, vcc_lo, v3, v13
	v_add_co_ci_u32_e32 v3, vcc_lo, v5, v14, vcc_lo
	v_add_co_ci_u32_e32 v5, vcc_lo, 0, v16, vcc_lo
	s_delay_alu instid0(VALU_DEP_2) | instskip(NEXT) | instid1(VALU_DEP_2)
	v_add_co_u32 v3, vcc_lo, v3, v15
	v_add_co_ci_u32_e32 v5, vcc_lo, 0, v5, vcc_lo
	s_delay_alu instid0(VALU_DEP_2) | instskip(SKIP_1) | instid1(VALU_DEP_3)
	v_mul_lo_u32 v9, s23, v3
	v_mad_u64_u32 v[11:12], null, s22, v3, 0
	v_mul_lo_u32 v13, s22, v5
	s_delay_alu instid0(VALU_DEP_2) | instskip(NEXT) | instid1(VALU_DEP_2)
	v_sub_co_u32 v11, vcc_lo, v18, v11
	v_add3_u32 v9, v12, v13, v9
	s_delay_alu instid0(VALU_DEP_1) | instskip(NEXT) | instid1(VALU_DEP_1)
	v_sub_nc_u32_e32 v12, v7, v9
	v_subrev_co_ci_u32_e64 v12, s0, s23, v12, vcc_lo
	v_add_co_u32 v13, s0, v3, 2
	s_delay_alu instid0(VALU_DEP_1) | instskip(SKIP_3) | instid1(VALU_DEP_3)
	v_add_co_ci_u32_e64 v14, s0, 0, v5, s0
	v_sub_co_u32 v15, s0, v11, s22
	v_sub_co_ci_u32_e32 v7, vcc_lo, v7, v9, vcc_lo
	v_subrev_co_ci_u32_e64 v12, s0, 0, v12, s0
	v_cmp_le_u32_e32 vcc_lo, s22, v15
	s_delay_alu instid0(VALU_DEP_3) | instskip(SKIP_1) | instid1(VALU_DEP_4)
	v_cmp_eq_u32_e64 s0, s23, v7
	v_cndmask_b32_e64 v9, 0, -1, vcc_lo
	v_cmp_le_u32_e32 vcc_lo, s23, v12
	v_cndmask_b32_e64 v15, 0, -1, vcc_lo
	v_cmp_le_u32_e32 vcc_lo, s22, v11
	v_cndmask_b32_e64 v11, 0, -1, vcc_lo
	v_cmp_le_u32_e32 vcc_lo, s23, v7
	v_cndmask_b32_e64 v16, 0, -1, vcc_lo
	v_cmp_eq_u32_e32 vcc_lo, s23, v12
	s_delay_alu instid0(VALU_DEP_2) | instskip(SKIP_3) | instid1(VALU_DEP_3)
	v_cndmask_b32_e64 v7, v16, v11, s0
	v_cndmask_b32_e32 v9, v15, v9, vcc_lo
	v_add_co_u32 v12, vcc_lo, v3, 1
	v_add_co_ci_u32_e32 v15, vcc_lo, 0, v5, vcc_lo
	v_cmp_ne_u32_e32 vcc_lo, 0, v9
	s_delay_alu instid0(VALU_DEP_2) | instskip(NEXT) | instid1(VALU_DEP_4)
	v_cndmask_b32_e32 v9, v15, v14, vcc_lo
	v_cndmask_b32_e32 v11, v12, v13, vcc_lo
	v_cmp_ne_u32_e32 vcc_lo, 0, v7
	v_xor_b32_e32 v7, s20, v17
	s_delay_alu instid0(VALU_DEP_3) | instskip(SKIP_2) | instid1(VALU_DEP_3)
	v_cndmask_b32_e32 v3, v3, v11, vcc_lo
	v_cndmask_b32_e32 v5, v5, v9, vcc_lo
	v_xor_b32_e32 v9, s21, v17
	v_xor_b32_e32 v3, v3, v7
	s_delay_alu instid0(VALU_DEP_2) | instskip(NEXT) | instid1(VALU_DEP_2)
	v_xor_b32_e32 v5, v5, v9
	v_sub_co_u32 v12, vcc_lo, v3, v7
	s_delay_alu instid0(VALU_DEP_2)
	v_sub_co_ci_u32_e32 v13, vcc_lo, v5, v9, vcc_lo
.LBB60_34:                              ;   in Loop: Header=BB60_24 Depth=2
	s_and_not1_saveexec_b32 s0, s14
	s_cbranch_execz .LBB60_36
; %bb.35:                               ;   in Loop: Header=BB60_24 Depth=2
	v_cvt_f32_u32_e32 v3, s45
	s_sub_i32 s14, 0, s45
	v_mov_b32_e32 v13, v2
	s_delay_alu instid0(VALU_DEP_2) | instskip(SKIP_2) | instid1(VALU_DEP_1)
	v_rcp_iflag_f32_e32 v3, v3
	s_waitcnt_depctr 0xfff
	v_mul_f32_e32 v3, 0x4f7ffffe, v3
	v_cvt_u32_f32_e32 v3, v3
	s_delay_alu instid0(VALU_DEP_1) | instskip(NEXT) | instid1(VALU_DEP_1)
	v_mul_lo_u32 v5, s14, v3
	v_mul_hi_u32 v5, v3, v5
	s_delay_alu instid0(VALU_DEP_1) | instskip(NEXT) | instid1(VALU_DEP_1)
	v_add_nc_u32_e32 v3, v3, v5
	v_mul_hi_u32 v3, v10, v3
	s_delay_alu instid0(VALU_DEP_1) | instskip(SKIP_1) | instid1(VALU_DEP_2)
	v_mul_lo_u32 v5, v3, s45
	v_add_nc_u32_e32 v7, 1, v3
	v_sub_nc_u32_e32 v5, v10, v5
	s_delay_alu instid0(VALU_DEP_1) | instskip(SKIP_1) | instid1(VALU_DEP_4)
	v_cmp_le_u32_e32 vcc_lo, s45, v5
	v_subrev_nc_u32_e32 v9, s45, v5
	v_cndmask_b32_e32 v3, v3, v7, vcc_lo
	s_delay_alu instid0(VALU_DEP_1) | instskip(NEXT) | instid1(VALU_DEP_3)
	v_add_nc_u32_e32 v7, 1, v3
	v_cndmask_b32_e32 v5, v5, v9, vcc_lo
	s_delay_alu instid0(VALU_DEP_1) | instskip(NEXT) | instid1(VALU_DEP_3)
	v_cmp_le_u32_e32 vcc_lo, s45, v5
	v_cndmask_b32_e32 v12, v3, v7, vcc_lo
.LBB60_36:                              ;   in Loop: Header=BB60_24 Depth=2
	s_or_b32 exec_lo, exec_lo, s0
	s_add_u32 s20, s30, s18
	s_addc_u32 s21, s1, s19
	s_add_i32 s14, s16, 4
                                        ; implicit-def: $vgpr14_vgpr15
	s_delay_alu instid0(SALU_CYCLE_1)
	s_lshl_b64 s[18:19], s[14:15], 2
	s_mov_b32 s14, exec_lo
	s_add_u32 s22, s26, s18
	s_addc_u32 s23, s27, s19
	s_clause 0x1
	s_load_b32 s47, s[22:23], 0x0
	s_load_b32 s46, s[20:21], 0x0
	s_waitcnt lgkmcnt(0)
	s_ashr_i32 s0, s47, 31
	s_delay_alu instid0(SALU_CYCLE_1) | instskip(NEXT) | instid1(VALU_DEP_1)
	v_or_b32_e32 v3, s0, v13
	v_cmpx_ne_u64_e32 0, v[2:3]
	s_xor_b32 s14, exec_lo, s14
	s_cbranch_execz .LBB60_38
; %bb.37:                               ;   in Loop: Header=BB60_24 Depth=2
	s_add_u32 s22, s47, s0
	s_mov_b32 s20, s0
	s_mov_b32 s21, s0
	s_addc_u32 s23, s0, s0
	v_ashrrev_i32_e32 v19, 31, v13
	s_xor_b64 s[22:23], s[22:23], s[20:21]
	s_delay_alu instid0(SALU_CYCLE_1) | instskip(SKIP_3) | instid1(VALU_DEP_1)
	v_cvt_f32_u32_e32 v3, s22
	v_cvt_f32_u32_e32 v5, s23
	s_sub_u32 s0, 0, s22
	s_subb_u32 s17, 0, s23
	v_fmac_f32_e32 v3, 0x4f800000, v5
	s_delay_alu instid0(VALU_DEP_1) | instskip(SKIP_2) | instid1(VALU_DEP_1)
	v_rcp_f32_e32 v3, v3
	s_waitcnt_depctr 0xfff
	v_mul_f32_e32 v3, 0x5f7ffffc, v3
	v_mul_f32_e32 v5, 0x2f800000, v3
	s_delay_alu instid0(VALU_DEP_1) | instskip(NEXT) | instid1(VALU_DEP_1)
	v_trunc_f32_e32 v5, v5
	v_fmac_f32_e32 v3, 0xcf800000, v5
	v_cvt_u32_f32_e32 v5, v5
	s_delay_alu instid0(VALU_DEP_2) | instskip(NEXT) | instid1(VALU_DEP_2)
	v_cvt_u32_f32_e32 v3, v3
	v_mul_lo_u32 v7, s0, v5
	s_delay_alu instid0(VALU_DEP_2) | instskip(SKIP_1) | instid1(VALU_DEP_2)
	v_mul_hi_u32 v9, s0, v3
	v_mul_lo_u32 v11, s17, v3
	v_add_nc_u32_e32 v7, v9, v7
	v_mul_lo_u32 v9, s0, v3
	s_delay_alu instid0(VALU_DEP_2) | instskip(NEXT) | instid1(VALU_DEP_2)
	v_add_nc_u32_e32 v7, v7, v11
	v_mul_hi_u32 v11, v3, v9
	s_delay_alu instid0(VALU_DEP_2)
	v_mul_lo_u32 v14, v3, v7
	v_mul_hi_u32 v15, v3, v7
	v_mul_hi_u32 v16, v5, v9
	v_mul_lo_u32 v9, v5, v9
	v_mul_hi_u32 v17, v5, v7
	v_mul_lo_u32 v7, v5, v7
	v_add_co_u32 v11, vcc_lo, v11, v14
	v_add_co_ci_u32_e32 v14, vcc_lo, 0, v15, vcc_lo
	s_delay_alu instid0(VALU_DEP_2) | instskip(NEXT) | instid1(VALU_DEP_2)
	v_add_co_u32 v9, vcc_lo, v11, v9
	v_add_co_ci_u32_e32 v9, vcc_lo, v14, v16, vcc_lo
	v_add_co_ci_u32_e32 v11, vcc_lo, 0, v17, vcc_lo
	s_delay_alu instid0(VALU_DEP_2) | instskip(NEXT) | instid1(VALU_DEP_2)
	v_add_co_u32 v7, vcc_lo, v9, v7
	v_add_co_ci_u32_e32 v9, vcc_lo, 0, v11, vcc_lo
	s_delay_alu instid0(VALU_DEP_2) | instskip(NEXT) | instid1(VALU_DEP_2)
	v_add_co_u32 v3, vcc_lo, v3, v7
	v_add_co_ci_u32_e32 v5, vcc_lo, v5, v9, vcc_lo
	s_delay_alu instid0(VALU_DEP_2) | instskip(SKIP_1) | instid1(VALU_DEP_3)
	v_mul_hi_u32 v7, s0, v3
	v_mul_lo_u32 v11, s17, v3
	v_mul_lo_u32 v9, s0, v5
	s_delay_alu instid0(VALU_DEP_1) | instskip(SKIP_1) | instid1(VALU_DEP_2)
	v_add_nc_u32_e32 v7, v7, v9
	v_mul_lo_u32 v9, s0, v3
	v_add_nc_u32_e32 v7, v7, v11
	s_delay_alu instid0(VALU_DEP_2) | instskip(NEXT) | instid1(VALU_DEP_2)
	v_mul_hi_u32 v11, v3, v9
	v_mul_lo_u32 v14, v3, v7
	v_mul_hi_u32 v15, v3, v7
	v_mul_hi_u32 v16, v5, v9
	v_mul_lo_u32 v9, v5, v9
	v_mul_hi_u32 v17, v5, v7
	v_mul_lo_u32 v7, v5, v7
	v_add_co_u32 v11, vcc_lo, v11, v14
	v_add_co_ci_u32_e32 v14, vcc_lo, 0, v15, vcc_lo
	s_delay_alu instid0(VALU_DEP_2) | instskip(NEXT) | instid1(VALU_DEP_2)
	v_add_co_u32 v9, vcc_lo, v11, v9
	v_add_co_ci_u32_e32 v9, vcc_lo, v14, v16, vcc_lo
	v_add_co_ci_u32_e32 v11, vcc_lo, 0, v17, vcc_lo
	v_add_co_u32 v14, vcc_lo, v12, v19
	v_add_co_ci_u32_e32 v13, vcc_lo, v13, v19, vcc_lo
	s_delay_alu instid0(VALU_DEP_4) | instskip(NEXT) | instid1(VALU_DEP_4)
	v_add_co_u32 v7, vcc_lo, v9, v7
	v_add_co_ci_u32_e32 v9, vcc_lo, 0, v11, vcc_lo
	s_delay_alu instid0(VALU_DEP_4) | instskip(NEXT) | instid1(VALU_DEP_3)
	v_xor_b32_e32 v11, v14, v19
	v_add_co_u32 v3, vcc_lo, v3, v7
	s_delay_alu instid0(VALU_DEP_3) | instskip(SKIP_1) | instid1(VALU_DEP_3)
	v_add_co_ci_u32_e32 v5, vcc_lo, v5, v9, vcc_lo
	v_xor_b32_e32 v7, v13, v19
	v_mul_hi_u32 v9, v11, v3
	s_delay_alu instid0(VALU_DEP_3) | instskip(NEXT) | instid1(VALU_DEP_3)
	v_mad_u64_u32 v[13:14], null, v11, v5, 0
	v_mad_u64_u32 v[15:16], null, v7, v3, 0
	;; [unrolled: 1-line block ×3, first 2 shown]
	s_delay_alu instid0(VALU_DEP_3) | instskip(NEXT) | instid1(VALU_DEP_4)
	v_add_co_u32 v3, vcc_lo, v9, v13
	v_add_co_ci_u32_e32 v5, vcc_lo, 0, v14, vcc_lo
	s_delay_alu instid0(VALU_DEP_2) | instskip(NEXT) | instid1(VALU_DEP_2)
	v_add_co_u32 v3, vcc_lo, v3, v15
	v_add_co_ci_u32_e32 v3, vcc_lo, v5, v16, vcc_lo
	v_add_co_ci_u32_e32 v5, vcc_lo, 0, v18, vcc_lo
	s_delay_alu instid0(VALU_DEP_2) | instskip(NEXT) | instid1(VALU_DEP_2)
	v_add_co_u32 v3, vcc_lo, v3, v17
	v_add_co_ci_u32_e32 v5, vcc_lo, 0, v5, vcc_lo
	s_delay_alu instid0(VALU_DEP_2) | instskip(SKIP_1) | instid1(VALU_DEP_3)
	v_mul_lo_u32 v9, s23, v3
	v_mad_u64_u32 v[13:14], null, s22, v3, 0
	v_mul_lo_u32 v15, s22, v5
	s_delay_alu instid0(VALU_DEP_2) | instskip(NEXT) | instid1(VALU_DEP_2)
	v_sub_co_u32 v11, vcc_lo, v11, v13
	v_add3_u32 v9, v14, v15, v9
	s_delay_alu instid0(VALU_DEP_1) | instskip(NEXT) | instid1(VALU_DEP_1)
	v_sub_nc_u32_e32 v14, v7, v9
	v_subrev_co_ci_u32_e64 v13, s0, s23, v14, vcc_lo
	v_add_co_u32 v14, s0, v3, 2
	s_delay_alu instid0(VALU_DEP_1) | instskip(SKIP_3) | instid1(VALU_DEP_3)
	v_add_co_ci_u32_e64 v15, s0, 0, v5, s0
	v_sub_co_u32 v16, s0, v11, s22
	v_sub_co_ci_u32_e32 v7, vcc_lo, v7, v9, vcc_lo
	v_subrev_co_ci_u32_e64 v13, s0, 0, v13, s0
	v_cmp_le_u32_e32 vcc_lo, s22, v16
	s_delay_alu instid0(VALU_DEP_3) | instskip(SKIP_1) | instid1(VALU_DEP_4)
	v_cmp_eq_u32_e64 s0, s23, v7
	v_cndmask_b32_e64 v9, 0, -1, vcc_lo
	v_cmp_le_u32_e32 vcc_lo, s23, v13
	v_cndmask_b32_e64 v16, 0, -1, vcc_lo
	v_cmp_le_u32_e32 vcc_lo, s22, v11
	;; [unrolled: 2-line block ×3, first 2 shown]
	v_cndmask_b32_e64 v17, 0, -1, vcc_lo
	v_cmp_eq_u32_e32 vcc_lo, s23, v13
	s_delay_alu instid0(VALU_DEP_2) | instskip(SKIP_3) | instid1(VALU_DEP_3)
	v_cndmask_b32_e64 v7, v17, v11, s0
	v_cndmask_b32_e32 v9, v16, v9, vcc_lo
	v_add_co_u32 v13, vcc_lo, v3, 1
	v_add_co_ci_u32_e32 v16, vcc_lo, 0, v5, vcc_lo
	v_cmp_ne_u32_e32 vcc_lo, 0, v9
	s_delay_alu instid0(VALU_DEP_2) | instskip(NEXT) | instid1(VALU_DEP_4)
	v_cndmask_b32_e32 v9, v16, v15, vcc_lo
	v_cndmask_b32_e32 v11, v13, v14, vcc_lo
	v_cmp_ne_u32_e32 vcc_lo, 0, v7
	v_xor_b32_e32 v7, s20, v19
	s_delay_alu instid0(VALU_DEP_3) | instskip(SKIP_2) | instid1(VALU_DEP_3)
	v_cndmask_b32_e32 v3, v3, v11, vcc_lo
	v_cndmask_b32_e32 v5, v5, v9, vcc_lo
	v_xor_b32_e32 v9, s21, v19
	v_xor_b32_e32 v3, v3, v7
	s_delay_alu instid0(VALU_DEP_2) | instskip(NEXT) | instid1(VALU_DEP_2)
	v_xor_b32_e32 v5, v5, v9
	v_sub_co_u32 v14, vcc_lo, v3, v7
	s_delay_alu instid0(VALU_DEP_2)
	v_sub_co_ci_u32_e32 v15, vcc_lo, v5, v9, vcc_lo
.LBB60_38:                              ;   in Loop: Header=BB60_24 Depth=2
	s_and_not1_saveexec_b32 s0, s14
	s_cbranch_execz .LBB60_40
; %bb.39:                               ;   in Loop: Header=BB60_24 Depth=2
	v_cvt_f32_u32_e32 v3, s47
	s_sub_i32 s14, 0, s47
	v_mov_b32_e32 v15, v2
	s_delay_alu instid0(VALU_DEP_2) | instskip(SKIP_2) | instid1(VALU_DEP_1)
	v_rcp_iflag_f32_e32 v3, v3
	s_waitcnt_depctr 0xfff
	v_mul_f32_e32 v3, 0x4f7ffffe, v3
	v_cvt_u32_f32_e32 v3, v3
	s_delay_alu instid0(VALU_DEP_1) | instskip(NEXT) | instid1(VALU_DEP_1)
	v_mul_lo_u32 v5, s14, v3
	v_mul_hi_u32 v5, v3, v5
	s_delay_alu instid0(VALU_DEP_1) | instskip(NEXT) | instid1(VALU_DEP_1)
	v_add_nc_u32_e32 v3, v3, v5
	v_mul_hi_u32 v3, v12, v3
	s_delay_alu instid0(VALU_DEP_1) | instskip(SKIP_1) | instid1(VALU_DEP_2)
	v_mul_lo_u32 v5, v3, s47
	v_add_nc_u32_e32 v7, 1, v3
	v_sub_nc_u32_e32 v5, v12, v5
	s_delay_alu instid0(VALU_DEP_1) | instskip(SKIP_1) | instid1(VALU_DEP_4)
	v_cmp_le_u32_e32 vcc_lo, s47, v5
	v_subrev_nc_u32_e32 v9, s47, v5
	v_cndmask_b32_e32 v3, v3, v7, vcc_lo
	s_delay_alu instid0(VALU_DEP_1) | instskip(NEXT) | instid1(VALU_DEP_3)
	v_add_nc_u32_e32 v7, 1, v3
	v_cndmask_b32_e32 v5, v5, v9, vcc_lo
	s_delay_alu instid0(VALU_DEP_1) | instskip(NEXT) | instid1(VALU_DEP_3)
	v_cmp_le_u32_e32 vcc_lo, s47, v5
	v_cndmask_b32_e32 v14, v3, v7, vcc_lo
.LBB60_40:                              ;   in Loop: Header=BB60_24 Depth=2
	s_or_b32 exec_lo, exec_lo, s0
	s_add_u32 s20, s30, s18
	s_addc_u32 s21, s1, s19
	s_add_i32 s14, s16, 3
                                        ; implicit-def: $vgpr16_vgpr17
	s_delay_alu instid0(SALU_CYCLE_1)
	s_lshl_b64 s[18:19], s[14:15], 2
	s_mov_b32 s14, exec_lo
	s_add_u32 s22, s26, s18
	s_addc_u32 s23, s27, s19
	s_clause 0x1
	s_load_b32 s49, s[22:23], 0x0
	s_load_b32 s48, s[20:21], 0x0
	s_waitcnt lgkmcnt(0)
	s_ashr_i32 s0, s49, 31
	s_delay_alu instid0(SALU_CYCLE_1) | instskip(NEXT) | instid1(VALU_DEP_1)
	v_or_b32_e32 v3, s0, v15
	v_cmpx_ne_u64_e32 0, v[2:3]
	s_xor_b32 s14, exec_lo, s14
	s_cbranch_execz .LBB60_42
; %bb.41:                               ;   in Loop: Header=BB60_24 Depth=2
	s_add_u32 s22, s49, s0
	s_mov_b32 s20, s0
	s_mov_b32 s21, s0
	s_addc_u32 s23, s0, s0
	v_ashrrev_i32_e32 v21, 31, v15
	s_xor_b64 s[22:23], s[22:23], s[20:21]
	s_delay_alu instid0(SALU_CYCLE_1) | instskip(SKIP_3) | instid1(VALU_DEP_1)
	v_cvt_f32_u32_e32 v3, s22
	v_cvt_f32_u32_e32 v5, s23
	s_sub_u32 s0, 0, s22
	s_subb_u32 s17, 0, s23
	v_fmac_f32_e32 v3, 0x4f800000, v5
	s_delay_alu instid0(VALU_DEP_1) | instskip(SKIP_2) | instid1(VALU_DEP_1)
	v_rcp_f32_e32 v3, v3
	s_waitcnt_depctr 0xfff
	v_mul_f32_e32 v3, 0x5f7ffffc, v3
	v_mul_f32_e32 v5, 0x2f800000, v3
	s_delay_alu instid0(VALU_DEP_1) | instskip(NEXT) | instid1(VALU_DEP_1)
	v_trunc_f32_e32 v5, v5
	v_fmac_f32_e32 v3, 0xcf800000, v5
	v_cvt_u32_f32_e32 v5, v5
	s_delay_alu instid0(VALU_DEP_2) | instskip(NEXT) | instid1(VALU_DEP_2)
	v_cvt_u32_f32_e32 v3, v3
	v_mul_lo_u32 v7, s0, v5
	s_delay_alu instid0(VALU_DEP_2) | instskip(SKIP_1) | instid1(VALU_DEP_2)
	v_mul_hi_u32 v9, s0, v3
	v_mul_lo_u32 v11, s17, v3
	v_add_nc_u32_e32 v7, v9, v7
	v_mul_lo_u32 v9, s0, v3
	s_delay_alu instid0(VALU_DEP_2) | instskip(NEXT) | instid1(VALU_DEP_2)
	v_add_nc_u32_e32 v7, v7, v11
	v_mul_hi_u32 v11, v3, v9
	s_delay_alu instid0(VALU_DEP_2)
	v_mul_lo_u32 v13, v3, v7
	v_mul_hi_u32 v16, v3, v7
	v_mul_hi_u32 v17, v5, v9
	v_mul_lo_u32 v9, v5, v9
	v_mul_hi_u32 v18, v5, v7
	v_mul_lo_u32 v7, v5, v7
	v_add_co_u32 v11, vcc_lo, v11, v13
	v_add_co_ci_u32_e32 v13, vcc_lo, 0, v16, vcc_lo
	s_delay_alu instid0(VALU_DEP_2) | instskip(NEXT) | instid1(VALU_DEP_2)
	v_add_co_u32 v9, vcc_lo, v11, v9
	v_add_co_ci_u32_e32 v9, vcc_lo, v13, v17, vcc_lo
	v_add_co_ci_u32_e32 v11, vcc_lo, 0, v18, vcc_lo
	s_delay_alu instid0(VALU_DEP_2) | instskip(NEXT) | instid1(VALU_DEP_2)
	v_add_co_u32 v7, vcc_lo, v9, v7
	v_add_co_ci_u32_e32 v9, vcc_lo, 0, v11, vcc_lo
	s_delay_alu instid0(VALU_DEP_2) | instskip(NEXT) | instid1(VALU_DEP_2)
	v_add_co_u32 v3, vcc_lo, v3, v7
	v_add_co_ci_u32_e32 v5, vcc_lo, v5, v9, vcc_lo
	s_delay_alu instid0(VALU_DEP_2) | instskip(SKIP_1) | instid1(VALU_DEP_3)
	v_mul_hi_u32 v7, s0, v3
	v_mul_lo_u32 v11, s17, v3
	v_mul_lo_u32 v9, s0, v5
	s_delay_alu instid0(VALU_DEP_1) | instskip(SKIP_1) | instid1(VALU_DEP_2)
	v_add_nc_u32_e32 v7, v7, v9
	v_mul_lo_u32 v9, s0, v3
	v_add_nc_u32_e32 v7, v7, v11
	s_delay_alu instid0(VALU_DEP_2) | instskip(NEXT) | instid1(VALU_DEP_2)
	v_mul_hi_u32 v11, v3, v9
	v_mul_lo_u32 v13, v3, v7
	v_mul_hi_u32 v16, v3, v7
	v_mul_hi_u32 v17, v5, v9
	v_mul_lo_u32 v9, v5, v9
	v_mul_hi_u32 v18, v5, v7
	v_mul_lo_u32 v7, v5, v7
	v_add_co_u32 v11, vcc_lo, v11, v13
	v_add_co_ci_u32_e32 v13, vcc_lo, 0, v16, vcc_lo
	s_delay_alu instid0(VALU_DEP_2) | instskip(NEXT) | instid1(VALU_DEP_2)
	v_add_co_u32 v9, vcc_lo, v11, v9
	v_add_co_ci_u32_e32 v9, vcc_lo, v13, v17, vcc_lo
	v_add_co_ci_u32_e32 v11, vcc_lo, 0, v18, vcc_lo
	v_add_co_u32 v13, vcc_lo, v14, v21
	v_add_co_ci_u32_e32 v15, vcc_lo, v15, v21, vcc_lo
	s_delay_alu instid0(VALU_DEP_4) | instskip(NEXT) | instid1(VALU_DEP_4)
	v_add_co_u32 v7, vcc_lo, v9, v7
	v_add_co_ci_u32_e32 v9, vcc_lo, 0, v11, vcc_lo
	s_delay_alu instid0(VALU_DEP_4) | instskip(NEXT) | instid1(VALU_DEP_3)
	v_xor_b32_e32 v11, v13, v21
	v_add_co_u32 v3, vcc_lo, v3, v7
	s_delay_alu instid0(VALU_DEP_3) | instskip(SKIP_1) | instid1(VALU_DEP_3)
	v_add_co_ci_u32_e32 v5, vcc_lo, v5, v9, vcc_lo
	v_xor_b32_e32 v7, v15, v21
	v_mul_hi_u32 v9, v11, v3
	s_delay_alu instid0(VALU_DEP_3) | instskip(NEXT) | instid1(VALU_DEP_3)
	v_mad_u64_u32 v[15:16], null, v11, v5, 0
	v_mad_u64_u32 v[17:18], null, v7, v3, 0
	;; [unrolled: 1-line block ×3, first 2 shown]
	s_delay_alu instid0(VALU_DEP_3) | instskip(NEXT) | instid1(VALU_DEP_4)
	v_add_co_u32 v3, vcc_lo, v9, v15
	v_add_co_ci_u32_e32 v5, vcc_lo, 0, v16, vcc_lo
	s_delay_alu instid0(VALU_DEP_2) | instskip(NEXT) | instid1(VALU_DEP_2)
	v_add_co_u32 v3, vcc_lo, v3, v17
	v_add_co_ci_u32_e32 v3, vcc_lo, v5, v18, vcc_lo
	v_add_co_ci_u32_e32 v5, vcc_lo, 0, v20, vcc_lo
	s_delay_alu instid0(VALU_DEP_2) | instskip(NEXT) | instid1(VALU_DEP_2)
	v_add_co_u32 v3, vcc_lo, v3, v19
	v_add_co_ci_u32_e32 v5, vcc_lo, 0, v5, vcc_lo
	s_delay_alu instid0(VALU_DEP_2) | instskip(SKIP_1) | instid1(VALU_DEP_3)
	v_mul_lo_u32 v9, s23, v3
	v_mad_u64_u32 v[15:16], null, s22, v3, 0
	v_mul_lo_u32 v13, s22, v5
	s_delay_alu instid0(VALU_DEP_2) | instskip(NEXT) | instid1(VALU_DEP_2)
	v_sub_co_u32 v11, vcc_lo, v11, v15
	v_add3_u32 v9, v16, v13, v9
	s_delay_alu instid0(VALU_DEP_1) | instskip(NEXT) | instid1(VALU_DEP_1)
	v_sub_nc_u32_e32 v13, v7, v9
	v_subrev_co_ci_u32_e64 v13, s0, s23, v13, vcc_lo
	v_add_co_u32 v15, s0, v3, 2
	s_delay_alu instid0(VALU_DEP_1) | instskip(SKIP_3) | instid1(VALU_DEP_3)
	v_add_co_ci_u32_e64 v16, s0, 0, v5, s0
	v_sub_co_u32 v17, s0, v11, s22
	v_sub_co_ci_u32_e32 v7, vcc_lo, v7, v9, vcc_lo
	v_subrev_co_ci_u32_e64 v13, s0, 0, v13, s0
	v_cmp_le_u32_e32 vcc_lo, s22, v17
	s_delay_alu instid0(VALU_DEP_3) | instskip(SKIP_1) | instid1(VALU_DEP_4)
	v_cmp_eq_u32_e64 s0, s23, v7
	v_cndmask_b32_e64 v9, 0, -1, vcc_lo
	v_cmp_le_u32_e32 vcc_lo, s23, v13
	v_cndmask_b32_e64 v17, 0, -1, vcc_lo
	v_cmp_le_u32_e32 vcc_lo, s22, v11
	;; [unrolled: 2-line block ×3, first 2 shown]
	v_cndmask_b32_e64 v18, 0, -1, vcc_lo
	v_cmp_eq_u32_e32 vcc_lo, s23, v13
	s_delay_alu instid0(VALU_DEP_2) | instskip(SKIP_3) | instid1(VALU_DEP_3)
	v_cndmask_b32_e64 v7, v18, v11, s0
	v_cndmask_b32_e32 v9, v17, v9, vcc_lo
	v_add_co_u32 v13, vcc_lo, v3, 1
	v_add_co_ci_u32_e32 v17, vcc_lo, 0, v5, vcc_lo
	v_cmp_ne_u32_e32 vcc_lo, 0, v9
	s_delay_alu instid0(VALU_DEP_2) | instskip(NEXT) | instid1(VALU_DEP_4)
	v_cndmask_b32_e32 v9, v17, v16, vcc_lo
	v_cndmask_b32_e32 v11, v13, v15, vcc_lo
	v_cmp_ne_u32_e32 vcc_lo, 0, v7
	v_xor_b32_e32 v7, s20, v21
	s_delay_alu instid0(VALU_DEP_3) | instskip(SKIP_2) | instid1(VALU_DEP_3)
	v_cndmask_b32_e32 v3, v3, v11, vcc_lo
	v_cndmask_b32_e32 v5, v5, v9, vcc_lo
	v_xor_b32_e32 v9, s21, v21
	v_xor_b32_e32 v3, v3, v7
	s_delay_alu instid0(VALU_DEP_2) | instskip(NEXT) | instid1(VALU_DEP_2)
	v_xor_b32_e32 v5, v5, v9
	v_sub_co_u32 v16, vcc_lo, v3, v7
	s_delay_alu instid0(VALU_DEP_2)
	v_sub_co_ci_u32_e32 v17, vcc_lo, v5, v9, vcc_lo
.LBB60_42:                              ;   in Loop: Header=BB60_24 Depth=2
	s_and_not1_saveexec_b32 s0, s14
	s_cbranch_execz .LBB60_44
; %bb.43:                               ;   in Loop: Header=BB60_24 Depth=2
	v_cvt_f32_u32_e32 v3, s49
	s_sub_i32 s14, 0, s49
	v_mov_b32_e32 v17, v2
	s_delay_alu instid0(VALU_DEP_2) | instskip(SKIP_2) | instid1(VALU_DEP_1)
	v_rcp_iflag_f32_e32 v3, v3
	s_waitcnt_depctr 0xfff
	v_mul_f32_e32 v3, 0x4f7ffffe, v3
	v_cvt_u32_f32_e32 v3, v3
	s_delay_alu instid0(VALU_DEP_1) | instskip(NEXT) | instid1(VALU_DEP_1)
	v_mul_lo_u32 v5, s14, v3
	v_mul_hi_u32 v5, v3, v5
	s_delay_alu instid0(VALU_DEP_1) | instskip(NEXT) | instid1(VALU_DEP_1)
	v_add_nc_u32_e32 v3, v3, v5
	v_mul_hi_u32 v3, v14, v3
	s_delay_alu instid0(VALU_DEP_1) | instskip(SKIP_1) | instid1(VALU_DEP_2)
	v_mul_lo_u32 v5, v3, s49
	v_add_nc_u32_e32 v7, 1, v3
	v_sub_nc_u32_e32 v5, v14, v5
	s_delay_alu instid0(VALU_DEP_1) | instskip(SKIP_1) | instid1(VALU_DEP_4)
	v_cmp_le_u32_e32 vcc_lo, s49, v5
	v_subrev_nc_u32_e32 v9, s49, v5
	v_cndmask_b32_e32 v3, v3, v7, vcc_lo
	s_delay_alu instid0(VALU_DEP_1) | instskip(NEXT) | instid1(VALU_DEP_3)
	v_add_nc_u32_e32 v7, 1, v3
	v_cndmask_b32_e32 v5, v5, v9, vcc_lo
	s_delay_alu instid0(VALU_DEP_1) | instskip(NEXT) | instid1(VALU_DEP_3)
	v_cmp_le_u32_e32 vcc_lo, s49, v5
	v_cndmask_b32_e32 v16, v3, v7, vcc_lo
.LBB60_44:                              ;   in Loop: Header=BB60_24 Depth=2
	s_or_b32 exec_lo, exec_lo, s0
	s_add_u32 s20, s30, s18
	s_addc_u32 s21, s1, s19
	s_add_i32 s14, s16, 2
                                        ; implicit-def: $vgpr18_vgpr19
	s_delay_alu instid0(SALU_CYCLE_1)
	s_lshl_b64 s[18:19], s[14:15], 2
	s_mov_b32 s14, exec_lo
	s_add_u32 s22, s26, s18
	s_addc_u32 s23, s27, s19
	s_clause 0x1
	s_load_b32 s51, s[22:23], 0x0
	s_load_b32 s50, s[20:21], 0x0
	s_waitcnt lgkmcnt(0)
	s_ashr_i32 s0, s51, 31
	s_delay_alu instid0(SALU_CYCLE_1) | instskip(NEXT) | instid1(VALU_DEP_1)
	v_or_b32_e32 v3, s0, v17
	v_cmpx_ne_u64_e32 0, v[2:3]
	s_xor_b32 s14, exec_lo, s14
	s_cbranch_execz .LBB60_46
; %bb.45:                               ;   in Loop: Header=BB60_24 Depth=2
	s_add_u32 s22, s51, s0
	s_mov_b32 s20, s0
	s_mov_b32 s21, s0
	s_addc_u32 s23, s0, s0
	v_ashrrev_i32_e32 v23, 31, v17
	s_xor_b64 s[22:23], s[22:23], s[20:21]
	s_delay_alu instid0(SALU_CYCLE_1) | instskip(SKIP_3) | instid1(VALU_DEP_1)
	v_cvt_f32_u32_e32 v3, s22
	v_cvt_f32_u32_e32 v5, s23
	s_sub_u32 s0, 0, s22
	s_subb_u32 s17, 0, s23
	v_fmac_f32_e32 v3, 0x4f800000, v5
	s_delay_alu instid0(VALU_DEP_1) | instskip(SKIP_2) | instid1(VALU_DEP_1)
	v_rcp_f32_e32 v3, v3
	s_waitcnt_depctr 0xfff
	v_mul_f32_e32 v3, 0x5f7ffffc, v3
	v_mul_f32_e32 v5, 0x2f800000, v3
	s_delay_alu instid0(VALU_DEP_1) | instskip(NEXT) | instid1(VALU_DEP_1)
	v_trunc_f32_e32 v5, v5
	v_fmac_f32_e32 v3, 0xcf800000, v5
	v_cvt_u32_f32_e32 v5, v5
	s_delay_alu instid0(VALU_DEP_2) | instskip(NEXT) | instid1(VALU_DEP_2)
	v_cvt_u32_f32_e32 v3, v3
	v_mul_lo_u32 v7, s0, v5
	s_delay_alu instid0(VALU_DEP_2) | instskip(SKIP_1) | instid1(VALU_DEP_2)
	v_mul_hi_u32 v9, s0, v3
	v_mul_lo_u32 v11, s17, v3
	v_add_nc_u32_e32 v7, v9, v7
	v_mul_lo_u32 v9, s0, v3
	s_delay_alu instid0(VALU_DEP_2) | instskip(NEXT) | instid1(VALU_DEP_2)
	v_add_nc_u32_e32 v7, v7, v11
	v_mul_hi_u32 v11, v3, v9
	s_delay_alu instid0(VALU_DEP_2)
	v_mul_lo_u32 v13, v3, v7
	v_mul_hi_u32 v15, v3, v7
	v_mul_hi_u32 v18, v5, v9
	v_mul_lo_u32 v9, v5, v9
	v_mul_hi_u32 v19, v5, v7
	v_mul_lo_u32 v7, v5, v7
	v_add_co_u32 v11, vcc_lo, v11, v13
	v_add_co_ci_u32_e32 v13, vcc_lo, 0, v15, vcc_lo
	s_delay_alu instid0(VALU_DEP_2) | instskip(NEXT) | instid1(VALU_DEP_2)
	v_add_co_u32 v9, vcc_lo, v11, v9
	v_add_co_ci_u32_e32 v9, vcc_lo, v13, v18, vcc_lo
	v_add_co_ci_u32_e32 v11, vcc_lo, 0, v19, vcc_lo
	s_delay_alu instid0(VALU_DEP_2) | instskip(NEXT) | instid1(VALU_DEP_2)
	v_add_co_u32 v7, vcc_lo, v9, v7
	v_add_co_ci_u32_e32 v9, vcc_lo, 0, v11, vcc_lo
	s_delay_alu instid0(VALU_DEP_2) | instskip(NEXT) | instid1(VALU_DEP_2)
	v_add_co_u32 v3, vcc_lo, v3, v7
	v_add_co_ci_u32_e32 v5, vcc_lo, v5, v9, vcc_lo
	s_delay_alu instid0(VALU_DEP_2) | instskip(SKIP_1) | instid1(VALU_DEP_3)
	v_mul_hi_u32 v7, s0, v3
	v_mul_lo_u32 v11, s17, v3
	v_mul_lo_u32 v9, s0, v5
	s_delay_alu instid0(VALU_DEP_1) | instskip(SKIP_1) | instid1(VALU_DEP_2)
	v_add_nc_u32_e32 v7, v7, v9
	v_mul_lo_u32 v9, s0, v3
	v_add_nc_u32_e32 v7, v7, v11
	s_delay_alu instid0(VALU_DEP_2) | instskip(NEXT) | instid1(VALU_DEP_2)
	v_mul_hi_u32 v11, v3, v9
	v_mul_lo_u32 v13, v3, v7
	v_mul_hi_u32 v15, v3, v7
	v_mul_hi_u32 v18, v5, v9
	v_mul_lo_u32 v9, v5, v9
	v_mul_hi_u32 v19, v5, v7
	v_mul_lo_u32 v7, v5, v7
	v_add_co_u32 v11, vcc_lo, v11, v13
	v_add_co_ci_u32_e32 v13, vcc_lo, 0, v15, vcc_lo
	s_delay_alu instid0(VALU_DEP_2) | instskip(NEXT) | instid1(VALU_DEP_2)
	v_add_co_u32 v9, vcc_lo, v11, v9
	v_add_co_ci_u32_e32 v9, vcc_lo, v13, v18, vcc_lo
	v_add_co_ci_u32_e32 v11, vcc_lo, 0, v19, vcc_lo
	v_add_co_u32 v13, vcc_lo, v16, v23
	v_add_co_ci_u32_e32 v15, vcc_lo, v17, v23, vcc_lo
	s_delay_alu instid0(VALU_DEP_4) | instskip(NEXT) | instid1(VALU_DEP_4)
	v_add_co_u32 v7, vcc_lo, v9, v7
	v_add_co_ci_u32_e32 v9, vcc_lo, 0, v11, vcc_lo
	s_delay_alu instid0(VALU_DEP_4) | instskip(NEXT) | instid1(VALU_DEP_3)
	v_xor_b32_e32 v11, v13, v23
	v_add_co_u32 v3, vcc_lo, v3, v7
	s_delay_alu instid0(VALU_DEP_3) | instskip(SKIP_1) | instid1(VALU_DEP_3)
	v_add_co_ci_u32_e32 v5, vcc_lo, v5, v9, vcc_lo
	v_xor_b32_e32 v7, v15, v23
	v_mul_hi_u32 v9, v11, v3
	s_delay_alu instid0(VALU_DEP_3) | instskip(NEXT) | instid1(VALU_DEP_3)
	v_mad_u64_u32 v[17:18], null, v11, v5, 0
	v_mad_u64_u32 v[19:20], null, v7, v3, 0
	;; [unrolled: 1-line block ×3, first 2 shown]
	s_delay_alu instid0(VALU_DEP_3) | instskip(NEXT) | instid1(VALU_DEP_4)
	v_add_co_u32 v3, vcc_lo, v9, v17
	v_add_co_ci_u32_e32 v5, vcc_lo, 0, v18, vcc_lo
	s_delay_alu instid0(VALU_DEP_2) | instskip(NEXT) | instid1(VALU_DEP_2)
	v_add_co_u32 v3, vcc_lo, v3, v19
	v_add_co_ci_u32_e32 v3, vcc_lo, v5, v20, vcc_lo
	v_add_co_ci_u32_e32 v5, vcc_lo, 0, v22, vcc_lo
	s_delay_alu instid0(VALU_DEP_2) | instskip(NEXT) | instid1(VALU_DEP_2)
	v_add_co_u32 v3, vcc_lo, v3, v21
	v_add_co_ci_u32_e32 v5, vcc_lo, 0, v5, vcc_lo
	s_delay_alu instid0(VALU_DEP_2) | instskip(SKIP_1) | instid1(VALU_DEP_3)
	v_mul_lo_u32 v9, s23, v3
	v_mad_u64_u32 v[17:18], null, s22, v3, 0
	v_mul_lo_u32 v13, s22, v5
	s_delay_alu instid0(VALU_DEP_2) | instskip(NEXT) | instid1(VALU_DEP_2)
	v_sub_co_u32 v11, vcc_lo, v11, v17
	v_add3_u32 v9, v18, v13, v9
	s_delay_alu instid0(VALU_DEP_1) | instskip(NEXT) | instid1(VALU_DEP_1)
	v_sub_nc_u32_e32 v13, v7, v9
	v_subrev_co_ci_u32_e64 v13, s0, s23, v13, vcc_lo
	v_add_co_u32 v15, s0, v3, 2
	s_delay_alu instid0(VALU_DEP_1) | instskip(SKIP_3) | instid1(VALU_DEP_3)
	v_add_co_ci_u32_e64 v17, s0, 0, v5, s0
	v_sub_co_u32 v18, s0, v11, s22
	v_sub_co_ci_u32_e32 v7, vcc_lo, v7, v9, vcc_lo
	v_subrev_co_ci_u32_e64 v13, s0, 0, v13, s0
	v_cmp_le_u32_e32 vcc_lo, s22, v18
	s_delay_alu instid0(VALU_DEP_3) | instskip(SKIP_1) | instid1(VALU_DEP_4)
	v_cmp_eq_u32_e64 s0, s23, v7
	v_cndmask_b32_e64 v9, 0, -1, vcc_lo
	v_cmp_le_u32_e32 vcc_lo, s23, v13
	v_cndmask_b32_e64 v18, 0, -1, vcc_lo
	v_cmp_le_u32_e32 vcc_lo, s22, v11
	;; [unrolled: 2-line block ×3, first 2 shown]
	v_cndmask_b32_e64 v19, 0, -1, vcc_lo
	v_cmp_eq_u32_e32 vcc_lo, s23, v13
	s_delay_alu instid0(VALU_DEP_2) | instskip(SKIP_3) | instid1(VALU_DEP_3)
	v_cndmask_b32_e64 v7, v19, v11, s0
	v_cndmask_b32_e32 v9, v18, v9, vcc_lo
	v_add_co_u32 v13, vcc_lo, v3, 1
	v_add_co_ci_u32_e32 v18, vcc_lo, 0, v5, vcc_lo
	v_cmp_ne_u32_e32 vcc_lo, 0, v9
	s_delay_alu instid0(VALU_DEP_2) | instskip(NEXT) | instid1(VALU_DEP_4)
	v_cndmask_b32_e32 v9, v18, v17, vcc_lo
	v_cndmask_b32_e32 v11, v13, v15, vcc_lo
	v_cmp_ne_u32_e32 vcc_lo, 0, v7
	v_xor_b32_e32 v7, s20, v23
	s_delay_alu instid0(VALU_DEP_3) | instskip(SKIP_2) | instid1(VALU_DEP_3)
	v_cndmask_b32_e32 v3, v3, v11, vcc_lo
	v_cndmask_b32_e32 v5, v5, v9, vcc_lo
	v_xor_b32_e32 v9, s21, v23
	v_xor_b32_e32 v3, v3, v7
	s_delay_alu instid0(VALU_DEP_2) | instskip(NEXT) | instid1(VALU_DEP_2)
	v_xor_b32_e32 v5, v5, v9
	v_sub_co_u32 v18, vcc_lo, v3, v7
	s_delay_alu instid0(VALU_DEP_2)
	v_sub_co_ci_u32_e32 v19, vcc_lo, v5, v9, vcc_lo
.LBB60_46:                              ;   in Loop: Header=BB60_24 Depth=2
	s_and_not1_saveexec_b32 s0, s14
	s_cbranch_execz .LBB60_48
; %bb.47:                               ;   in Loop: Header=BB60_24 Depth=2
	v_cvt_f32_u32_e32 v3, s51
	s_sub_i32 s14, 0, s51
	v_mov_b32_e32 v19, v2
	s_delay_alu instid0(VALU_DEP_2) | instskip(SKIP_2) | instid1(VALU_DEP_1)
	v_rcp_iflag_f32_e32 v3, v3
	s_waitcnt_depctr 0xfff
	v_mul_f32_e32 v3, 0x4f7ffffe, v3
	v_cvt_u32_f32_e32 v3, v3
	s_delay_alu instid0(VALU_DEP_1) | instskip(NEXT) | instid1(VALU_DEP_1)
	v_mul_lo_u32 v5, s14, v3
	v_mul_hi_u32 v5, v3, v5
	s_delay_alu instid0(VALU_DEP_1) | instskip(NEXT) | instid1(VALU_DEP_1)
	v_add_nc_u32_e32 v3, v3, v5
	v_mul_hi_u32 v3, v16, v3
	s_delay_alu instid0(VALU_DEP_1) | instskip(SKIP_1) | instid1(VALU_DEP_2)
	v_mul_lo_u32 v5, v3, s51
	v_add_nc_u32_e32 v7, 1, v3
	v_sub_nc_u32_e32 v5, v16, v5
	s_delay_alu instid0(VALU_DEP_1) | instskip(SKIP_1) | instid1(VALU_DEP_4)
	v_cmp_le_u32_e32 vcc_lo, s51, v5
	v_subrev_nc_u32_e32 v9, s51, v5
	v_cndmask_b32_e32 v3, v3, v7, vcc_lo
	s_delay_alu instid0(VALU_DEP_1) | instskip(NEXT) | instid1(VALU_DEP_3)
	v_add_nc_u32_e32 v7, 1, v3
	v_cndmask_b32_e32 v5, v5, v9, vcc_lo
	s_delay_alu instid0(VALU_DEP_1) | instskip(NEXT) | instid1(VALU_DEP_3)
	v_cmp_le_u32_e32 vcc_lo, s51, v5
	v_cndmask_b32_e32 v18, v3, v7, vcc_lo
.LBB60_48:                              ;   in Loop: Header=BB60_24 Depth=2
	s_or_b32 exec_lo, exec_lo, s0
	s_add_u32 s20, s30, s18
	s_addc_u32 s21, s1, s19
	s_add_i32 s14, s16, 1
	s_mov_b32 s17, exec_lo
	s_lshl_b64 s[18:19], s[14:15], 2
                                        ; implicit-def: $vgpr20_vgpr21
	s_delay_alu instid0(SALU_CYCLE_1)
	s_add_u32 s22, s26, s18
	s_addc_u32 s23, s27, s19
	s_clause 0x1
	s_load_b32 s52, s[22:23], 0x0
	s_load_b32 s14, s[20:21], 0x0
	s_waitcnt lgkmcnt(0)
	s_ashr_i32 s0, s52, 31
	s_delay_alu instid0(SALU_CYCLE_1) | instskip(NEXT) | instid1(VALU_DEP_1)
	v_or_b32_e32 v3, s0, v19
	v_cmpx_ne_u64_e32 0, v[2:3]
	s_xor_b32 s17, exec_lo, s17
	s_cbranch_execz .LBB60_50
; %bb.49:                               ;   in Loop: Header=BB60_24 Depth=2
	s_add_u32 s22, s52, s0
	s_mov_b32 s20, s0
	s_mov_b32 s21, s0
	s_addc_u32 s23, s0, s0
	s_delay_alu instid0(SALU_CYCLE_1) | instskip(NEXT) | instid1(SALU_CYCLE_1)
	s_xor_b64 s[22:23], s[22:23], s[20:21]
	v_cvt_f32_u32_e32 v3, s22
	v_cvt_f32_u32_e32 v5, s23
	s_sub_u32 s0, 0, s22
	s_subb_u32 s53, 0, s23
	s_delay_alu instid0(VALU_DEP_1) | instskip(NEXT) | instid1(VALU_DEP_1)
	v_fmac_f32_e32 v3, 0x4f800000, v5
	v_rcp_f32_e32 v3, v3
	s_waitcnt_depctr 0xfff
	v_mul_f32_e32 v3, 0x5f7ffffc, v3
	s_delay_alu instid0(VALU_DEP_1) | instskip(NEXT) | instid1(VALU_DEP_1)
	v_mul_f32_e32 v5, 0x2f800000, v3
	v_trunc_f32_e32 v5, v5
	s_delay_alu instid0(VALU_DEP_1) | instskip(SKIP_1) | instid1(VALU_DEP_2)
	v_fmac_f32_e32 v3, 0xcf800000, v5
	v_cvt_u32_f32_e32 v5, v5
	v_cvt_u32_f32_e32 v3, v3
	s_delay_alu instid0(VALU_DEP_2) | instskip(NEXT) | instid1(VALU_DEP_2)
	v_mul_lo_u32 v7, s0, v5
	v_mul_hi_u32 v9, s0, v3
	v_mul_lo_u32 v11, s53, v3
	s_delay_alu instid0(VALU_DEP_2) | instskip(SKIP_1) | instid1(VALU_DEP_2)
	v_add_nc_u32_e32 v7, v9, v7
	v_mul_lo_u32 v9, s0, v3
	v_add_nc_u32_e32 v7, v7, v11
	s_delay_alu instid0(VALU_DEP_2) | instskip(NEXT) | instid1(VALU_DEP_2)
	v_mul_hi_u32 v11, v3, v9
	v_mul_lo_u32 v13, v3, v7
	v_mul_hi_u32 v15, v3, v7
	v_mul_hi_u32 v17, v5, v9
	v_mul_lo_u32 v9, v5, v9
	v_mul_hi_u32 v20, v5, v7
	v_mul_lo_u32 v7, v5, v7
	v_add_co_u32 v11, vcc_lo, v11, v13
	v_add_co_ci_u32_e32 v13, vcc_lo, 0, v15, vcc_lo
	s_delay_alu instid0(VALU_DEP_2) | instskip(NEXT) | instid1(VALU_DEP_2)
	v_add_co_u32 v9, vcc_lo, v11, v9
	v_add_co_ci_u32_e32 v9, vcc_lo, v13, v17, vcc_lo
	v_add_co_ci_u32_e32 v11, vcc_lo, 0, v20, vcc_lo
	v_ashrrev_i32_e32 v17, 31, v19
	s_delay_alu instid0(VALU_DEP_3) | instskip(NEXT) | instid1(VALU_DEP_3)
	v_add_co_u32 v7, vcc_lo, v9, v7
	v_add_co_ci_u32_e32 v9, vcc_lo, 0, v11, vcc_lo
	s_delay_alu instid0(VALU_DEP_2) | instskip(NEXT) | instid1(VALU_DEP_2)
	v_add_co_u32 v3, vcc_lo, v3, v7
	v_add_co_ci_u32_e32 v5, vcc_lo, v5, v9, vcc_lo
	s_delay_alu instid0(VALU_DEP_2) | instskip(SKIP_1) | instid1(VALU_DEP_3)
	v_mul_hi_u32 v7, s0, v3
	v_mul_lo_u32 v11, s53, v3
	v_mul_lo_u32 v9, s0, v5
	s_delay_alu instid0(VALU_DEP_1) | instskip(SKIP_1) | instid1(VALU_DEP_2)
	v_add_nc_u32_e32 v7, v7, v9
	v_mul_lo_u32 v9, s0, v3
	v_add_nc_u32_e32 v7, v7, v11
	s_delay_alu instid0(VALU_DEP_2) | instskip(NEXT) | instid1(VALU_DEP_2)
	v_mul_hi_u32 v11, v3, v9
	v_mul_lo_u32 v13, v3, v7
	v_mul_hi_u32 v15, v3, v7
	v_mul_hi_u32 v20, v5, v9
	v_mul_lo_u32 v9, v5, v9
	v_mul_hi_u32 v21, v5, v7
	v_mul_lo_u32 v7, v5, v7
	v_add_co_u32 v11, vcc_lo, v11, v13
	v_add_co_ci_u32_e32 v13, vcc_lo, 0, v15, vcc_lo
	s_delay_alu instid0(VALU_DEP_2) | instskip(NEXT) | instid1(VALU_DEP_2)
	v_add_co_u32 v9, vcc_lo, v11, v9
	v_add_co_ci_u32_e32 v9, vcc_lo, v13, v20, vcc_lo
	v_add_co_ci_u32_e32 v11, vcc_lo, 0, v21, vcc_lo
	v_add_co_u32 v13, vcc_lo, v18, v17
	v_add_co_ci_u32_e32 v15, vcc_lo, v19, v17, vcc_lo
	s_delay_alu instid0(VALU_DEP_4) | instskip(NEXT) | instid1(VALU_DEP_4)
	v_add_co_u32 v7, vcc_lo, v9, v7
	v_add_co_ci_u32_e32 v9, vcc_lo, 0, v11, vcc_lo
	s_delay_alu instid0(VALU_DEP_4) | instskip(NEXT) | instid1(VALU_DEP_3)
	v_xor_b32_e32 v11, v13, v17
	v_add_co_u32 v3, vcc_lo, v3, v7
	s_delay_alu instid0(VALU_DEP_3) | instskip(SKIP_1) | instid1(VALU_DEP_3)
	v_add_co_ci_u32_e32 v5, vcc_lo, v5, v9, vcc_lo
	v_xor_b32_e32 v7, v15, v17
	v_mul_hi_u32 v9, v11, v3
	s_delay_alu instid0(VALU_DEP_3) | instskip(NEXT) | instid1(VALU_DEP_3)
	v_mad_u64_u32 v[19:20], null, v11, v5, 0
	v_mad_u64_u32 v[21:22], null, v7, v3, 0
	;; [unrolled: 1-line block ×3, first 2 shown]
	s_delay_alu instid0(VALU_DEP_3) | instskip(NEXT) | instid1(VALU_DEP_4)
	v_add_co_u32 v3, vcc_lo, v9, v19
	v_add_co_ci_u32_e32 v5, vcc_lo, 0, v20, vcc_lo
	s_delay_alu instid0(VALU_DEP_2) | instskip(NEXT) | instid1(VALU_DEP_2)
	v_add_co_u32 v3, vcc_lo, v3, v21
	v_add_co_ci_u32_e32 v3, vcc_lo, v5, v22, vcc_lo
	v_add_co_ci_u32_e32 v5, vcc_lo, 0, v28, vcc_lo
	s_delay_alu instid0(VALU_DEP_2) | instskip(NEXT) | instid1(VALU_DEP_2)
	v_add_co_u32 v3, vcc_lo, v3, v27
	v_add_co_ci_u32_e32 v5, vcc_lo, 0, v5, vcc_lo
	s_delay_alu instid0(VALU_DEP_2) | instskip(SKIP_1) | instid1(VALU_DEP_3)
	v_mul_lo_u32 v9, s23, v3
	v_mad_u64_u32 v[19:20], null, s22, v3, 0
	v_mul_lo_u32 v13, s22, v5
	s_delay_alu instid0(VALU_DEP_2) | instskip(NEXT) | instid1(VALU_DEP_2)
	v_sub_co_u32 v11, vcc_lo, v11, v19
	v_add3_u32 v9, v20, v13, v9
	s_delay_alu instid0(VALU_DEP_1) | instskip(NEXT) | instid1(VALU_DEP_1)
	v_sub_nc_u32_e32 v13, v7, v9
	v_subrev_co_ci_u32_e64 v13, s0, s23, v13, vcc_lo
	v_add_co_u32 v15, s0, v3, 2
	s_delay_alu instid0(VALU_DEP_1) | instskip(SKIP_3) | instid1(VALU_DEP_3)
	v_add_co_ci_u32_e64 v19, s0, 0, v5, s0
	v_sub_co_u32 v20, s0, v11, s22
	v_sub_co_ci_u32_e32 v7, vcc_lo, v7, v9, vcc_lo
	v_subrev_co_ci_u32_e64 v13, s0, 0, v13, s0
	v_cmp_le_u32_e32 vcc_lo, s22, v20
	s_delay_alu instid0(VALU_DEP_3) | instskip(SKIP_1) | instid1(VALU_DEP_4)
	v_cmp_eq_u32_e64 s0, s23, v7
	v_cndmask_b32_e64 v9, 0, -1, vcc_lo
	v_cmp_le_u32_e32 vcc_lo, s23, v13
	v_cndmask_b32_e64 v20, 0, -1, vcc_lo
	v_cmp_le_u32_e32 vcc_lo, s22, v11
	;; [unrolled: 2-line block ×3, first 2 shown]
	v_cndmask_b32_e64 v21, 0, -1, vcc_lo
	v_cmp_eq_u32_e32 vcc_lo, s23, v13
	s_delay_alu instid0(VALU_DEP_2) | instskip(SKIP_3) | instid1(VALU_DEP_3)
	v_cndmask_b32_e64 v7, v21, v11, s0
	v_cndmask_b32_e32 v9, v20, v9, vcc_lo
	v_add_co_u32 v13, vcc_lo, v3, 1
	v_add_co_ci_u32_e32 v20, vcc_lo, 0, v5, vcc_lo
	v_cmp_ne_u32_e32 vcc_lo, 0, v9
	s_delay_alu instid0(VALU_DEP_2) | instskip(NEXT) | instid1(VALU_DEP_4)
	v_cndmask_b32_e32 v9, v20, v19, vcc_lo
	v_cndmask_b32_e32 v11, v13, v15, vcc_lo
	v_cmp_ne_u32_e32 vcc_lo, 0, v7
	v_xor_b32_e32 v7, s20, v17
	s_delay_alu instid0(VALU_DEP_3) | instskip(SKIP_2) | instid1(VALU_DEP_3)
	v_cndmask_b32_e32 v3, v3, v11, vcc_lo
	v_cndmask_b32_e32 v5, v5, v9, vcc_lo
	v_xor_b32_e32 v9, s21, v17
	v_xor_b32_e32 v3, v3, v7
	s_delay_alu instid0(VALU_DEP_2) | instskip(NEXT) | instid1(VALU_DEP_2)
	v_xor_b32_e32 v5, v5, v9
	v_sub_co_u32 v20, vcc_lo, v3, v7
	s_delay_alu instid0(VALU_DEP_2)
	v_sub_co_ci_u32_e32 v21, vcc_lo, v5, v9, vcc_lo
.LBB60_50:                              ;   in Loop: Header=BB60_24 Depth=2
	s_and_not1_saveexec_b32 s0, s17
	s_cbranch_execz .LBB60_52
; %bb.51:                               ;   in Loop: Header=BB60_24 Depth=2
	v_cvt_f32_u32_e32 v3, s52
	s_sub_i32 s17, 0, s52
	v_mov_b32_e32 v21, v2
	s_delay_alu instid0(VALU_DEP_2) | instskip(SKIP_2) | instid1(VALU_DEP_1)
	v_rcp_iflag_f32_e32 v3, v3
	s_waitcnt_depctr 0xfff
	v_mul_f32_e32 v3, 0x4f7ffffe, v3
	v_cvt_u32_f32_e32 v3, v3
	s_delay_alu instid0(VALU_DEP_1) | instskip(NEXT) | instid1(VALU_DEP_1)
	v_mul_lo_u32 v5, s17, v3
	v_mul_hi_u32 v5, v3, v5
	s_delay_alu instid0(VALU_DEP_1) | instskip(NEXT) | instid1(VALU_DEP_1)
	v_add_nc_u32_e32 v3, v3, v5
	v_mul_hi_u32 v3, v18, v3
	s_delay_alu instid0(VALU_DEP_1) | instskip(SKIP_1) | instid1(VALU_DEP_2)
	v_mul_lo_u32 v5, v3, s52
	v_add_nc_u32_e32 v7, 1, v3
	v_sub_nc_u32_e32 v5, v18, v5
	s_delay_alu instid0(VALU_DEP_1) | instskip(SKIP_1) | instid1(VALU_DEP_4)
	v_cmp_le_u32_e32 vcc_lo, s52, v5
	v_subrev_nc_u32_e32 v9, s52, v5
	v_cndmask_b32_e32 v3, v3, v7, vcc_lo
	s_delay_alu instid0(VALU_DEP_1) | instskip(NEXT) | instid1(VALU_DEP_3)
	v_add_nc_u32_e32 v7, 1, v3
	v_cndmask_b32_e32 v5, v5, v9, vcc_lo
	s_delay_alu instid0(VALU_DEP_1) | instskip(NEXT) | instid1(VALU_DEP_3)
	v_cmp_le_u32_e32 vcc_lo, s52, v5
	v_cndmask_b32_e32 v20, v3, v7, vcc_lo
.LBB60_52:                              ;   in Loop: Header=BB60_24 Depth=2
	s_or_b32 exec_lo, exec_lo, s0
	s_mov_b32 s17, s15
	s_add_u32 s20, s30, s18
	s_addc_u32 s21, s1, s19
	s_lshl_b64 s[18:19], s[16:17], 2
                                        ; implicit-def: $vgpr22_vgpr23
	s_delay_alu instid0(SALU_CYCLE_1)
	s_add_u32 s22, s26, s18
	s_addc_u32 s23, s27, s19
	s_clause 0x1
	s_load_b32 s53, s[22:23], 0x0
	s_load_b32 s17, s[20:21], 0x0
	s_mov_b32 s20, exec_lo
	s_waitcnt lgkmcnt(0)
	s_ashr_i32 s0, s53, 31
	s_delay_alu instid0(SALU_CYCLE_1) | instskip(NEXT) | instid1(VALU_DEP_1)
	v_or_b32_e32 v3, s0, v21
	v_cmpx_ne_u64_e32 0, v[2:3]
	s_xor_b32 s54, exec_lo, s20
	s_cbranch_execz .LBB60_54
; %bb.53:                               ;   in Loop: Header=BB60_24 Depth=2
	s_add_u32 s22, s53, s0
	s_mov_b32 s20, s0
	s_mov_b32 s21, s0
	s_addc_u32 s23, s0, s0
	s_delay_alu instid0(SALU_CYCLE_1) | instskip(NEXT) | instid1(SALU_CYCLE_1)
	s_xor_b64 s[22:23], s[22:23], s[20:21]
	v_cvt_f32_u32_e32 v3, s22
	v_cvt_f32_u32_e32 v5, s23
	s_sub_u32 s0, 0, s22
	s_subb_u32 s55, 0, s23
	s_delay_alu instid0(VALU_DEP_1) | instskip(NEXT) | instid1(VALU_DEP_1)
	v_fmac_f32_e32 v3, 0x4f800000, v5
	v_rcp_f32_e32 v3, v3
	s_waitcnt_depctr 0xfff
	v_mul_f32_e32 v3, 0x5f7ffffc, v3
	s_delay_alu instid0(VALU_DEP_1) | instskip(NEXT) | instid1(VALU_DEP_1)
	v_mul_f32_e32 v5, 0x2f800000, v3
	v_trunc_f32_e32 v5, v5
	s_delay_alu instid0(VALU_DEP_1) | instskip(SKIP_1) | instid1(VALU_DEP_2)
	v_fmac_f32_e32 v3, 0xcf800000, v5
	v_cvt_u32_f32_e32 v5, v5
	v_cvt_u32_f32_e32 v3, v3
	s_delay_alu instid0(VALU_DEP_2) | instskip(NEXT) | instid1(VALU_DEP_2)
	v_mul_lo_u32 v7, s0, v5
	v_mul_hi_u32 v9, s0, v3
	v_mul_lo_u32 v11, s55, v3
	s_delay_alu instid0(VALU_DEP_2) | instskip(SKIP_1) | instid1(VALU_DEP_2)
	v_add_nc_u32_e32 v7, v9, v7
	v_mul_lo_u32 v9, s0, v3
	v_add_nc_u32_e32 v7, v7, v11
	s_delay_alu instid0(VALU_DEP_2) | instskip(NEXT) | instid1(VALU_DEP_2)
	v_mul_hi_u32 v11, v3, v9
	v_mul_lo_u32 v13, v3, v7
	v_mul_hi_u32 v15, v3, v7
	v_mul_hi_u32 v17, v5, v9
	v_mul_lo_u32 v9, v5, v9
	v_mul_hi_u32 v19, v5, v7
	v_mul_lo_u32 v7, v5, v7
	v_add_co_u32 v11, vcc_lo, v11, v13
	v_add_co_ci_u32_e32 v13, vcc_lo, 0, v15, vcc_lo
	s_delay_alu instid0(VALU_DEP_2) | instskip(NEXT) | instid1(VALU_DEP_2)
	v_add_co_u32 v9, vcc_lo, v11, v9
	v_add_co_ci_u32_e32 v9, vcc_lo, v13, v17, vcc_lo
	v_add_co_ci_u32_e32 v11, vcc_lo, 0, v19, vcc_lo
	v_ashrrev_i32_e32 v17, 31, v21
	s_delay_alu instid0(VALU_DEP_3) | instskip(NEXT) | instid1(VALU_DEP_3)
	v_add_co_u32 v7, vcc_lo, v9, v7
	v_add_co_ci_u32_e32 v9, vcc_lo, 0, v11, vcc_lo
	s_delay_alu instid0(VALU_DEP_2) | instskip(NEXT) | instid1(VALU_DEP_2)
	v_add_co_u32 v3, vcc_lo, v3, v7
	v_add_co_ci_u32_e32 v5, vcc_lo, v5, v9, vcc_lo
	s_delay_alu instid0(VALU_DEP_2) | instskip(SKIP_1) | instid1(VALU_DEP_3)
	v_mul_hi_u32 v7, s0, v3
	v_mul_lo_u32 v11, s55, v3
	v_mul_lo_u32 v9, s0, v5
	s_delay_alu instid0(VALU_DEP_1) | instskip(SKIP_1) | instid1(VALU_DEP_2)
	v_add_nc_u32_e32 v7, v7, v9
	v_mul_lo_u32 v9, s0, v3
	v_add_nc_u32_e32 v7, v7, v11
	s_delay_alu instid0(VALU_DEP_2) | instskip(NEXT) | instid1(VALU_DEP_2)
	v_mul_hi_u32 v11, v3, v9
	v_mul_lo_u32 v13, v3, v7
	v_mul_hi_u32 v15, v3, v7
	v_mul_hi_u32 v19, v5, v9
	v_mul_lo_u32 v9, v5, v9
	v_mul_hi_u32 v22, v5, v7
	v_mul_lo_u32 v7, v5, v7
	v_add_co_u32 v11, vcc_lo, v11, v13
	v_add_co_ci_u32_e32 v13, vcc_lo, 0, v15, vcc_lo
	s_delay_alu instid0(VALU_DEP_2) | instskip(NEXT) | instid1(VALU_DEP_2)
	v_add_co_u32 v9, vcc_lo, v11, v9
	v_add_co_ci_u32_e32 v9, vcc_lo, v13, v19, vcc_lo
	v_add_co_ci_u32_e32 v11, vcc_lo, 0, v22, vcc_lo
	v_add_co_u32 v13, vcc_lo, v20, v17
	v_add_co_ci_u32_e32 v15, vcc_lo, v21, v17, vcc_lo
	s_delay_alu instid0(VALU_DEP_4) | instskip(NEXT) | instid1(VALU_DEP_4)
	v_add_co_u32 v7, vcc_lo, v9, v7
	v_add_co_ci_u32_e32 v9, vcc_lo, 0, v11, vcc_lo
	s_delay_alu instid0(VALU_DEP_4) | instskip(NEXT) | instid1(VALU_DEP_3)
	v_xor_b32_e32 v11, v13, v17
	v_add_co_u32 v3, vcc_lo, v3, v7
	s_delay_alu instid0(VALU_DEP_3) | instskip(SKIP_1) | instid1(VALU_DEP_3)
	v_add_co_ci_u32_e32 v5, vcc_lo, v5, v9, vcc_lo
	v_xor_b32_e32 v7, v15, v17
	v_mul_hi_u32 v9, v11, v3
	s_delay_alu instid0(VALU_DEP_3) | instskip(NEXT) | instid1(VALU_DEP_3)
	v_mad_u64_u32 v[21:22], null, v11, v5, 0
	v_mad_u64_u32 v[27:28], null, v7, v3, 0
	;; [unrolled: 1-line block ×3, first 2 shown]
	s_delay_alu instid0(VALU_DEP_3) | instskip(NEXT) | instid1(VALU_DEP_4)
	v_add_co_u32 v3, vcc_lo, v9, v21
	v_add_co_ci_u32_e32 v5, vcc_lo, 0, v22, vcc_lo
	s_delay_alu instid0(VALU_DEP_2) | instskip(NEXT) | instid1(VALU_DEP_2)
	v_add_co_u32 v3, vcc_lo, v3, v27
	v_add_co_ci_u32_e32 v3, vcc_lo, v5, v28, vcc_lo
	v_add_co_ci_u32_e32 v5, vcc_lo, 0, v30, vcc_lo
	s_delay_alu instid0(VALU_DEP_2) | instskip(NEXT) | instid1(VALU_DEP_2)
	v_add_co_u32 v3, vcc_lo, v3, v29
	v_add_co_ci_u32_e32 v5, vcc_lo, 0, v5, vcc_lo
	s_delay_alu instid0(VALU_DEP_2) | instskip(SKIP_1) | instid1(VALU_DEP_3)
	v_mul_lo_u32 v9, s23, v3
	v_mad_u64_u32 v[21:22], null, s22, v3, 0
	v_mul_lo_u32 v13, s22, v5
	s_delay_alu instid0(VALU_DEP_2) | instskip(NEXT) | instid1(VALU_DEP_2)
	v_sub_co_u32 v11, vcc_lo, v11, v21
	v_add3_u32 v9, v22, v13, v9
	s_delay_alu instid0(VALU_DEP_1) | instskip(NEXT) | instid1(VALU_DEP_1)
	v_sub_nc_u32_e32 v13, v7, v9
	v_subrev_co_ci_u32_e64 v13, s0, s23, v13, vcc_lo
	v_add_co_u32 v15, s0, v3, 2
	s_delay_alu instid0(VALU_DEP_1) | instskip(SKIP_3) | instid1(VALU_DEP_3)
	v_add_co_ci_u32_e64 v19, s0, 0, v5, s0
	v_sub_co_u32 v21, s0, v11, s22
	v_sub_co_ci_u32_e32 v7, vcc_lo, v7, v9, vcc_lo
	v_subrev_co_ci_u32_e64 v13, s0, 0, v13, s0
	v_cmp_le_u32_e32 vcc_lo, s22, v21
	s_delay_alu instid0(VALU_DEP_3) | instskip(SKIP_1) | instid1(VALU_DEP_4)
	v_cmp_eq_u32_e64 s0, s23, v7
	v_cndmask_b32_e64 v9, 0, -1, vcc_lo
	v_cmp_le_u32_e32 vcc_lo, s23, v13
	v_cndmask_b32_e64 v21, 0, -1, vcc_lo
	v_cmp_le_u32_e32 vcc_lo, s22, v11
	;; [unrolled: 2-line block ×3, first 2 shown]
	v_cndmask_b32_e64 v22, 0, -1, vcc_lo
	v_cmp_eq_u32_e32 vcc_lo, s23, v13
	s_delay_alu instid0(VALU_DEP_2) | instskip(SKIP_3) | instid1(VALU_DEP_3)
	v_cndmask_b32_e64 v7, v22, v11, s0
	v_cndmask_b32_e32 v9, v21, v9, vcc_lo
	v_add_co_u32 v13, vcc_lo, v3, 1
	v_add_co_ci_u32_e32 v21, vcc_lo, 0, v5, vcc_lo
	v_cmp_ne_u32_e32 vcc_lo, 0, v9
	s_delay_alu instid0(VALU_DEP_2) | instskip(NEXT) | instid1(VALU_DEP_4)
	v_cndmask_b32_e32 v9, v21, v19, vcc_lo
	v_cndmask_b32_e32 v11, v13, v15, vcc_lo
	v_cmp_ne_u32_e32 vcc_lo, 0, v7
	v_xor_b32_e32 v7, s20, v17
	s_delay_alu instid0(VALU_DEP_3) | instskip(SKIP_2) | instid1(VALU_DEP_3)
	v_cndmask_b32_e32 v3, v3, v11, vcc_lo
	v_cndmask_b32_e32 v5, v5, v9, vcc_lo
	v_xor_b32_e32 v9, s21, v17
	v_xor_b32_e32 v3, v3, v7
	s_delay_alu instid0(VALU_DEP_2) | instskip(NEXT) | instid1(VALU_DEP_2)
	v_xor_b32_e32 v5, v5, v9
	v_sub_co_u32 v22, vcc_lo, v3, v7
	s_delay_alu instid0(VALU_DEP_2)
	v_sub_co_ci_u32_e32 v23, vcc_lo, v5, v9, vcc_lo
.LBB60_54:                              ;   in Loop: Header=BB60_24 Depth=2
	s_and_not1_saveexec_b32 s0, s54
	s_cbranch_execz .LBB60_56
; %bb.55:                               ;   in Loop: Header=BB60_24 Depth=2
	v_cvt_f32_u32_e32 v3, s53
	s_sub_i32 s20, 0, s53
	v_mov_b32_e32 v23, v2
	s_delay_alu instid0(VALU_DEP_2) | instskip(SKIP_2) | instid1(VALU_DEP_1)
	v_rcp_iflag_f32_e32 v3, v3
	s_waitcnt_depctr 0xfff
	v_mul_f32_e32 v3, 0x4f7ffffe, v3
	v_cvt_u32_f32_e32 v3, v3
	s_delay_alu instid0(VALU_DEP_1) | instskip(NEXT) | instid1(VALU_DEP_1)
	v_mul_lo_u32 v5, s20, v3
	v_mul_hi_u32 v5, v3, v5
	s_delay_alu instid0(VALU_DEP_1) | instskip(NEXT) | instid1(VALU_DEP_1)
	v_add_nc_u32_e32 v3, v3, v5
	v_mul_hi_u32 v3, v20, v3
	s_delay_alu instid0(VALU_DEP_1) | instskip(SKIP_1) | instid1(VALU_DEP_2)
	v_mul_lo_u32 v5, v3, s53
	v_add_nc_u32_e32 v7, 1, v3
	v_sub_nc_u32_e32 v5, v20, v5
	s_delay_alu instid0(VALU_DEP_1) | instskip(SKIP_1) | instid1(VALU_DEP_4)
	v_cmp_le_u32_e32 vcc_lo, s53, v5
	v_subrev_nc_u32_e32 v9, s53, v5
	v_cndmask_b32_e32 v3, v3, v7, vcc_lo
	s_delay_alu instid0(VALU_DEP_1) | instskip(NEXT) | instid1(VALU_DEP_3)
	v_add_nc_u32_e32 v7, 1, v3
	v_cndmask_b32_e32 v5, v5, v9, vcc_lo
	s_delay_alu instid0(VALU_DEP_1) | instskip(NEXT) | instid1(VALU_DEP_3)
	v_cmp_le_u32_e32 vcc_lo, s53, v5
	v_cndmask_b32_e32 v22, v3, v7, vcc_lo
.LBB60_56:                              ;   in Loop: Header=BB60_24 Depth=2
	s_or_b32 exec_lo, exec_lo, s0
	v_mul_lo_u32 v3, v8, s41
	v_mul_lo_u32 v5, v10, s43
	v_mul_lo_u32 v7, v12, s45
	v_mul_lo_u32 v9, v14, s47
	s_add_u32 s18, s30, s18
	s_addc_u32 s19, s1, s19
	v_mul_lo_u32 v11, v16, s49
	s_load_b32 s0, s[18:19], 0x0
	v_sub_nc_u32_e32 v3, v6, v3
	v_sub_nc_u32_e32 v5, v8, v5
	v_mul_lo_u32 v6, v18, s51
	v_sub_nc_u32_e32 v7, v10, v7
	v_sub_nc_u32_e32 v9, v12, v9
	v_mul_lo_u32 v3, s42, v3
	v_mul_lo_u32 v5, s44, v5
	;; [unrolled: 1-line block ×4, first 2 shown]
	v_sub_nc_u32_e32 v11, v14, v11
	v_sub_nc_u32_e32 v6, v16, v6
	v_mul_lo_u32 v7, s46, v7
	v_mul_lo_u32 v9, s48, v9
	s_add_i32 s16, s16, -8
	v_add3_u32 v3, v3, v4, v5
	v_mul_lo_u32 v4, s50, v11
	v_sub_nc_u32_e32 v5, v18, v8
	v_sub_nc_u32_e32 v8, v20, v10
	v_mul_lo_u32 v6, s14, v6
	s_cmp_eq_u32 s16, -8
	v_add3_u32 v3, v7, v3, v9
	v_mul_lo_u32 v5, s17, v5
	s_waitcnt lgkmcnt(0)
	v_mul_lo_u32 v7, s0, v8
	s_delay_alu instid0(VALU_DEP_3) | instskip(NEXT) | instid1(VALU_DEP_1)
	v_add3_u32 v3, v4, v3, v6
	v_add3_u32 v4, v5, v3, v7
	s_cbranch_scc1 .LBB60_58
; %bb.57:                               ;   in Loop: Header=BB60_24 Depth=2
	v_dual_mov_b32 v6, v22 :: v_dual_mov_b32 v7, v23
	s_branch .LBB60_24
.LBB60_58:                              ;   in Loop: Header=BB60_3 Depth=1
	s_load_b32 s0, s[12:13], 0x0
	s_waitcnt lgkmcnt(0)
	v_cmp_gt_i32_e32 vcc_lo, s0, v26
	s_and_b32 exec_lo, exec_lo, vcc_lo
	s_cbranch_execz .LBB60_2
; %bb.59:                               ;   in Loop: Header=BB60_3 Depth=1
	s_delay_alu instid0(VALU_DEP_2) | instskip(SKIP_1) | instid1(VALU_DEP_2)
	v_ashrrev_i32_e32 v5, 31, v4
	v_add_nc_u32_e32 v3, 1, v26
	v_lshlrev_b64 v[5:6], 2, v[4:5]
	s_delay_alu instid0(VALU_DEP_1) | instskip(NEXT) | instid1(VALU_DEP_2)
	v_add_co_u32 v5, vcc_lo, s2, v5
	v_add_co_ci_u32_e32 v6, vcc_lo, s3, v6, vcc_lo
	s_delay_alu instid0(VALU_DEP_4)
	v_cmp_gt_i32_e32 vcc_lo, s0, v3
	global_store_b32 v[5:6], v2, off
	s_and_b32 exec_lo, exec_lo, vcc_lo
	s_cbranch_execz .LBB60_2
; %bb.60:                               ;   in Loop: Header=BB60_3 Depth=1
	v_sub_nc_u32_e32 v5, v3, v25
	s_delay_alu instid0(VALU_DEP_1) | instskip(NEXT) | instid1(VALU_DEP_1)
	v_ashrrev_i32_e32 v6, 31, v5
	v_cmp_gt_i64_e32 vcc_lo, s[4:5], v[5:6]
	s_and_b32 exec_lo, exec_lo, vcc_lo
	s_cbranch_execz .LBB60_2
; %bb.61:                               ;   in Loop: Header=BB60_3 Depth=1
	v_add_nc_u32_e32 v3, s40, v4
	s_delay_alu instid0(VALU_DEP_1) | instskip(NEXT) | instid1(VALU_DEP_1)
	v_ashrrev_i32_e32 v4, 31, v3
	v_lshlrev_b64 v[3:4], 2, v[3:4]
	s_delay_alu instid0(VALU_DEP_1) | instskip(NEXT) | instid1(VALU_DEP_2)
	v_add_co_u32 v3, vcc_lo, s2, v3
	v_add_co_ci_u32_e32 v4, vcc_lo, s3, v4, vcc_lo
	global_store_b32 v[3:4], v2, off
	s_branch .LBB60_2
.LBB60_62:
	s_nop 0
	s_sendmsg sendmsg(MSG_DEALLOC_VGPRS)
	s_endpgm
	.section	.rodata,"a",@progbits
	.p2align	6, 0x0
	.amdhsa_kernel _ZN2at6native16triu_tril_kernelIiiLb1ELi2ELb1EEEvNS_4cuda6detail10TensorInfoIT_T0_EENS4_IKS5_S6_EEllS6_
		.amdhsa_group_segment_fixed_size 0
		.amdhsa_private_segment_fixed_size 0
		.amdhsa_kernarg_size 712
		.amdhsa_user_sgpr_count 15
		.amdhsa_user_sgpr_dispatch_ptr 0
		.amdhsa_user_sgpr_queue_ptr 0
		.amdhsa_user_sgpr_kernarg_segment_ptr 1
		.amdhsa_user_sgpr_dispatch_id 0
		.amdhsa_user_sgpr_private_segment_size 0
		.amdhsa_wavefront_size32 1
		.amdhsa_uses_dynamic_stack 0
		.amdhsa_enable_private_segment 0
		.amdhsa_system_sgpr_workgroup_id_x 1
		.amdhsa_system_sgpr_workgroup_id_y 0
		.amdhsa_system_sgpr_workgroup_id_z 0
		.amdhsa_system_sgpr_workgroup_info 0
		.amdhsa_system_vgpr_workitem_id 0
		.amdhsa_next_free_vgpr 31
		.amdhsa_next_free_sgpr 56
		.amdhsa_reserve_vcc 1
		.amdhsa_float_round_mode_32 0
		.amdhsa_float_round_mode_16_64 0
		.amdhsa_float_denorm_mode_32 3
		.amdhsa_float_denorm_mode_16_64 3
		.amdhsa_dx10_clamp 1
		.amdhsa_ieee_mode 1
		.amdhsa_fp16_overflow 0
		.amdhsa_workgroup_processor_mode 1
		.amdhsa_memory_ordered 1
		.amdhsa_forward_progress 0
		.amdhsa_shared_vgpr_count 0
		.amdhsa_exception_fp_ieee_invalid_op 0
		.amdhsa_exception_fp_denorm_src 0
		.amdhsa_exception_fp_ieee_div_zero 0
		.amdhsa_exception_fp_ieee_overflow 0
		.amdhsa_exception_fp_ieee_underflow 0
		.amdhsa_exception_fp_ieee_inexact 0
		.amdhsa_exception_int_div_zero 0
	.end_amdhsa_kernel
	.section	.text._ZN2at6native16triu_tril_kernelIiiLb1ELi2ELb1EEEvNS_4cuda6detail10TensorInfoIT_T0_EENS4_IKS5_S6_EEllS6_,"axG",@progbits,_ZN2at6native16triu_tril_kernelIiiLb1ELi2ELb1EEEvNS_4cuda6detail10TensorInfoIT_T0_EENS4_IKS5_S6_EEllS6_,comdat
.Lfunc_end60:
	.size	_ZN2at6native16triu_tril_kernelIiiLb1ELi2ELb1EEEvNS_4cuda6detail10TensorInfoIT_T0_EENS4_IKS5_S6_EEllS6_, .Lfunc_end60-_ZN2at6native16triu_tril_kernelIiiLb1ELi2ELb1EEEvNS_4cuda6detail10TensorInfoIT_T0_EENS4_IKS5_S6_EEllS6_
                                        ; -- End function
	.section	.AMDGPU.csdata,"",@progbits
; Kernel info:
; codeLenInByte = 12380
; NumSgprs: 58
; NumVgprs: 31
; ScratchSize: 0
; MemoryBound: 0
; FloatMode: 240
; IeeeMode: 1
; LDSByteSize: 0 bytes/workgroup (compile time only)
; SGPRBlocks: 7
; VGPRBlocks: 3
; NumSGPRsForWavesPerEU: 58
; NumVGPRsForWavesPerEU: 31
; Occupancy: 16
; WaveLimiterHint : 0
; COMPUTE_PGM_RSRC2:SCRATCH_EN: 0
; COMPUTE_PGM_RSRC2:USER_SGPR: 15
; COMPUTE_PGM_RSRC2:TRAP_HANDLER: 0
; COMPUTE_PGM_RSRC2:TGID_X_EN: 1
; COMPUTE_PGM_RSRC2:TGID_Y_EN: 0
; COMPUTE_PGM_RSRC2:TGID_Z_EN: 0
; COMPUTE_PGM_RSRC2:TIDIG_COMP_CNT: 0
	.section	.text._ZN2at6native16triu_tril_kernelIiiLb1ELi2ELb0EEEvNS_4cuda6detail10TensorInfoIT_T0_EENS4_IKS5_S6_EEllS6_,"axG",@progbits,_ZN2at6native16triu_tril_kernelIiiLb1ELi2ELb0EEEvNS_4cuda6detail10TensorInfoIT_T0_EENS4_IKS5_S6_EEllS6_,comdat
	.protected	_ZN2at6native16triu_tril_kernelIiiLb1ELi2ELb0EEEvNS_4cuda6detail10TensorInfoIT_T0_EENS4_IKS5_S6_EEllS6_ ; -- Begin function _ZN2at6native16triu_tril_kernelIiiLb1ELi2ELb0EEEvNS_4cuda6detail10TensorInfoIT_T0_EENS4_IKS5_S6_EEllS6_
	.globl	_ZN2at6native16triu_tril_kernelIiiLb1ELi2ELb0EEEvNS_4cuda6detail10TensorInfoIT_T0_EENS4_IKS5_S6_EEllS6_
	.p2align	8
	.type	_ZN2at6native16triu_tril_kernelIiiLb1ELi2ELb0EEEvNS_4cuda6detail10TensorInfoIT_T0_EENS4_IKS5_S6_EEllS6_,@function
_ZN2at6native16triu_tril_kernelIiiLb1ELi2ELb0EEEvNS_4cuda6detail10TensorInfoIT_T0_EENS4_IKS5_S6_EEllS6_: ; @_ZN2at6native16triu_tril_kernelIiiLb1ELi2ELb0EEEvNS_4cuda6detail10TensorInfoIT_T0_EENS4_IKS5_S6_EEllS6_
; %bb.0:
	s_clause 0x1
	s_load_b32 s2, s[0:1], 0x1d4
	s_load_b128 s[4:7], s[0:1], 0x1b0
	v_mov_b32_e32 v2, 0
	s_add_u32 s8, s0, 0x1c8
	s_addc_u32 s9, s1, 0
	s_delay_alu instid0(VALU_DEP_1) | instskip(SKIP_3) | instid1(VALU_DEP_1)
	v_mov_b32_e32 v1, v2
	s_waitcnt lgkmcnt(0)
	s_and_b32 s10, s2, 0xffff
	s_mov_b32 s2, exec_lo
	v_mad_u64_u32 v[3:4], null, s10, s15, v[0:1]
	s_delay_alu instid0(VALU_DEP_1) | instskip(NEXT) | instid1(VALU_DEP_1)
	v_lshlrev_b64 v[0:1], 1, v[3:4]
	v_cmpx_gt_i64_e64 s[6:7], v[0:1]
	s_cbranch_execz .LBB61_49
; %bb.1:
	s_clause 0x1
	s_load_b32 s16, s[0:1], 0x1a8
	s_load_b32 s30, s[0:1], 0x1c0
	s_add_u32 s31, s0, 0xd8
	s_addc_u32 s33, s1, 0
	s_load_b32 s11, s[8:9], 0x0
	s_load_b64 s[2:3], s[0:1], 0xd8
	s_waitcnt lgkmcnt(0)
	s_ashr_i32 s17, s16, 31
	s_ashr_i32 s34, s30, 31
	s_lshl_b64 s[8:9], s[16:17], 2
	v_cvt_f32_u32_e32 v3, s30
	s_add_u32 s14, s8, -8
	s_addc_u32 s15, s9, -1
	s_add_u32 s12, s31, s14
	s_addc_u32 s13, s33, s15
	v_rcp_iflag_f32_e32 v3, v3
	s_load_b64 s[8:9], s[12:13], 0x8
	s_mul_i32 s18, s11, s10
	s_load_b64 s[10:11], s[12:13], 0x6c
	s_waitcnt_depctr 0xfff
	v_mul_f32_e32 v3, 0x4f7ffffe, v3
	s_delay_alu instid0(VALU_DEP_1)
	v_cvt_u32_f32_e32 v3, v3
	s_waitcnt lgkmcnt(0)
	s_ashr_i32 s35, s8, 31
	s_add_u32 s36, s0, 0x6c
	s_addc_u32 s37, s1, 0
	s_add_u32 s12, s36, s14
	s_addc_u32 s13, s37, s15
	s_and_b32 s39, s16, 3
	s_add_i32 s38, s16, -3
	s_lshl_b32 s40, s18, 1
	s_cmp_lg_u32 s39, 2
	s_load_b64 s[12:13], s[12:13], 0x0
	s_cselect_b32 s41, -1, 0
	s_cmp_gt_u32 s38, 2
	s_mov_b32 s18, s11
	s_cselect_b32 s42, -1, 0
	s_sub_i32 s14, 0, s30
	s_ashr_i32 s19, s11, 31
	v_mul_lo_u32 v4, s14, v3
	s_load_b64 s[14:15], s[0:1], 0x0
	v_cmp_gt_i64_e64 s1, s[16:17], 2
	s_mov_b32 s17, 0
	s_mov_b32 s11, 0
	s_delay_alu instid0(VALU_DEP_2) | instskip(SKIP_3) | instid1(VALU_DEP_1)
	v_mul_hi_u32 v4, v3, v4
	s_waitcnt lgkmcnt(0)
	s_ashr_i32 s21, s13, 31
	s_mov_b32 s20, s13
	v_add_nc_u32_e32 v18, v3, v4
	s_branch .LBB61_3
.LBB61_2:                               ;   in Loop: Header=BB61_3 Depth=1
	s_or_b32 exec_lo, exec_lo, s0
	v_add_co_u32 v0, vcc_lo, v0, s40
	v_add_co_ci_u32_e32 v1, vcc_lo, 0, v1, vcc_lo
	s_delay_alu instid0(VALU_DEP_1) | instskip(SKIP_1) | instid1(SALU_CYCLE_1)
	v_cmp_le_i64_e32 vcc_lo, s[6:7], v[0:1]
	s_or_b32 s11, vcc_lo, s11
	s_and_not1_b32 exec_lo, exec_lo, s11
	s_cbranch_execz .LBB61_49
.LBB61_3:                               ; =>This Loop Header: Depth=1
                                        ;     Child Loop BB61_14 Depth 2
                                        ;     Child Loop BB61_22 Depth 2
	v_or_b32_e32 v3, s34, v1
                                        ; implicit-def: $vgpr4_vgpr5
	s_mov_b32 s0, exec_lo
	s_delay_alu instid0(VALU_DEP_1)
	v_cmpx_ne_u64_e32 0, v[2:3]
	s_xor_b32 s13, exec_lo, s0
	s_cbranch_execz .LBB61_5
; %bb.4:                                ;   in Loop: Header=BB61_3 Depth=1
	s_add_u32 s24, s30, s34
	s_mov_b32 s22, s34
	s_mov_b32 s23, s34
	s_addc_u32 s25, s34, s34
	s_delay_alu instid0(SALU_CYCLE_1) | instskip(NEXT) | instid1(SALU_CYCLE_1)
	s_xor_b64 s[24:25], s[24:25], s[22:23]
	v_cvt_f32_u32_e32 v3, s24
	v_cvt_f32_u32_e32 v4, s25
	s_sub_u32 s0, 0, s24
	s_subb_u32 s16, 0, s25
	s_delay_alu instid0(VALU_DEP_1) | instskip(NEXT) | instid1(VALU_DEP_1)
	v_fmac_f32_e32 v3, 0x4f800000, v4
	v_rcp_f32_e32 v3, v3
	s_waitcnt_depctr 0xfff
	v_mul_f32_e32 v3, 0x5f7ffffc, v3
	s_delay_alu instid0(VALU_DEP_1) | instskip(NEXT) | instid1(VALU_DEP_1)
	v_mul_f32_e32 v4, 0x2f800000, v3
	v_trunc_f32_e32 v4, v4
	s_delay_alu instid0(VALU_DEP_1) | instskip(SKIP_1) | instid1(VALU_DEP_2)
	v_fmac_f32_e32 v3, 0xcf800000, v4
	v_cvt_u32_f32_e32 v4, v4
	v_cvt_u32_f32_e32 v3, v3
	s_delay_alu instid0(VALU_DEP_2) | instskip(NEXT) | instid1(VALU_DEP_2)
	v_mul_lo_u32 v5, s0, v4
	v_mul_hi_u32 v6, s0, v3
	v_mul_lo_u32 v7, s16, v3
	s_delay_alu instid0(VALU_DEP_2) | instskip(SKIP_1) | instid1(VALU_DEP_2)
	v_add_nc_u32_e32 v5, v6, v5
	v_mul_lo_u32 v6, s0, v3
	v_add_nc_u32_e32 v5, v5, v7
	s_delay_alu instid0(VALU_DEP_2) | instskip(NEXT) | instid1(VALU_DEP_2)
	v_mul_hi_u32 v7, v3, v6
	v_mul_lo_u32 v8, v3, v5
	v_mul_hi_u32 v9, v3, v5
	v_mul_hi_u32 v10, v4, v6
	v_mul_lo_u32 v6, v4, v6
	v_mul_hi_u32 v11, v4, v5
	v_mul_lo_u32 v5, v4, v5
	v_add_co_u32 v7, vcc_lo, v7, v8
	v_add_co_ci_u32_e32 v8, vcc_lo, 0, v9, vcc_lo
	s_delay_alu instid0(VALU_DEP_2) | instskip(NEXT) | instid1(VALU_DEP_2)
	v_add_co_u32 v6, vcc_lo, v7, v6
	v_add_co_ci_u32_e32 v6, vcc_lo, v8, v10, vcc_lo
	v_add_co_ci_u32_e32 v7, vcc_lo, 0, v11, vcc_lo
	v_ashrrev_i32_e32 v10, 31, v1
	s_delay_alu instid0(VALU_DEP_3) | instskip(NEXT) | instid1(VALU_DEP_3)
	v_add_co_u32 v5, vcc_lo, v6, v5
	v_add_co_ci_u32_e32 v6, vcc_lo, 0, v7, vcc_lo
	s_delay_alu instid0(VALU_DEP_2) | instskip(NEXT) | instid1(VALU_DEP_2)
	v_add_co_u32 v3, vcc_lo, v3, v5
	v_add_co_ci_u32_e32 v4, vcc_lo, v4, v6, vcc_lo
	s_delay_alu instid0(VALU_DEP_2) | instskip(SKIP_1) | instid1(VALU_DEP_3)
	v_mul_hi_u32 v5, s0, v3
	v_mul_lo_u32 v7, s16, v3
	v_mul_lo_u32 v6, s0, v4
	s_delay_alu instid0(VALU_DEP_1) | instskip(SKIP_1) | instid1(VALU_DEP_2)
	v_add_nc_u32_e32 v5, v5, v6
	v_mul_lo_u32 v6, s0, v3
	v_add_nc_u32_e32 v5, v5, v7
	s_delay_alu instid0(VALU_DEP_2) | instskip(NEXT) | instid1(VALU_DEP_2)
	v_mul_hi_u32 v7, v3, v6
	v_mul_lo_u32 v8, v3, v5
	v_mul_hi_u32 v9, v3, v5
	v_mul_hi_u32 v11, v4, v6
	v_mul_lo_u32 v6, v4, v6
	v_mul_hi_u32 v12, v4, v5
	v_mul_lo_u32 v5, v4, v5
	v_add_co_u32 v7, vcc_lo, v7, v8
	v_add_co_ci_u32_e32 v8, vcc_lo, 0, v9, vcc_lo
	s_delay_alu instid0(VALU_DEP_2) | instskip(NEXT) | instid1(VALU_DEP_2)
	v_add_co_u32 v6, vcc_lo, v7, v6
	v_add_co_ci_u32_e32 v6, vcc_lo, v8, v11, vcc_lo
	v_add_co_ci_u32_e32 v7, vcc_lo, 0, v12, vcc_lo
	v_add_co_u32 v8, vcc_lo, v0, v10
	v_add_co_ci_u32_e32 v9, vcc_lo, v1, v10, vcc_lo
	s_delay_alu instid0(VALU_DEP_4) | instskip(NEXT) | instid1(VALU_DEP_4)
	v_add_co_u32 v5, vcc_lo, v6, v5
	v_add_co_ci_u32_e32 v6, vcc_lo, 0, v7, vcc_lo
	s_delay_alu instid0(VALU_DEP_4) | instskip(NEXT) | instid1(VALU_DEP_3)
	v_xor_b32_e32 v11, v8, v10
	v_add_co_u32 v7, vcc_lo, v3, v5
	s_delay_alu instid0(VALU_DEP_3) | instskip(SKIP_1) | instid1(VALU_DEP_3)
	v_add_co_ci_u32_e32 v12, vcc_lo, v4, v6, vcc_lo
	v_xor_b32_e32 v9, v9, v10
	v_mul_hi_u32 v13, v11, v7
	s_delay_alu instid0(VALU_DEP_3) | instskip(NEXT) | instid1(VALU_DEP_3)
	v_mad_u64_u32 v[3:4], null, v11, v12, 0
	v_mad_u64_u32 v[5:6], null, v9, v7, 0
	;; [unrolled: 1-line block ×3, first 2 shown]
	s_delay_alu instid0(VALU_DEP_3) | instskip(NEXT) | instid1(VALU_DEP_4)
	v_add_co_u32 v3, vcc_lo, v13, v3
	v_add_co_ci_u32_e32 v4, vcc_lo, 0, v4, vcc_lo
	s_delay_alu instid0(VALU_DEP_2) | instskip(NEXT) | instid1(VALU_DEP_2)
	v_add_co_u32 v3, vcc_lo, v3, v5
	v_add_co_ci_u32_e32 v3, vcc_lo, v4, v6, vcc_lo
	v_add_co_ci_u32_e32 v4, vcc_lo, 0, v8, vcc_lo
	s_delay_alu instid0(VALU_DEP_2) | instskip(NEXT) | instid1(VALU_DEP_2)
	v_add_co_u32 v5, vcc_lo, v3, v7
	v_add_co_ci_u32_e32 v6, vcc_lo, 0, v4, vcc_lo
	s_delay_alu instid0(VALU_DEP_2) | instskip(SKIP_1) | instid1(VALU_DEP_3)
	v_mul_lo_u32 v7, s25, v5
	v_mad_u64_u32 v[3:4], null, s24, v5, 0
	v_mul_lo_u32 v8, s24, v6
	s_delay_alu instid0(VALU_DEP_2) | instskip(NEXT) | instid1(VALU_DEP_2)
	v_sub_co_u32 v3, vcc_lo, v11, v3
	v_add3_u32 v4, v4, v8, v7
	s_delay_alu instid0(VALU_DEP_1) | instskip(NEXT) | instid1(VALU_DEP_1)
	v_sub_nc_u32_e32 v7, v9, v4
	v_subrev_co_ci_u32_e64 v7, s0, s25, v7, vcc_lo
	v_add_co_u32 v8, s0, v5, 2
	s_delay_alu instid0(VALU_DEP_1) | instskip(SKIP_3) | instid1(VALU_DEP_3)
	v_add_co_ci_u32_e64 v11, s0, 0, v6, s0
	v_sub_co_u32 v12, s0, v3, s24
	v_sub_co_ci_u32_e32 v4, vcc_lo, v9, v4, vcc_lo
	v_subrev_co_ci_u32_e64 v7, s0, 0, v7, s0
	v_cmp_le_u32_e32 vcc_lo, s24, v12
	s_delay_alu instid0(VALU_DEP_3) | instskip(SKIP_1) | instid1(VALU_DEP_4)
	v_cmp_eq_u32_e64 s0, s25, v4
	v_cndmask_b32_e64 v9, 0, -1, vcc_lo
	v_cmp_le_u32_e32 vcc_lo, s25, v7
	v_cndmask_b32_e64 v12, 0, -1, vcc_lo
	v_cmp_le_u32_e32 vcc_lo, s24, v3
	;; [unrolled: 2-line block ×3, first 2 shown]
	v_cndmask_b32_e64 v13, 0, -1, vcc_lo
	v_cmp_eq_u32_e32 vcc_lo, s25, v7
	s_delay_alu instid0(VALU_DEP_2) | instskip(SKIP_3) | instid1(VALU_DEP_3)
	v_cndmask_b32_e64 v3, v13, v3, s0
	v_cndmask_b32_e32 v7, v12, v9, vcc_lo
	v_add_co_u32 v9, vcc_lo, v5, 1
	v_add_co_ci_u32_e32 v12, vcc_lo, 0, v6, vcc_lo
	v_cmp_ne_u32_e32 vcc_lo, 0, v7
	s_delay_alu instid0(VALU_DEP_2) | instskip(SKIP_2) | instid1(VALU_DEP_3)
	v_dual_cndmask_b32 v4, v12, v11 :: v_dual_cndmask_b32 v7, v9, v8
	v_cmp_ne_u32_e32 vcc_lo, 0, v3
	v_xor_b32_e32 v3, s22, v10
	v_dual_cndmask_b32 v5, v5, v7 :: v_dual_cndmask_b32 v4, v6, v4
	v_xor_b32_e32 v6, s23, v10
	s_delay_alu instid0(VALU_DEP_2) | instskip(NEXT) | instid1(VALU_DEP_2)
	v_xor_b32_e32 v5, v5, v3
	v_xor_b32_e32 v7, v4, v6
	s_delay_alu instid0(VALU_DEP_2) | instskip(NEXT) | instid1(VALU_DEP_2)
	v_sub_co_u32 v4, vcc_lo, v5, v3
	v_sub_co_ci_u32_e32 v5, vcc_lo, v7, v6, vcc_lo
.LBB61_5:                               ;   in Loop: Header=BB61_3 Depth=1
	s_and_not1_saveexec_b32 s0, s13
; %bb.6:                                ;   in Loop: Header=BB61_3 Depth=1
	v_mul_hi_u32 v3, v0, v18
	s_delay_alu instid0(VALU_DEP_1) | instskip(NEXT) | instid1(VALU_DEP_1)
	v_mul_lo_u32 v4, v3, s30
	v_sub_nc_u32_e32 v4, v0, v4
	s_delay_alu instid0(VALU_DEP_1) | instskip(SKIP_1) | instid1(VALU_DEP_2)
	v_subrev_nc_u32_e32 v6, s30, v4
	v_cmp_le_u32_e32 vcc_lo, s30, v4
	v_dual_cndmask_b32 v4, v4, v6 :: v_dual_add_nc_u32 v5, 1, v3
	s_delay_alu instid0(VALU_DEP_1) | instskip(NEXT) | instid1(VALU_DEP_2)
	v_cndmask_b32_e32 v3, v3, v5, vcc_lo
	v_cmp_le_u32_e32 vcc_lo, s30, v4
	s_delay_alu instid0(VALU_DEP_2) | instskip(NEXT) | instid1(VALU_DEP_1)
	v_add_nc_u32_e32 v5, 1, v3
	v_dual_cndmask_b32 v4, v3, v5 :: v_dual_mov_b32 v5, v2
; %bb.7:                                ;   in Loop: Header=BB61_3 Depth=1
	s_or_b32 exec_lo, exec_lo, s0
	s_delay_alu instid0(VALU_DEP_1) | instskip(SKIP_1) | instid1(VALU_DEP_1)
	v_or_b32_e32 v3, s35, v5
                                        ; implicit-def: $vgpr8_vgpr9
	s_mov_b32 s0, exec_lo
	v_cmpx_ne_u64_e32 0, v[2:3]
	s_xor_b32 s13, exec_lo, s0
	s_cbranch_execz .LBB61_9
; %bb.8:                                ;   in Loop: Header=BB61_3 Depth=1
	s_add_u32 s24, s8, s35
	s_mov_b32 s22, s35
	s_mov_b32 s23, s35
	s_addc_u32 s25, s35, s35
	s_delay_alu instid0(SALU_CYCLE_1) | instskip(NEXT) | instid1(SALU_CYCLE_1)
	s_xor_b64 s[24:25], s[24:25], s[22:23]
	v_cvt_f32_u32_e32 v3, s24
	v_cvt_f32_u32_e32 v6, s25
	s_sub_u32 s0, 0, s24
	s_subb_u32 s16, 0, s25
	s_delay_alu instid0(VALU_DEP_1) | instskip(NEXT) | instid1(VALU_DEP_1)
	v_fmac_f32_e32 v3, 0x4f800000, v6
	v_rcp_f32_e32 v3, v3
	s_waitcnt_depctr 0xfff
	v_mul_f32_e32 v3, 0x5f7ffffc, v3
	s_delay_alu instid0(VALU_DEP_1) | instskip(NEXT) | instid1(VALU_DEP_1)
	v_mul_f32_e32 v6, 0x2f800000, v3
	v_trunc_f32_e32 v6, v6
	s_delay_alu instid0(VALU_DEP_1) | instskip(SKIP_1) | instid1(VALU_DEP_2)
	v_fmac_f32_e32 v3, 0xcf800000, v6
	v_cvt_u32_f32_e32 v6, v6
	v_cvt_u32_f32_e32 v3, v3
	s_delay_alu instid0(VALU_DEP_2) | instskip(NEXT) | instid1(VALU_DEP_2)
	v_mul_lo_u32 v7, s0, v6
	v_mul_hi_u32 v8, s0, v3
	v_mul_lo_u32 v9, s16, v3
	s_delay_alu instid0(VALU_DEP_2) | instskip(SKIP_1) | instid1(VALU_DEP_2)
	v_add_nc_u32_e32 v7, v8, v7
	v_mul_lo_u32 v8, s0, v3
	v_add_nc_u32_e32 v7, v7, v9
	s_delay_alu instid0(VALU_DEP_2) | instskip(NEXT) | instid1(VALU_DEP_2)
	v_mul_hi_u32 v9, v3, v8
	v_mul_lo_u32 v10, v3, v7
	v_mul_hi_u32 v11, v3, v7
	v_mul_hi_u32 v12, v6, v8
	v_mul_lo_u32 v8, v6, v8
	v_mul_hi_u32 v13, v6, v7
	v_mul_lo_u32 v7, v6, v7
	v_add_co_u32 v9, vcc_lo, v9, v10
	v_add_co_ci_u32_e32 v10, vcc_lo, 0, v11, vcc_lo
	s_delay_alu instid0(VALU_DEP_2) | instskip(NEXT) | instid1(VALU_DEP_2)
	v_add_co_u32 v8, vcc_lo, v9, v8
	v_add_co_ci_u32_e32 v8, vcc_lo, v10, v12, vcc_lo
	v_add_co_ci_u32_e32 v9, vcc_lo, 0, v13, vcc_lo
	v_ashrrev_i32_e32 v12, 31, v5
	s_delay_alu instid0(VALU_DEP_3) | instskip(NEXT) | instid1(VALU_DEP_3)
	v_add_co_u32 v7, vcc_lo, v8, v7
	v_add_co_ci_u32_e32 v8, vcc_lo, 0, v9, vcc_lo
	s_delay_alu instid0(VALU_DEP_2) | instskip(NEXT) | instid1(VALU_DEP_2)
	v_add_co_u32 v3, vcc_lo, v3, v7
	v_add_co_ci_u32_e32 v6, vcc_lo, v6, v8, vcc_lo
	s_delay_alu instid0(VALU_DEP_2) | instskip(SKIP_1) | instid1(VALU_DEP_3)
	v_mul_hi_u32 v7, s0, v3
	v_mul_lo_u32 v9, s16, v3
	v_mul_lo_u32 v8, s0, v6
	s_delay_alu instid0(VALU_DEP_1) | instskip(SKIP_1) | instid1(VALU_DEP_2)
	v_add_nc_u32_e32 v7, v7, v8
	v_mul_lo_u32 v8, s0, v3
	v_add_nc_u32_e32 v7, v7, v9
	s_delay_alu instid0(VALU_DEP_2) | instskip(NEXT) | instid1(VALU_DEP_2)
	v_mul_hi_u32 v9, v3, v8
	v_mul_lo_u32 v10, v3, v7
	v_mul_hi_u32 v11, v3, v7
	v_mul_hi_u32 v13, v6, v8
	v_mul_lo_u32 v8, v6, v8
	v_mul_hi_u32 v14, v6, v7
	v_mul_lo_u32 v7, v6, v7
	v_add_co_u32 v9, vcc_lo, v9, v10
	v_add_co_ci_u32_e32 v10, vcc_lo, 0, v11, vcc_lo
	s_delay_alu instid0(VALU_DEP_2) | instskip(NEXT) | instid1(VALU_DEP_2)
	v_add_co_u32 v8, vcc_lo, v9, v8
	v_add_co_ci_u32_e32 v8, vcc_lo, v10, v13, vcc_lo
	v_add_co_ci_u32_e32 v9, vcc_lo, 0, v14, vcc_lo
	v_add_co_u32 v10, vcc_lo, v4, v12
	v_add_co_ci_u32_e32 v5, vcc_lo, v5, v12, vcc_lo
	s_delay_alu instid0(VALU_DEP_4) | instskip(NEXT) | instid1(VALU_DEP_4)
	v_add_co_u32 v7, vcc_lo, v8, v7
	v_add_co_ci_u32_e32 v8, vcc_lo, 0, v9, vcc_lo
	s_delay_alu instid0(VALU_DEP_4) | instskip(NEXT) | instid1(VALU_DEP_3)
	v_xor_b32_e32 v11, v10, v12
	v_add_co_u32 v3, vcc_lo, v3, v7
	s_delay_alu instid0(VALU_DEP_3) | instskip(SKIP_1) | instid1(VALU_DEP_3)
	v_add_co_ci_u32_e32 v13, vcc_lo, v6, v8, vcc_lo
	v_xor_b32_e32 v14, v5, v12
	v_mul_hi_u32 v15, v11, v3
	s_delay_alu instid0(VALU_DEP_3) | instskip(NEXT) | instid1(VALU_DEP_3)
	v_mad_u64_u32 v[5:6], null, v11, v13, 0
	v_mad_u64_u32 v[7:8], null, v14, v3, 0
	;; [unrolled: 1-line block ×3, first 2 shown]
	s_delay_alu instid0(VALU_DEP_3) | instskip(NEXT) | instid1(VALU_DEP_4)
	v_add_co_u32 v3, vcc_lo, v15, v5
	v_add_co_ci_u32_e32 v5, vcc_lo, 0, v6, vcc_lo
	s_delay_alu instid0(VALU_DEP_2) | instskip(NEXT) | instid1(VALU_DEP_2)
	v_add_co_u32 v3, vcc_lo, v3, v7
	v_add_co_ci_u32_e32 v3, vcc_lo, v5, v8, vcc_lo
	v_add_co_ci_u32_e32 v5, vcc_lo, 0, v10, vcc_lo
	s_delay_alu instid0(VALU_DEP_2) | instskip(NEXT) | instid1(VALU_DEP_2)
	v_add_co_u32 v3, vcc_lo, v3, v9
	v_add_co_ci_u32_e32 v7, vcc_lo, 0, v5, vcc_lo
	s_delay_alu instid0(VALU_DEP_2) | instskip(SKIP_1) | instid1(VALU_DEP_3)
	v_mul_lo_u32 v8, s25, v3
	v_mad_u64_u32 v[5:6], null, s24, v3, 0
	v_mul_lo_u32 v9, s24, v7
	s_delay_alu instid0(VALU_DEP_2) | instskip(NEXT) | instid1(VALU_DEP_2)
	v_sub_co_u32 v5, vcc_lo, v11, v5
	v_add3_u32 v6, v6, v9, v8
	s_delay_alu instid0(VALU_DEP_1) | instskip(NEXT) | instid1(VALU_DEP_1)
	v_sub_nc_u32_e32 v8, v14, v6
	v_subrev_co_ci_u32_e64 v8, s0, s25, v8, vcc_lo
	v_add_co_u32 v9, s0, v3, 2
	s_delay_alu instid0(VALU_DEP_1) | instskip(SKIP_3) | instid1(VALU_DEP_3)
	v_add_co_ci_u32_e64 v10, s0, 0, v7, s0
	v_sub_co_u32 v11, s0, v5, s24
	v_sub_co_ci_u32_e32 v6, vcc_lo, v14, v6, vcc_lo
	v_subrev_co_ci_u32_e64 v8, s0, 0, v8, s0
	v_cmp_le_u32_e32 vcc_lo, s24, v11
	s_delay_alu instid0(VALU_DEP_3) | instskip(SKIP_1) | instid1(VALU_DEP_4)
	v_cmp_eq_u32_e64 s0, s25, v6
	v_cndmask_b32_e64 v11, 0, -1, vcc_lo
	v_cmp_le_u32_e32 vcc_lo, s25, v8
	v_cndmask_b32_e64 v13, 0, -1, vcc_lo
	v_cmp_le_u32_e32 vcc_lo, s24, v5
	;; [unrolled: 2-line block ×3, first 2 shown]
	v_cndmask_b32_e64 v14, 0, -1, vcc_lo
	v_cmp_eq_u32_e32 vcc_lo, s25, v8
	s_delay_alu instid0(VALU_DEP_2) | instskip(SKIP_3) | instid1(VALU_DEP_3)
	v_cndmask_b32_e64 v5, v14, v5, s0
	v_cndmask_b32_e32 v8, v13, v11, vcc_lo
	v_add_co_u32 v11, vcc_lo, v3, 1
	v_add_co_ci_u32_e32 v13, vcc_lo, 0, v7, vcc_lo
	v_cmp_ne_u32_e32 vcc_lo, 0, v8
	s_delay_alu instid0(VALU_DEP_3) | instskip(NEXT) | instid1(VALU_DEP_3)
	v_cndmask_b32_e32 v8, v11, v9, vcc_lo
	v_cndmask_b32_e32 v6, v13, v10, vcc_lo
	v_cmp_ne_u32_e32 vcc_lo, 0, v5
	v_xor_b32_e32 v5, s22, v12
	s_delay_alu instid0(VALU_DEP_4) | instskip(NEXT) | instid1(VALU_DEP_4)
	v_cndmask_b32_e32 v3, v3, v8, vcc_lo
	v_cndmask_b32_e32 v6, v7, v6, vcc_lo
	v_xor_b32_e32 v7, s23, v12
	s_delay_alu instid0(VALU_DEP_3) | instskip(NEXT) | instid1(VALU_DEP_2)
	v_xor_b32_e32 v3, v3, v5
	v_xor_b32_e32 v6, v6, v7
	s_delay_alu instid0(VALU_DEP_2) | instskip(NEXT) | instid1(VALU_DEP_2)
	v_sub_co_u32 v8, vcc_lo, v3, v5
	v_sub_co_ci_u32_e32 v9, vcc_lo, v6, v7, vcc_lo
.LBB61_9:                               ;   in Loop: Header=BB61_3 Depth=1
	s_and_not1_saveexec_b32 s0, s13
	s_cbranch_execz .LBB61_11
; %bb.10:                               ;   in Loop: Header=BB61_3 Depth=1
	v_cvt_f32_u32_e32 v3, s8
	s_sub_i32 s13, 0, s8
	v_mov_b32_e32 v9, v2
	s_delay_alu instid0(VALU_DEP_2) | instskip(SKIP_2) | instid1(VALU_DEP_1)
	v_rcp_iflag_f32_e32 v3, v3
	s_waitcnt_depctr 0xfff
	v_mul_f32_e32 v3, 0x4f7ffffe, v3
	v_cvt_u32_f32_e32 v3, v3
	s_delay_alu instid0(VALU_DEP_1) | instskip(NEXT) | instid1(VALU_DEP_1)
	v_mul_lo_u32 v5, s13, v3
	v_mul_hi_u32 v5, v3, v5
	s_delay_alu instid0(VALU_DEP_1) | instskip(NEXT) | instid1(VALU_DEP_1)
	v_add_nc_u32_e32 v3, v3, v5
	v_mul_hi_u32 v3, v4, v3
	s_delay_alu instid0(VALU_DEP_1) | instskip(SKIP_1) | instid1(VALU_DEP_2)
	v_mul_lo_u32 v5, v3, s8
	v_add_nc_u32_e32 v6, 1, v3
	v_sub_nc_u32_e32 v5, v4, v5
	s_delay_alu instid0(VALU_DEP_1) | instskip(SKIP_1) | instid1(VALU_DEP_4)
	v_cmp_le_u32_e32 vcc_lo, s8, v5
	v_subrev_nc_u32_e32 v7, s8, v5
	v_cndmask_b32_e32 v3, v3, v6, vcc_lo
	s_delay_alu instid0(VALU_DEP_1) | instskip(NEXT) | instid1(VALU_DEP_3)
	v_add_nc_u32_e32 v6, 1, v3
	v_cndmask_b32_e32 v5, v5, v7, vcc_lo
	s_delay_alu instid0(VALU_DEP_1) | instskip(NEXT) | instid1(VALU_DEP_3)
	v_cmp_le_u32_e32 vcc_lo, s8, v5
	v_cndmask_b32_e32 v8, v3, v6, vcc_lo
.LBB61_11:                              ;   in Loop: Header=BB61_3 Depth=1
	s_or_b32 exec_lo, exec_lo, s0
	v_mad_u64_u32 v[5:6], null, v4, s30, 0
	s_delay_alu instid0(VALU_DEP_2) | instskip(SKIP_1) | instid1(VALU_DEP_2)
	v_mad_u64_u32 v[6:7], null, v8, s8, 0
	s_and_not1_b32 vcc_lo, exec_lo, s1
	v_sub_co_u32 v19, null, v0, v5
	s_delay_alu instid0(VALU_DEP_2) | instskip(NEXT) | instid1(VALU_DEP_2)
	v_sub_co_u32 v20, null, v4, v6
	v_mul_lo_u32 v3, s18, v19
	v_mul_lo_u32 v10, s20, v19
	s_delay_alu instid0(VALU_DEP_2) | instskip(NEXT) | instid1(VALU_DEP_2)
	v_mad_u64_u32 v[6:7], null, s10, v20, v[3:4]
	v_mad_u64_u32 v[4:5], null, s12, v20, v[10:11]
	s_cbranch_vccnz .LBB61_40
; %bb.12:                               ;   in Loop: Header=BB61_3 Depth=1
	s_and_not1_b32 vcc_lo, exec_lo, s41
	s_mov_b32 s13, 1
	s_cbranch_vccnz .LBB61_20
; %bb.13:                               ;   in Loop: Header=BB61_3 Depth=1
	v_dual_mov_b32 v11, v9 :: v_dual_mov_b32 v10, v8
	s_mov_b32 s16, s38
.LBB61_14:                              ;   Parent Loop BB61_3 Depth=1
                                        ; =>  This Inner Loop Header: Depth=2
	s_delay_alu instid0(SALU_CYCLE_1)
	s_lshl_b64 s[24:25], s[16:17], 2
                                        ; implicit-def: $vgpr8_vgpr9
	s_mov_b32 s26, exec_lo
	s_add_u32 s22, s31, s24
	s_addc_u32 s23, s33, s25
	s_load_b32 s43, s[22:23], 0x8
	s_waitcnt lgkmcnt(0)
	s_ashr_i32 s0, s43, 31
	s_delay_alu instid0(SALU_CYCLE_1) | instskip(NEXT) | instid1(VALU_DEP_1)
	v_or_b32_e32 v3, s0, v11
	v_cmpx_ne_u64_e32 0, v[2:3]
	s_xor_b32 s44, exec_lo, s26
	s_cbranch_execz .LBB61_16
; %bb.15:                               ;   in Loop: Header=BB61_14 Depth=2
	s_add_u32 s28, s43, s0
	s_mov_b32 s26, s0
	s_mov_b32 s27, s0
	s_addc_u32 s29, s0, s0
	s_delay_alu instid0(SALU_CYCLE_1) | instskip(NEXT) | instid1(SALU_CYCLE_1)
	s_xor_b64 s[28:29], s[28:29], s[26:27]
	v_cvt_f32_u32_e32 v3, s28
	v_cvt_f32_u32_e32 v5, s29
	s_sub_u32 s0, 0, s28
	s_subb_u32 s45, 0, s29
	s_delay_alu instid0(VALU_DEP_1) | instskip(NEXT) | instid1(VALU_DEP_1)
	v_fmac_f32_e32 v3, 0x4f800000, v5
	v_rcp_f32_e32 v3, v3
	s_waitcnt_depctr 0xfff
	v_mul_f32_e32 v3, 0x5f7ffffc, v3
	s_delay_alu instid0(VALU_DEP_1) | instskip(NEXT) | instid1(VALU_DEP_1)
	v_mul_f32_e32 v5, 0x2f800000, v3
	v_trunc_f32_e32 v5, v5
	s_delay_alu instid0(VALU_DEP_1) | instskip(SKIP_1) | instid1(VALU_DEP_2)
	v_fmac_f32_e32 v3, 0xcf800000, v5
	v_cvt_u32_f32_e32 v5, v5
	v_cvt_u32_f32_e32 v3, v3
	s_delay_alu instid0(VALU_DEP_2) | instskip(NEXT) | instid1(VALU_DEP_2)
	v_mul_lo_u32 v7, s0, v5
	v_mul_hi_u32 v8, s0, v3
	v_mul_lo_u32 v9, s45, v3
	s_delay_alu instid0(VALU_DEP_2) | instskip(SKIP_1) | instid1(VALU_DEP_2)
	v_add_nc_u32_e32 v7, v8, v7
	v_mul_lo_u32 v8, s0, v3
	v_add_nc_u32_e32 v7, v7, v9
	s_delay_alu instid0(VALU_DEP_2) | instskip(NEXT) | instid1(VALU_DEP_2)
	v_mul_hi_u32 v9, v3, v8
	v_mul_lo_u32 v12, v3, v7
	v_mul_hi_u32 v13, v3, v7
	v_mul_hi_u32 v14, v5, v8
	v_mul_lo_u32 v8, v5, v8
	v_mul_hi_u32 v15, v5, v7
	v_mul_lo_u32 v7, v5, v7
	v_add_co_u32 v9, vcc_lo, v9, v12
	v_add_co_ci_u32_e32 v12, vcc_lo, 0, v13, vcc_lo
	s_delay_alu instid0(VALU_DEP_2) | instskip(NEXT) | instid1(VALU_DEP_2)
	v_add_co_u32 v8, vcc_lo, v9, v8
	v_add_co_ci_u32_e32 v8, vcc_lo, v12, v14, vcc_lo
	v_add_co_ci_u32_e32 v9, vcc_lo, 0, v15, vcc_lo
	v_ashrrev_i32_e32 v15, 31, v11
	s_delay_alu instid0(VALU_DEP_3) | instskip(NEXT) | instid1(VALU_DEP_3)
	v_add_co_u32 v7, vcc_lo, v8, v7
	v_add_co_ci_u32_e32 v8, vcc_lo, 0, v9, vcc_lo
	s_delay_alu instid0(VALU_DEP_2) | instskip(NEXT) | instid1(VALU_DEP_2)
	v_add_co_u32 v3, vcc_lo, v3, v7
	v_add_co_ci_u32_e32 v5, vcc_lo, v5, v8, vcc_lo
	s_delay_alu instid0(VALU_DEP_2) | instskip(SKIP_1) | instid1(VALU_DEP_3)
	v_mul_hi_u32 v7, s0, v3
	v_mul_lo_u32 v9, s45, v3
	v_mul_lo_u32 v8, s0, v5
	s_delay_alu instid0(VALU_DEP_1) | instskip(SKIP_1) | instid1(VALU_DEP_2)
	v_add_nc_u32_e32 v7, v7, v8
	v_mul_lo_u32 v8, s0, v3
	v_add_nc_u32_e32 v7, v7, v9
	s_delay_alu instid0(VALU_DEP_2) | instskip(NEXT) | instid1(VALU_DEP_2)
	v_mul_hi_u32 v9, v3, v8
	v_mul_lo_u32 v12, v3, v7
	v_mul_hi_u32 v13, v3, v7
	v_mul_hi_u32 v14, v5, v8
	v_mul_lo_u32 v8, v5, v8
	v_mul_hi_u32 v16, v5, v7
	v_mul_lo_u32 v7, v5, v7
	v_add_co_u32 v9, vcc_lo, v9, v12
	v_add_co_ci_u32_e32 v12, vcc_lo, 0, v13, vcc_lo
	s_delay_alu instid0(VALU_DEP_2) | instskip(NEXT) | instid1(VALU_DEP_2)
	v_add_co_u32 v8, vcc_lo, v9, v8
	v_add_co_ci_u32_e32 v8, vcc_lo, v12, v14, vcc_lo
	v_add_co_ci_u32_e32 v9, vcc_lo, 0, v16, vcc_lo
	v_add_co_u32 v12, vcc_lo, v10, v15
	v_add_co_ci_u32_e32 v11, vcc_lo, v11, v15, vcc_lo
	s_delay_alu instid0(VALU_DEP_4) | instskip(NEXT) | instid1(VALU_DEP_4)
	v_add_co_u32 v7, vcc_lo, v8, v7
	v_add_co_ci_u32_e32 v8, vcc_lo, 0, v9, vcc_lo
	s_delay_alu instid0(VALU_DEP_4) | instskip(NEXT) | instid1(VALU_DEP_3)
	v_xor_b32_e32 v9, v12, v15
	v_add_co_u32 v3, vcc_lo, v3, v7
	s_delay_alu instid0(VALU_DEP_3) | instskip(SKIP_1) | instid1(VALU_DEP_3)
	v_add_co_ci_u32_e32 v5, vcc_lo, v5, v8, vcc_lo
	v_xor_b32_e32 v16, v11, v15
	v_mul_hi_u32 v17, v9, v3
	s_delay_alu instid0(VALU_DEP_3) | instskip(NEXT) | instid1(VALU_DEP_3)
	v_mad_u64_u32 v[7:8], null, v9, v5, 0
	v_mad_u64_u32 v[11:12], null, v16, v3, 0
	;; [unrolled: 1-line block ×3, first 2 shown]
	s_delay_alu instid0(VALU_DEP_3) | instskip(NEXT) | instid1(VALU_DEP_4)
	v_add_co_u32 v3, vcc_lo, v17, v7
	v_add_co_ci_u32_e32 v5, vcc_lo, 0, v8, vcc_lo
	s_delay_alu instid0(VALU_DEP_2) | instskip(NEXT) | instid1(VALU_DEP_2)
	v_add_co_u32 v3, vcc_lo, v3, v11
	v_add_co_ci_u32_e32 v3, vcc_lo, v5, v12, vcc_lo
	v_add_co_ci_u32_e32 v5, vcc_lo, 0, v14, vcc_lo
	s_delay_alu instid0(VALU_DEP_2) | instskip(NEXT) | instid1(VALU_DEP_2)
	v_add_co_u32 v3, vcc_lo, v3, v13
	v_add_co_ci_u32_e32 v5, vcc_lo, 0, v5, vcc_lo
	s_delay_alu instid0(VALU_DEP_2) | instskip(SKIP_1) | instid1(VALU_DEP_3)
	v_mul_lo_u32 v11, s29, v3
	v_mad_u64_u32 v[7:8], null, s28, v3, 0
	v_mul_lo_u32 v12, s28, v5
	s_delay_alu instid0(VALU_DEP_2) | instskip(NEXT) | instid1(VALU_DEP_2)
	v_sub_co_u32 v7, vcc_lo, v9, v7
	v_add3_u32 v8, v8, v12, v11
	s_delay_alu instid0(VALU_DEP_1) | instskip(NEXT) | instid1(VALU_DEP_1)
	v_sub_nc_u32_e32 v11, v16, v8
	v_subrev_co_ci_u32_e64 v9, s0, s29, v11, vcc_lo
	v_add_co_u32 v11, s0, v3, 2
	s_delay_alu instid0(VALU_DEP_1) | instskip(SKIP_3) | instid1(VALU_DEP_3)
	v_add_co_ci_u32_e64 v12, s0, 0, v5, s0
	v_sub_co_u32 v13, s0, v7, s28
	v_sub_co_ci_u32_e32 v8, vcc_lo, v16, v8, vcc_lo
	v_subrev_co_ci_u32_e64 v9, s0, 0, v9, s0
	v_cmp_le_u32_e32 vcc_lo, s28, v13
	s_delay_alu instid0(VALU_DEP_3) | instskip(SKIP_1) | instid1(VALU_DEP_4)
	v_cmp_eq_u32_e64 s0, s29, v8
	v_cndmask_b32_e64 v13, 0, -1, vcc_lo
	v_cmp_le_u32_e32 vcc_lo, s29, v9
	v_cndmask_b32_e64 v14, 0, -1, vcc_lo
	v_cmp_le_u32_e32 vcc_lo, s28, v7
	;; [unrolled: 2-line block ×3, first 2 shown]
	v_cndmask_b32_e64 v16, 0, -1, vcc_lo
	v_cmp_eq_u32_e32 vcc_lo, s29, v9
	s_delay_alu instid0(VALU_DEP_2) | instskip(SKIP_3) | instid1(VALU_DEP_3)
	v_cndmask_b32_e64 v7, v16, v7, s0
	v_cndmask_b32_e32 v9, v14, v13, vcc_lo
	v_add_co_u32 v13, vcc_lo, v3, 1
	v_add_co_ci_u32_e32 v14, vcc_lo, 0, v5, vcc_lo
	v_cmp_ne_u32_e32 vcc_lo, 0, v9
	s_delay_alu instid0(VALU_DEP_2) | instskip(SKIP_2) | instid1(VALU_DEP_3)
	v_dual_cndmask_b32 v8, v14, v12 :: v_dual_cndmask_b32 v9, v13, v11
	v_cmp_ne_u32_e32 vcc_lo, 0, v7
	v_xor_b32_e32 v7, s26, v15
	v_cndmask_b32_e32 v3, v3, v9, vcc_lo
	s_delay_alu instid0(VALU_DEP_4) | instskip(SKIP_1) | instid1(VALU_DEP_3)
	v_cndmask_b32_e32 v5, v5, v8, vcc_lo
	v_xor_b32_e32 v9, s27, v15
	v_xor_b32_e32 v3, v3, v7
	s_delay_alu instid0(VALU_DEP_2) | instskip(NEXT) | instid1(VALU_DEP_2)
	v_xor_b32_e32 v5, v5, v9
	v_sub_co_u32 v8, vcc_lo, v3, v7
	s_delay_alu instid0(VALU_DEP_2)
	v_sub_co_ci_u32_e32 v9, vcc_lo, v5, v9, vcc_lo
.LBB61_16:                              ;   in Loop: Header=BB61_14 Depth=2
	s_and_not1_saveexec_b32 s0, s44
	s_cbranch_execz .LBB61_18
; %bb.17:                               ;   in Loop: Header=BB61_14 Depth=2
	v_cvt_f32_u32_e32 v3, s43
	s_sub_i32 s26, 0, s43
	v_mov_b32_e32 v9, v2
	s_delay_alu instid0(VALU_DEP_2) | instskip(SKIP_2) | instid1(VALU_DEP_1)
	v_rcp_iflag_f32_e32 v3, v3
	s_waitcnt_depctr 0xfff
	v_mul_f32_e32 v3, 0x4f7ffffe, v3
	v_cvt_u32_f32_e32 v3, v3
	s_delay_alu instid0(VALU_DEP_1) | instskip(NEXT) | instid1(VALU_DEP_1)
	v_mul_lo_u32 v5, s26, v3
	v_mul_hi_u32 v5, v3, v5
	s_delay_alu instid0(VALU_DEP_1) | instskip(NEXT) | instid1(VALU_DEP_1)
	v_add_nc_u32_e32 v3, v3, v5
	v_mul_hi_u32 v3, v10, v3
	s_delay_alu instid0(VALU_DEP_1) | instskip(SKIP_1) | instid1(VALU_DEP_2)
	v_mul_lo_u32 v5, v3, s43
	v_add_nc_u32_e32 v7, 1, v3
	v_sub_nc_u32_e32 v5, v10, v5
	s_delay_alu instid0(VALU_DEP_1) | instskip(SKIP_1) | instid1(VALU_DEP_4)
	v_cmp_le_u32_e32 vcc_lo, s43, v5
	v_subrev_nc_u32_e32 v8, s43, v5
	v_cndmask_b32_e32 v3, v3, v7, vcc_lo
	s_delay_alu instid0(VALU_DEP_1) | instskip(NEXT) | instid1(VALU_DEP_3)
	v_add_nc_u32_e32 v7, 1, v3
	v_cndmask_b32_e32 v5, v5, v8, vcc_lo
	s_delay_alu instid0(VALU_DEP_1) | instskip(NEXT) | instid1(VALU_DEP_3)
	v_cmp_le_u32_e32 vcc_lo, s43, v5
	v_cndmask_b32_e32 v8, v3, v7, vcc_lo
.LBB61_18:                              ;   in Loop: Header=BB61_14 Depth=2
	s_or_b32 exec_lo, exec_lo, s0
	s_add_u32 s24, s36, s24
	s_addc_u32 s25, s37, s25
	s_clause 0x1
	s_load_b32 s0, s[22:23], 0x6c
	s_load_b32 s22, s[24:25], 0x0
	v_mul_lo_u32 v3, v8, s43
	s_add_i32 s16, s16, -1
	s_delay_alu instid0(VALU_DEP_1) | instskip(SKIP_1) | instid1(VALU_DEP_1)
	v_sub_nc_u32_e32 v3, v10, v3
	s_waitcnt lgkmcnt(0)
	v_mad_u64_u32 v[10:11], null, s0, v3, v[6:7]
	v_mad_u64_u32 v[5:6], null, s22, v3, v[4:5]
	s_xor_b32 s0, s39, s13
	s_add_i32 s13, s13, 1
	s_cmp_lg_u32 s0, 2
	s_delay_alu instid0(VALU_DEP_2) | instskip(NEXT) | instid1(VALU_DEP_2)
	v_mov_b32_e32 v6, v10
	v_mov_b32_e32 v4, v5
	s_cbranch_scc0 .LBB61_21
; %bb.19:                               ;   in Loop: Header=BB61_14 Depth=2
	v_dual_mov_b32 v11, v9 :: v_dual_mov_b32 v10, v8
	s_branch .LBB61_14
.LBB61_20:                              ;   in Loop: Header=BB61_3 Depth=1
	s_mov_b32 s16, s38
.LBB61_21:                              ;   in Loop: Header=BB61_3 Depth=1
	s_and_b32 vcc_lo, exec_lo, s42
	s_cbranch_vccz .LBB61_40
.LBB61_22:                              ;   Parent Loop BB61_3 Depth=1
                                        ; =>  This Inner Loop Header: Depth=2
	s_lshl_b64 s[22:23], s[16:17], 2
                                        ; implicit-def: $vgpr10_vgpr11
	s_mov_b32 s26, exec_lo
	s_add_u32 s24, s31, s22
	s_addc_u32 s25, s33, s23
	s_load_b32 s13, s[24:25], 0x8
	s_waitcnt lgkmcnt(0)
	s_ashr_i32 s0, s13, 31
	s_delay_alu instid0(SALU_CYCLE_1) | instskip(NEXT) | instid1(VALU_DEP_1)
	v_or_b32_e32 v3, s0, v9
	v_cmpx_ne_u64_e32 0, v[2:3]
	s_xor_b32 s43, exec_lo, s26
	s_cbranch_execz .LBB61_24
; %bb.23:                               ;   in Loop: Header=BB61_22 Depth=2
	s_add_u32 s28, s13, s0
	s_mov_b32 s26, s0
	s_mov_b32 s27, s0
	s_addc_u32 s29, s0, s0
	s_delay_alu instid0(SALU_CYCLE_1) | instskip(NEXT) | instid1(SALU_CYCLE_1)
	s_xor_b64 s[28:29], s[28:29], s[26:27]
	v_cvt_f32_u32_e32 v3, s28
	v_cvt_f32_u32_e32 v5, s29
	s_sub_u32 s0, 0, s28
	s_subb_u32 s44, 0, s29
	s_delay_alu instid0(VALU_DEP_1) | instskip(NEXT) | instid1(VALU_DEP_1)
	v_fmac_f32_e32 v3, 0x4f800000, v5
	v_rcp_f32_e32 v3, v3
	s_waitcnt_depctr 0xfff
	v_mul_f32_e32 v3, 0x5f7ffffc, v3
	s_delay_alu instid0(VALU_DEP_1) | instskip(NEXT) | instid1(VALU_DEP_1)
	v_mul_f32_e32 v5, 0x2f800000, v3
	v_trunc_f32_e32 v5, v5
	s_delay_alu instid0(VALU_DEP_1) | instskip(SKIP_1) | instid1(VALU_DEP_2)
	v_fmac_f32_e32 v3, 0xcf800000, v5
	v_cvt_u32_f32_e32 v5, v5
	v_cvt_u32_f32_e32 v3, v3
	s_delay_alu instid0(VALU_DEP_2) | instskip(NEXT) | instid1(VALU_DEP_2)
	v_mul_lo_u32 v7, s0, v5
	v_mul_hi_u32 v10, s0, v3
	v_mul_lo_u32 v11, s44, v3
	s_delay_alu instid0(VALU_DEP_2) | instskip(SKIP_1) | instid1(VALU_DEP_2)
	v_add_nc_u32_e32 v7, v10, v7
	v_mul_lo_u32 v10, s0, v3
	v_add_nc_u32_e32 v7, v7, v11
	s_delay_alu instid0(VALU_DEP_2) | instskip(NEXT) | instid1(VALU_DEP_2)
	v_mul_hi_u32 v11, v3, v10
	v_mul_lo_u32 v12, v3, v7
	v_mul_hi_u32 v13, v3, v7
	v_mul_hi_u32 v14, v5, v10
	v_mul_lo_u32 v10, v5, v10
	v_mul_hi_u32 v15, v5, v7
	v_mul_lo_u32 v7, v5, v7
	v_add_co_u32 v11, vcc_lo, v11, v12
	v_add_co_ci_u32_e32 v12, vcc_lo, 0, v13, vcc_lo
	s_delay_alu instid0(VALU_DEP_2) | instskip(NEXT) | instid1(VALU_DEP_2)
	v_add_co_u32 v10, vcc_lo, v11, v10
	v_add_co_ci_u32_e32 v10, vcc_lo, v12, v14, vcc_lo
	v_add_co_ci_u32_e32 v11, vcc_lo, 0, v15, vcc_lo
	v_ashrrev_i32_e32 v15, 31, v9
	s_delay_alu instid0(VALU_DEP_3) | instskip(NEXT) | instid1(VALU_DEP_3)
	v_add_co_u32 v7, vcc_lo, v10, v7
	v_add_co_ci_u32_e32 v10, vcc_lo, 0, v11, vcc_lo
	s_delay_alu instid0(VALU_DEP_2) | instskip(NEXT) | instid1(VALU_DEP_2)
	v_add_co_u32 v3, vcc_lo, v3, v7
	v_add_co_ci_u32_e32 v5, vcc_lo, v5, v10, vcc_lo
	s_delay_alu instid0(VALU_DEP_2) | instskip(SKIP_1) | instid1(VALU_DEP_3)
	v_mul_hi_u32 v7, s0, v3
	v_mul_lo_u32 v11, s44, v3
	v_mul_lo_u32 v10, s0, v5
	s_delay_alu instid0(VALU_DEP_1) | instskip(SKIP_1) | instid1(VALU_DEP_2)
	v_add_nc_u32_e32 v7, v7, v10
	v_mul_lo_u32 v10, s0, v3
	v_add_nc_u32_e32 v7, v7, v11
	s_delay_alu instid0(VALU_DEP_2) | instskip(NEXT) | instid1(VALU_DEP_2)
	v_mul_hi_u32 v11, v3, v10
	v_mul_lo_u32 v12, v3, v7
	v_mul_hi_u32 v13, v3, v7
	v_mul_hi_u32 v14, v5, v10
	v_mul_lo_u32 v10, v5, v10
	v_mul_hi_u32 v16, v5, v7
	v_mul_lo_u32 v7, v5, v7
	v_add_co_u32 v11, vcc_lo, v11, v12
	v_add_co_ci_u32_e32 v12, vcc_lo, 0, v13, vcc_lo
	s_delay_alu instid0(VALU_DEP_2) | instskip(NEXT) | instid1(VALU_DEP_2)
	v_add_co_u32 v10, vcc_lo, v11, v10
	v_add_co_ci_u32_e32 v10, vcc_lo, v12, v14, vcc_lo
	v_add_co_ci_u32_e32 v11, vcc_lo, 0, v16, vcc_lo
	v_add_co_u32 v12, vcc_lo, v8, v15
	v_add_co_ci_u32_e32 v9, vcc_lo, v9, v15, vcc_lo
	s_delay_alu instid0(VALU_DEP_4) | instskip(NEXT) | instid1(VALU_DEP_4)
	v_add_co_u32 v7, vcc_lo, v10, v7
	v_add_co_ci_u32_e32 v10, vcc_lo, 0, v11, vcc_lo
	s_delay_alu instid0(VALU_DEP_4) | instskip(NEXT) | instid1(VALU_DEP_3)
	v_xor_b32_e32 v16, v12, v15
	v_add_co_u32 v3, vcc_lo, v3, v7
	s_delay_alu instid0(VALU_DEP_3) | instskip(SKIP_1) | instid1(VALU_DEP_3)
	v_add_co_ci_u32_e32 v5, vcc_lo, v5, v10, vcc_lo
	v_xor_b32_e32 v7, v9, v15
	v_mul_hi_u32 v17, v16, v3
	s_delay_alu instid0(VALU_DEP_3) | instskip(NEXT) | instid1(VALU_DEP_3)
	v_mad_u64_u32 v[9:10], null, v16, v5, 0
	v_mad_u64_u32 v[11:12], null, v7, v3, 0
	;; [unrolled: 1-line block ×3, first 2 shown]
	s_delay_alu instid0(VALU_DEP_3) | instskip(NEXT) | instid1(VALU_DEP_4)
	v_add_co_u32 v3, vcc_lo, v17, v9
	v_add_co_ci_u32_e32 v5, vcc_lo, 0, v10, vcc_lo
	s_delay_alu instid0(VALU_DEP_2) | instskip(NEXT) | instid1(VALU_DEP_2)
	v_add_co_u32 v3, vcc_lo, v3, v11
	v_add_co_ci_u32_e32 v3, vcc_lo, v5, v12, vcc_lo
	v_add_co_ci_u32_e32 v5, vcc_lo, 0, v14, vcc_lo
	s_delay_alu instid0(VALU_DEP_2) | instskip(NEXT) | instid1(VALU_DEP_2)
	v_add_co_u32 v3, vcc_lo, v3, v13
	v_add_co_ci_u32_e32 v5, vcc_lo, 0, v5, vcc_lo
	s_delay_alu instid0(VALU_DEP_2) | instskip(SKIP_1) | instid1(VALU_DEP_3)
	v_mul_lo_u32 v11, s29, v3
	v_mad_u64_u32 v[9:10], null, s28, v3, 0
	v_mul_lo_u32 v12, s28, v5
	s_delay_alu instid0(VALU_DEP_2) | instskip(NEXT) | instid1(VALU_DEP_2)
	v_sub_co_u32 v9, vcc_lo, v16, v9
	v_add3_u32 v10, v10, v12, v11
	s_delay_alu instid0(VALU_DEP_1) | instskip(NEXT) | instid1(VALU_DEP_1)
	v_sub_nc_u32_e32 v11, v7, v10
	v_subrev_co_ci_u32_e64 v11, s0, s29, v11, vcc_lo
	v_add_co_u32 v12, s0, v3, 2
	s_delay_alu instid0(VALU_DEP_1) | instskip(SKIP_3) | instid1(VALU_DEP_3)
	v_add_co_ci_u32_e64 v13, s0, 0, v5, s0
	v_sub_co_u32 v14, s0, v9, s28
	v_sub_co_ci_u32_e32 v7, vcc_lo, v7, v10, vcc_lo
	v_subrev_co_ci_u32_e64 v11, s0, 0, v11, s0
	v_cmp_le_u32_e32 vcc_lo, s28, v14
	s_delay_alu instid0(VALU_DEP_3) | instskip(SKIP_1) | instid1(VALU_DEP_4)
	v_cmp_eq_u32_e64 s0, s29, v7
	v_cndmask_b32_e64 v10, 0, -1, vcc_lo
	v_cmp_le_u32_e32 vcc_lo, s29, v11
	v_cndmask_b32_e64 v14, 0, -1, vcc_lo
	v_cmp_le_u32_e32 vcc_lo, s28, v9
	;; [unrolled: 2-line block ×3, first 2 shown]
	v_cndmask_b32_e64 v16, 0, -1, vcc_lo
	v_cmp_eq_u32_e32 vcc_lo, s29, v11
	s_delay_alu instid0(VALU_DEP_2) | instskip(SKIP_3) | instid1(VALU_DEP_3)
	v_cndmask_b32_e64 v7, v16, v9, s0
	v_cndmask_b32_e32 v10, v14, v10, vcc_lo
	v_add_co_u32 v11, vcc_lo, v3, 1
	v_add_co_ci_u32_e32 v14, vcc_lo, 0, v5, vcc_lo
	v_cmp_ne_u32_e32 vcc_lo, 0, v10
	s_delay_alu instid0(VALU_DEP_2) | instskip(SKIP_2) | instid1(VALU_DEP_3)
	v_dual_cndmask_b32 v10, v11, v12 :: v_dual_cndmask_b32 v9, v14, v13
	v_cmp_ne_u32_e32 vcc_lo, 0, v7
	v_xor_b32_e32 v7, s26, v15
	v_cndmask_b32_e32 v3, v3, v10, vcc_lo
	s_delay_alu instid0(VALU_DEP_4) | instskip(SKIP_1) | instid1(VALU_DEP_3)
	v_cndmask_b32_e32 v5, v5, v9, vcc_lo
	v_xor_b32_e32 v9, s27, v15
	v_xor_b32_e32 v3, v3, v7
	s_delay_alu instid0(VALU_DEP_2) | instskip(NEXT) | instid1(VALU_DEP_2)
	v_xor_b32_e32 v5, v5, v9
	v_sub_co_u32 v10, vcc_lo, v3, v7
	s_delay_alu instid0(VALU_DEP_2)
	v_sub_co_ci_u32_e32 v11, vcc_lo, v5, v9, vcc_lo
.LBB61_24:                              ;   in Loop: Header=BB61_22 Depth=2
	s_and_not1_saveexec_b32 s0, s43
	s_cbranch_execz .LBB61_26
; %bb.25:                               ;   in Loop: Header=BB61_22 Depth=2
	v_cvt_f32_u32_e32 v3, s13
	s_sub_i32 s26, 0, s13
	v_mov_b32_e32 v11, v2
	s_delay_alu instid0(VALU_DEP_2) | instskip(SKIP_2) | instid1(VALU_DEP_1)
	v_rcp_iflag_f32_e32 v3, v3
	s_waitcnt_depctr 0xfff
	v_mul_f32_e32 v3, 0x4f7ffffe, v3
	v_cvt_u32_f32_e32 v3, v3
	s_delay_alu instid0(VALU_DEP_1) | instskip(NEXT) | instid1(VALU_DEP_1)
	v_mul_lo_u32 v5, s26, v3
	v_mul_hi_u32 v5, v3, v5
	s_delay_alu instid0(VALU_DEP_1) | instskip(NEXT) | instid1(VALU_DEP_1)
	v_add_nc_u32_e32 v3, v3, v5
	v_mul_hi_u32 v3, v8, v3
	s_delay_alu instid0(VALU_DEP_1) | instskip(SKIP_1) | instid1(VALU_DEP_2)
	v_mul_lo_u32 v5, v3, s13
	v_add_nc_u32_e32 v7, 1, v3
	v_sub_nc_u32_e32 v5, v8, v5
	s_delay_alu instid0(VALU_DEP_1) | instskip(SKIP_1) | instid1(VALU_DEP_4)
	v_cmp_le_u32_e32 vcc_lo, s13, v5
	v_subrev_nc_u32_e32 v9, s13, v5
	v_cndmask_b32_e32 v3, v3, v7, vcc_lo
	s_delay_alu instid0(VALU_DEP_1) | instskip(NEXT) | instid1(VALU_DEP_3)
	v_add_nc_u32_e32 v7, 1, v3
	v_cndmask_b32_e32 v5, v5, v9, vcc_lo
	s_delay_alu instid0(VALU_DEP_1) | instskip(NEXT) | instid1(VALU_DEP_3)
	v_cmp_le_u32_e32 vcc_lo, s13, v5
	v_cndmask_b32_e32 v10, v3, v7, vcc_lo
.LBB61_26:                              ;   in Loop: Header=BB61_22 Depth=2
	s_or_b32 exec_lo, exec_lo, s0
	s_add_u32 s28, s36, s22
	s_addc_u32 s29, s37, s23
	s_add_i32 s22, s16, -1
	s_mov_b32 s23, s17
                                        ; implicit-def: $vgpr12_vgpr13
	s_delay_alu instid0(SALU_CYCLE_1) | instskip(NEXT) | instid1(SALU_CYCLE_1)
	s_lshl_b64 s[26:27], s[22:23], 2
	s_add_u32 s22, s31, s26
	s_addc_u32 s23, s33, s27
	s_clause 0x2
	s_load_b32 s45, s[22:23], 0x8
	s_load_b32 s43, s[24:25], 0x6c
	;; [unrolled: 1-line block ×3, first 2 shown]
	s_mov_b32 s24, exec_lo
	s_waitcnt lgkmcnt(0)
	s_ashr_i32 s0, s45, 31
	s_delay_alu instid0(SALU_CYCLE_1) | instskip(NEXT) | instid1(VALU_DEP_1)
	v_or_b32_e32 v3, s0, v11
	v_cmpx_ne_u64_e32 0, v[2:3]
	s_xor_b32 s46, exec_lo, s24
	s_cbranch_execz .LBB61_28
; %bb.27:                               ;   in Loop: Header=BB61_22 Depth=2
	s_add_u32 s28, s45, s0
	s_mov_b32 s24, s0
	s_mov_b32 s25, s0
	s_addc_u32 s29, s0, s0
	v_ashrrev_i32_e32 v17, 31, v11
	s_xor_b64 s[28:29], s[28:29], s[24:25]
	s_delay_alu instid0(SALU_CYCLE_1) | instskip(SKIP_3) | instid1(VALU_DEP_1)
	v_cvt_f32_u32_e32 v3, s28
	v_cvt_f32_u32_e32 v5, s29
	s_sub_u32 s0, 0, s28
	s_subb_u32 s47, 0, s29
	v_fmac_f32_e32 v3, 0x4f800000, v5
	s_delay_alu instid0(VALU_DEP_1) | instskip(SKIP_2) | instid1(VALU_DEP_1)
	v_rcp_f32_e32 v3, v3
	s_waitcnt_depctr 0xfff
	v_mul_f32_e32 v3, 0x5f7ffffc, v3
	v_mul_f32_e32 v5, 0x2f800000, v3
	s_delay_alu instid0(VALU_DEP_1) | instskip(NEXT) | instid1(VALU_DEP_1)
	v_trunc_f32_e32 v5, v5
	v_fmac_f32_e32 v3, 0xcf800000, v5
	v_cvt_u32_f32_e32 v5, v5
	s_delay_alu instid0(VALU_DEP_2) | instskip(NEXT) | instid1(VALU_DEP_2)
	v_cvt_u32_f32_e32 v3, v3
	v_mul_lo_u32 v7, s0, v5
	s_delay_alu instid0(VALU_DEP_2) | instskip(SKIP_1) | instid1(VALU_DEP_2)
	v_mul_hi_u32 v9, s0, v3
	v_mul_lo_u32 v12, s47, v3
	v_add_nc_u32_e32 v7, v9, v7
	v_mul_lo_u32 v9, s0, v3
	s_delay_alu instid0(VALU_DEP_2) | instskip(NEXT) | instid1(VALU_DEP_2)
	v_add_nc_u32_e32 v7, v7, v12
	v_mul_hi_u32 v12, v3, v9
	s_delay_alu instid0(VALU_DEP_2)
	v_mul_lo_u32 v13, v3, v7
	v_mul_hi_u32 v14, v3, v7
	v_mul_hi_u32 v15, v5, v9
	v_mul_lo_u32 v9, v5, v9
	v_mul_hi_u32 v16, v5, v7
	v_mul_lo_u32 v7, v5, v7
	v_add_co_u32 v12, vcc_lo, v12, v13
	v_add_co_ci_u32_e32 v13, vcc_lo, 0, v14, vcc_lo
	s_delay_alu instid0(VALU_DEP_2) | instskip(NEXT) | instid1(VALU_DEP_2)
	v_add_co_u32 v9, vcc_lo, v12, v9
	v_add_co_ci_u32_e32 v9, vcc_lo, v13, v15, vcc_lo
	v_add_co_ci_u32_e32 v12, vcc_lo, 0, v16, vcc_lo
	s_delay_alu instid0(VALU_DEP_2) | instskip(NEXT) | instid1(VALU_DEP_2)
	v_add_co_u32 v7, vcc_lo, v9, v7
	v_add_co_ci_u32_e32 v9, vcc_lo, 0, v12, vcc_lo
	s_delay_alu instid0(VALU_DEP_2) | instskip(NEXT) | instid1(VALU_DEP_2)
	v_add_co_u32 v3, vcc_lo, v3, v7
	v_add_co_ci_u32_e32 v5, vcc_lo, v5, v9, vcc_lo
	s_delay_alu instid0(VALU_DEP_2) | instskip(SKIP_1) | instid1(VALU_DEP_3)
	v_mul_hi_u32 v7, s0, v3
	v_mul_lo_u32 v12, s47, v3
	v_mul_lo_u32 v9, s0, v5
	s_delay_alu instid0(VALU_DEP_1) | instskip(SKIP_1) | instid1(VALU_DEP_2)
	v_add_nc_u32_e32 v7, v7, v9
	v_mul_lo_u32 v9, s0, v3
	v_add_nc_u32_e32 v7, v7, v12
	s_delay_alu instid0(VALU_DEP_2) | instskip(NEXT) | instid1(VALU_DEP_2)
	v_mul_hi_u32 v12, v3, v9
	v_mul_lo_u32 v13, v3, v7
	v_mul_hi_u32 v14, v3, v7
	v_mul_hi_u32 v15, v5, v9
	v_mul_lo_u32 v9, v5, v9
	v_mul_hi_u32 v16, v5, v7
	v_mul_lo_u32 v7, v5, v7
	v_add_co_u32 v12, vcc_lo, v12, v13
	v_add_co_ci_u32_e32 v13, vcc_lo, 0, v14, vcc_lo
	s_delay_alu instid0(VALU_DEP_2) | instskip(NEXT) | instid1(VALU_DEP_2)
	v_add_co_u32 v9, vcc_lo, v12, v9
	v_add_co_ci_u32_e32 v9, vcc_lo, v13, v15, vcc_lo
	v_add_co_ci_u32_e32 v12, vcc_lo, 0, v16, vcc_lo
	v_add_co_u32 v13, vcc_lo, v10, v17
	v_add_co_ci_u32_e32 v11, vcc_lo, v11, v17, vcc_lo
	s_delay_alu instid0(VALU_DEP_4) | instskip(NEXT) | instid1(VALU_DEP_4)
	v_add_co_u32 v7, vcc_lo, v9, v7
	v_add_co_ci_u32_e32 v9, vcc_lo, 0, v12, vcc_lo
	s_delay_alu instid0(VALU_DEP_4) | instskip(NEXT) | instid1(VALU_DEP_3)
	v_xor_b32_e32 v21, v13, v17
	v_add_co_u32 v3, vcc_lo, v3, v7
	s_delay_alu instid0(VALU_DEP_3) | instskip(SKIP_1) | instid1(VALU_DEP_3)
	v_add_co_ci_u32_e32 v5, vcc_lo, v5, v9, vcc_lo
	v_xor_b32_e32 v7, v11, v17
	v_mul_hi_u32 v9, v21, v3
	s_delay_alu instid0(VALU_DEP_3) | instskip(NEXT) | instid1(VALU_DEP_3)
	v_mad_u64_u32 v[11:12], null, v21, v5, 0
	v_mad_u64_u32 v[13:14], null, v7, v3, 0
	;; [unrolled: 1-line block ×3, first 2 shown]
	s_delay_alu instid0(VALU_DEP_3) | instskip(NEXT) | instid1(VALU_DEP_4)
	v_add_co_u32 v3, vcc_lo, v9, v11
	v_add_co_ci_u32_e32 v5, vcc_lo, 0, v12, vcc_lo
	s_delay_alu instid0(VALU_DEP_2) | instskip(NEXT) | instid1(VALU_DEP_2)
	v_add_co_u32 v3, vcc_lo, v3, v13
	v_add_co_ci_u32_e32 v3, vcc_lo, v5, v14, vcc_lo
	v_add_co_ci_u32_e32 v5, vcc_lo, 0, v16, vcc_lo
	s_delay_alu instid0(VALU_DEP_2) | instskip(NEXT) | instid1(VALU_DEP_2)
	v_add_co_u32 v3, vcc_lo, v3, v15
	v_add_co_ci_u32_e32 v5, vcc_lo, 0, v5, vcc_lo
	s_delay_alu instid0(VALU_DEP_2) | instskip(SKIP_1) | instid1(VALU_DEP_3)
	v_mul_lo_u32 v9, s29, v3
	v_mad_u64_u32 v[11:12], null, s28, v3, 0
	v_mul_lo_u32 v13, s28, v5
	s_delay_alu instid0(VALU_DEP_2) | instskip(NEXT) | instid1(VALU_DEP_2)
	v_sub_co_u32 v11, vcc_lo, v21, v11
	v_add3_u32 v9, v12, v13, v9
	s_delay_alu instid0(VALU_DEP_1) | instskip(NEXT) | instid1(VALU_DEP_1)
	v_sub_nc_u32_e32 v12, v7, v9
	v_subrev_co_ci_u32_e64 v12, s0, s29, v12, vcc_lo
	v_add_co_u32 v13, s0, v3, 2
	s_delay_alu instid0(VALU_DEP_1) | instskip(SKIP_3) | instid1(VALU_DEP_3)
	v_add_co_ci_u32_e64 v14, s0, 0, v5, s0
	v_sub_co_u32 v15, s0, v11, s28
	v_sub_co_ci_u32_e32 v7, vcc_lo, v7, v9, vcc_lo
	v_subrev_co_ci_u32_e64 v12, s0, 0, v12, s0
	v_cmp_le_u32_e32 vcc_lo, s28, v15
	s_delay_alu instid0(VALU_DEP_3) | instskip(SKIP_1) | instid1(VALU_DEP_4)
	v_cmp_eq_u32_e64 s0, s29, v7
	v_cndmask_b32_e64 v9, 0, -1, vcc_lo
	v_cmp_le_u32_e32 vcc_lo, s29, v12
	v_cndmask_b32_e64 v15, 0, -1, vcc_lo
	v_cmp_le_u32_e32 vcc_lo, s28, v11
	;; [unrolled: 2-line block ×3, first 2 shown]
	v_cndmask_b32_e64 v16, 0, -1, vcc_lo
	v_cmp_eq_u32_e32 vcc_lo, s29, v12
	s_delay_alu instid0(VALU_DEP_2) | instskip(SKIP_3) | instid1(VALU_DEP_3)
	v_cndmask_b32_e64 v7, v16, v11, s0
	v_cndmask_b32_e32 v9, v15, v9, vcc_lo
	v_add_co_u32 v12, vcc_lo, v3, 1
	v_add_co_ci_u32_e32 v15, vcc_lo, 0, v5, vcc_lo
	v_cmp_ne_u32_e32 vcc_lo, 0, v9
	s_delay_alu instid0(VALU_DEP_2) | instskip(NEXT) | instid1(VALU_DEP_4)
	v_cndmask_b32_e32 v9, v15, v14, vcc_lo
	v_cndmask_b32_e32 v11, v12, v13, vcc_lo
	v_cmp_ne_u32_e32 vcc_lo, 0, v7
	v_xor_b32_e32 v7, s24, v17
	s_delay_alu instid0(VALU_DEP_3) | instskip(SKIP_2) | instid1(VALU_DEP_3)
	v_cndmask_b32_e32 v3, v3, v11, vcc_lo
	v_cndmask_b32_e32 v5, v5, v9, vcc_lo
	v_xor_b32_e32 v9, s25, v17
	v_xor_b32_e32 v3, v3, v7
	s_delay_alu instid0(VALU_DEP_2) | instskip(NEXT) | instid1(VALU_DEP_2)
	v_xor_b32_e32 v5, v5, v9
	v_sub_co_u32 v12, vcc_lo, v3, v7
	s_delay_alu instid0(VALU_DEP_2)
	v_sub_co_ci_u32_e32 v13, vcc_lo, v5, v9, vcc_lo
.LBB61_28:                              ;   in Loop: Header=BB61_22 Depth=2
	s_and_not1_saveexec_b32 s0, s46
	s_cbranch_execz .LBB61_30
; %bb.29:                               ;   in Loop: Header=BB61_22 Depth=2
	v_cvt_f32_u32_e32 v3, s45
	s_sub_i32 s24, 0, s45
	v_mov_b32_e32 v13, v2
	s_delay_alu instid0(VALU_DEP_2) | instskip(SKIP_2) | instid1(VALU_DEP_1)
	v_rcp_iflag_f32_e32 v3, v3
	s_waitcnt_depctr 0xfff
	v_mul_f32_e32 v3, 0x4f7ffffe, v3
	v_cvt_u32_f32_e32 v3, v3
	s_delay_alu instid0(VALU_DEP_1) | instskip(NEXT) | instid1(VALU_DEP_1)
	v_mul_lo_u32 v5, s24, v3
	v_mul_hi_u32 v5, v3, v5
	s_delay_alu instid0(VALU_DEP_1) | instskip(NEXT) | instid1(VALU_DEP_1)
	v_add_nc_u32_e32 v3, v3, v5
	v_mul_hi_u32 v3, v10, v3
	s_delay_alu instid0(VALU_DEP_1) | instskip(SKIP_1) | instid1(VALU_DEP_2)
	v_mul_lo_u32 v5, v3, s45
	v_add_nc_u32_e32 v7, 1, v3
	v_sub_nc_u32_e32 v5, v10, v5
	s_delay_alu instid0(VALU_DEP_1) | instskip(SKIP_1) | instid1(VALU_DEP_4)
	v_cmp_le_u32_e32 vcc_lo, s45, v5
	v_subrev_nc_u32_e32 v9, s45, v5
	v_cndmask_b32_e32 v3, v3, v7, vcc_lo
	s_delay_alu instid0(VALU_DEP_1) | instskip(NEXT) | instid1(VALU_DEP_3)
	v_add_nc_u32_e32 v7, 1, v3
	v_cndmask_b32_e32 v5, v5, v9, vcc_lo
	s_delay_alu instid0(VALU_DEP_1) | instskip(NEXT) | instid1(VALU_DEP_3)
	v_cmp_le_u32_e32 vcc_lo, s45, v5
	v_cndmask_b32_e32 v12, v3, v7, vcc_lo
.LBB61_30:                              ;   in Loop: Header=BB61_22 Depth=2
	s_or_b32 exec_lo, exec_lo, s0
	s_add_u32 s28, s36, s26
	s_addc_u32 s29, s37, s27
	s_add_i32 s24, s16, -2
	s_mov_b32 s25, s17
                                        ; implicit-def: $vgpr14_vgpr15
	s_delay_alu instid0(SALU_CYCLE_1) | instskip(NEXT) | instid1(SALU_CYCLE_1)
	s_lshl_b64 s[24:25], s[24:25], 2
	s_add_u32 s26, s31, s24
	s_addc_u32 s27, s33, s25
	s_clause 0x2
	s_load_b32 s48, s[26:27], 0x8
	s_load_b32 s46, s[22:23], 0x6c
	;; [unrolled: 1-line block ×3, first 2 shown]
	s_mov_b32 s22, exec_lo
	s_waitcnt lgkmcnt(0)
	s_ashr_i32 s0, s48, 31
	s_delay_alu instid0(SALU_CYCLE_1) | instskip(NEXT) | instid1(VALU_DEP_1)
	v_or_b32_e32 v3, s0, v13
	v_cmpx_ne_u64_e32 0, v[2:3]
	s_xor_b32 s49, exec_lo, s22
	s_cbranch_execz .LBB61_32
; %bb.31:                               ;   in Loop: Header=BB61_22 Depth=2
	s_add_u32 s28, s48, s0
	s_mov_b32 s22, s0
	s_mov_b32 s23, s0
	s_addc_u32 s29, s0, s0
	s_delay_alu instid0(SALU_CYCLE_1) | instskip(NEXT) | instid1(SALU_CYCLE_1)
	s_xor_b64 s[28:29], s[28:29], s[22:23]
	v_cvt_f32_u32_e32 v3, s28
	v_cvt_f32_u32_e32 v5, s29
	s_sub_u32 s0, 0, s28
	s_subb_u32 s50, 0, s29
	s_delay_alu instid0(VALU_DEP_1) | instskip(NEXT) | instid1(VALU_DEP_1)
	v_fmac_f32_e32 v3, 0x4f800000, v5
	v_rcp_f32_e32 v3, v3
	s_waitcnt_depctr 0xfff
	v_mul_f32_e32 v3, 0x5f7ffffc, v3
	s_delay_alu instid0(VALU_DEP_1) | instskip(NEXT) | instid1(VALU_DEP_1)
	v_mul_f32_e32 v5, 0x2f800000, v3
	v_trunc_f32_e32 v5, v5
	s_delay_alu instid0(VALU_DEP_1) | instskip(SKIP_1) | instid1(VALU_DEP_2)
	v_fmac_f32_e32 v3, 0xcf800000, v5
	v_cvt_u32_f32_e32 v5, v5
	v_cvt_u32_f32_e32 v3, v3
	s_delay_alu instid0(VALU_DEP_2) | instskip(NEXT) | instid1(VALU_DEP_2)
	v_mul_lo_u32 v7, s0, v5
	v_mul_hi_u32 v9, s0, v3
	v_mul_lo_u32 v11, s50, v3
	s_delay_alu instid0(VALU_DEP_2) | instskip(SKIP_1) | instid1(VALU_DEP_2)
	v_add_nc_u32_e32 v7, v9, v7
	v_mul_lo_u32 v9, s0, v3
	v_add_nc_u32_e32 v7, v7, v11
	s_delay_alu instid0(VALU_DEP_2) | instskip(NEXT) | instid1(VALU_DEP_2)
	v_mul_hi_u32 v11, v3, v9
	v_mul_lo_u32 v14, v3, v7
	v_mul_hi_u32 v15, v3, v7
	v_mul_hi_u32 v16, v5, v9
	v_mul_lo_u32 v9, v5, v9
	v_mul_hi_u32 v17, v5, v7
	v_mul_lo_u32 v7, v5, v7
	v_add_co_u32 v11, vcc_lo, v11, v14
	v_add_co_ci_u32_e32 v14, vcc_lo, 0, v15, vcc_lo
	s_delay_alu instid0(VALU_DEP_2) | instskip(NEXT) | instid1(VALU_DEP_2)
	v_add_co_u32 v9, vcc_lo, v11, v9
	v_add_co_ci_u32_e32 v9, vcc_lo, v14, v16, vcc_lo
	v_add_co_ci_u32_e32 v11, vcc_lo, 0, v17, vcc_lo
	v_ashrrev_i32_e32 v17, 31, v13
	s_delay_alu instid0(VALU_DEP_3) | instskip(NEXT) | instid1(VALU_DEP_3)
	v_add_co_u32 v7, vcc_lo, v9, v7
	v_add_co_ci_u32_e32 v9, vcc_lo, 0, v11, vcc_lo
	s_delay_alu instid0(VALU_DEP_2) | instskip(NEXT) | instid1(VALU_DEP_2)
	v_add_co_u32 v3, vcc_lo, v3, v7
	v_add_co_ci_u32_e32 v5, vcc_lo, v5, v9, vcc_lo
	s_delay_alu instid0(VALU_DEP_2) | instskip(SKIP_1) | instid1(VALU_DEP_3)
	v_mul_hi_u32 v7, s0, v3
	v_mul_lo_u32 v11, s50, v3
	v_mul_lo_u32 v9, s0, v5
	s_delay_alu instid0(VALU_DEP_1) | instskip(SKIP_1) | instid1(VALU_DEP_2)
	v_add_nc_u32_e32 v7, v7, v9
	v_mul_lo_u32 v9, s0, v3
	v_add_nc_u32_e32 v7, v7, v11
	s_delay_alu instid0(VALU_DEP_2) | instskip(NEXT) | instid1(VALU_DEP_2)
	v_mul_hi_u32 v11, v3, v9
	v_mul_lo_u32 v14, v3, v7
	v_mul_hi_u32 v15, v3, v7
	v_mul_hi_u32 v16, v5, v9
	v_mul_lo_u32 v9, v5, v9
	v_mul_hi_u32 v21, v5, v7
	v_mul_lo_u32 v7, v5, v7
	v_add_co_u32 v11, vcc_lo, v11, v14
	v_add_co_ci_u32_e32 v14, vcc_lo, 0, v15, vcc_lo
	s_delay_alu instid0(VALU_DEP_2) | instskip(NEXT) | instid1(VALU_DEP_2)
	v_add_co_u32 v9, vcc_lo, v11, v9
	v_add_co_ci_u32_e32 v9, vcc_lo, v14, v16, vcc_lo
	v_add_co_ci_u32_e32 v11, vcc_lo, 0, v21, vcc_lo
	v_add_co_u32 v14, vcc_lo, v12, v17
	v_add_co_ci_u32_e32 v13, vcc_lo, v13, v17, vcc_lo
	s_delay_alu instid0(VALU_DEP_4) | instskip(NEXT) | instid1(VALU_DEP_4)
	v_add_co_u32 v7, vcc_lo, v9, v7
	v_add_co_ci_u32_e32 v9, vcc_lo, 0, v11, vcc_lo
	s_delay_alu instid0(VALU_DEP_4) | instskip(NEXT) | instid1(VALU_DEP_3)
	v_xor_b32_e32 v11, v14, v17
	v_add_co_u32 v3, vcc_lo, v3, v7
	s_delay_alu instid0(VALU_DEP_3) | instskip(SKIP_1) | instid1(VALU_DEP_3)
	v_add_co_ci_u32_e32 v5, vcc_lo, v5, v9, vcc_lo
	v_xor_b32_e32 v7, v13, v17
	v_mul_hi_u32 v9, v11, v3
	s_delay_alu instid0(VALU_DEP_3) | instskip(NEXT) | instid1(VALU_DEP_3)
	v_mad_u64_u32 v[13:14], null, v11, v5, 0
	v_mad_u64_u32 v[15:16], null, v7, v3, 0
	;; [unrolled: 1-line block ×3, first 2 shown]
	s_delay_alu instid0(VALU_DEP_3) | instskip(NEXT) | instid1(VALU_DEP_4)
	v_add_co_u32 v3, vcc_lo, v9, v13
	v_add_co_ci_u32_e32 v5, vcc_lo, 0, v14, vcc_lo
	s_delay_alu instid0(VALU_DEP_2) | instskip(NEXT) | instid1(VALU_DEP_2)
	v_add_co_u32 v3, vcc_lo, v3, v15
	v_add_co_ci_u32_e32 v3, vcc_lo, v5, v16, vcc_lo
	v_add_co_ci_u32_e32 v5, vcc_lo, 0, v22, vcc_lo
	s_delay_alu instid0(VALU_DEP_2) | instskip(NEXT) | instid1(VALU_DEP_2)
	v_add_co_u32 v3, vcc_lo, v3, v21
	v_add_co_ci_u32_e32 v5, vcc_lo, 0, v5, vcc_lo
	s_delay_alu instid0(VALU_DEP_2) | instskip(SKIP_1) | instid1(VALU_DEP_3)
	v_mul_lo_u32 v9, s29, v3
	v_mad_u64_u32 v[13:14], null, s28, v3, 0
	v_mul_lo_u32 v15, s28, v5
	s_delay_alu instid0(VALU_DEP_2) | instskip(NEXT) | instid1(VALU_DEP_2)
	v_sub_co_u32 v11, vcc_lo, v11, v13
	v_add3_u32 v9, v14, v15, v9
	s_delay_alu instid0(VALU_DEP_1) | instskip(NEXT) | instid1(VALU_DEP_1)
	v_sub_nc_u32_e32 v14, v7, v9
	v_subrev_co_ci_u32_e64 v13, s0, s29, v14, vcc_lo
	v_add_co_u32 v14, s0, v3, 2
	s_delay_alu instid0(VALU_DEP_1) | instskip(SKIP_3) | instid1(VALU_DEP_3)
	v_add_co_ci_u32_e64 v15, s0, 0, v5, s0
	v_sub_co_u32 v16, s0, v11, s28
	v_sub_co_ci_u32_e32 v7, vcc_lo, v7, v9, vcc_lo
	v_subrev_co_ci_u32_e64 v13, s0, 0, v13, s0
	v_cmp_le_u32_e32 vcc_lo, s28, v16
	s_delay_alu instid0(VALU_DEP_3) | instskip(SKIP_1) | instid1(VALU_DEP_4)
	v_cmp_eq_u32_e64 s0, s29, v7
	v_cndmask_b32_e64 v9, 0, -1, vcc_lo
	v_cmp_le_u32_e32 vcc_lo, s29, v13
	v_cndmask_b32_e64 v16, 0, -1, vcc_lo
	v_cmp_le_u32_e32 vcc_lo, s28, v11
	v_cndmask_b32_e64 v11, 0, -1, vcc_lo
	v_cmp_le_u32_e32 vcc_lo, s29, v7
	v_cndmask_b32_e64 v21, 0, -1, vcc_lo
	v_cmp_eq_u32_e32 vcc_lo, s29, v13
	s_delay_alu instid0(VALU_DEP_2) | instskip(SKIP_3) | instid1(VALU_DEP_3)
	v_cndmask_b32_e64 v7, v21, v11, s0
	v_cndmask_b32_e32 v9, v16, v9, vcc_lo
	v_add_co_u32 v13, vcc_lo, v3, 1
	v_add_co_ci_u32_e32 v16, vcc_lo, 0, v5, vcc_lo
	v_cmp_ne_u32_e32 vcc_lo, 0, v9
	s_delay_alu instid0(VALU_DEP_2) | instskip(NEXT) | instid1(VALU_DEP_4)
	v_cndmask_b32_e32 v9, v16, v15, vcc_lo
	v_cndmask_b32_e32 v11, v13, v14, vcc_lo
	v_cmp_ne_u32_e32 vcc_lo, 0, v7
	v_xor_b32_e32 v7, s22, v17
	s_delay_alu instid0(VALU_DEP_3) | instskip(SKIP_2) | instid1(VALU_DEP_3)
	v_cndmask_b32_e32 v3, v3, v11, vcc_lo
	v_cndmask_b32_e32 v5, v5, v9, vcc_lo
	v_xor_b32_e32 v9, s23, v17
	v_xor_b32_e32 v3, v3, v7
	s_delay_alu instid0(VALU_DEP_2) | instskip(NEXT) | instid1(VALU_DEP_2)
	v_xor_b32_e32 v5, v5, v9
	v_sub_co_u32 v14, vcc_lo, v3, v7
	s_delay_alu instid0(VALU_DEP_2)
	v_sub_co_ci_u32_e32 v15, vcc_lo, v5, v9, vcc_lo
.LBB61_32:                              ;   in Loop: Header=BB61_22 Depth=2
	s_and_not1_saveexec_b32 s0, s49
	s_cbranch_execz .LBB61_34
; %bb.33:                               ;   in Loop: Header=BB61_22 Depth=2
	v_cvt_f32_u32_e32 v3, s48
	s_sub_i32 s22, 0, s48
	v_mov_b32_e32 v15, v2
	s_delay_alu instid0(VALU_DEP_2) | instskip(SKIP_2) | instid1(VALU_DEP_1)
	v_rcp_iflag_f32_e32 v3, v3
	s_waitcnt_depctr 0xfff
	v_mul_f32_e32 v3, 0x4f7ffffe, v3
	v_cvt_u32_f32_e32 v3, v3
	s_delay_alu instid0(VALU_DEP_1) | instskip(NEXT) | instid1(VALU_DEP_1)
	v_mul_lo_u32 v5, s22, v3
	v_mul_hi_u32 v5, v3, v5
	s_delay_alu instid0(VALU_DEP_1) | instskip(NEXT) | instid1(VALU_DEP_1)
	v_add_nc_u32_e32 v3, v3, v5
	v_mul_hi_u32 v3, v12, v3
	s_delay_alu instid0(VALU_DEP_1) | instskip(SKIP_1) | instid1(VALU_DEP_2)
	v_mul_lo_u32 v5, v3, s48
	v_add_nc_u32_e32 v7, 1, v3
	v_sub_nc_u32_e32 v5, v12, v5
	s_delay_alu instid0(VALU_DEP_1) | instskip(SKIP_1) | instid1(VALU_DEP_4)
	v_cmp_le_u32_e32 vcc_lo, s48, v5
	v_subrev_nc_u32_e32 v9, s48, v5
	v_cndmask_b32_e32 v3, v3, v7, vcc_lo
	s_delay_alu instid0(VALU_DEP_1) | instskip(NEXT) | instid1(VALU_DEP_3)
	v_add_nc_u32_e32 v7, 1, v3
	v_cndmask_b32_e32 v5, v5, v9, vcc_lo
	s_delay_alu instid0(VALU_DEP_1) | instskip(NEXT) | instid1(VALU_DEP_3)
	v_cmp_le_u32_e32 vcc_lo, s48, v5
	v_cndmask_b32_e32 v14, v3, v7, vcc_lo
.LBB61_34:                              ;   in Loop: Header=BB61_22 Depth=2
	s_or_b32 exec_lo, exec_lo, s0
	s_add_u32 s28, s36, s24
	s_addc_u32 s29, s37, s25
	s_add_i32 s22, s16, -3
	s_mov_b32 s23, s17
                                        ; implicit-def: $vgpr16_vgpr17
	s_delay_alu instid0(SALU_CYCLE_1) | instskip(NEXT) | instid1(SALU_CYCLE_1)
	s_lshl_b64 s[24:25], s[22:23], 2
	s_add_u32 s22, s31, s24
	s_addc_u32 s23, s33, s25
	s_clause 0x2
	s_load_b32 s51, s[22:23], 0x8
	s_load_b32 s49, s[26:27], 0x6c
	;; [unrolled: 1-line block ×3, first 2 shown]
	s_mov_b32 s26, exec_lo
	s_waitcnt lgkmcnt(0)
	s_ashr_i32 s0, s51, 31
	s_delay_alu instid0(SALU_CYCLE_1) | instskip(NEXT) | instid1(VALU_DEP_1)
	v_or_b32_e32 v3, s0, v15
	v_cmpx_ne_u64_e32 0, v[2:3]
	s_xor_b32 s52, exec_lo, s26
	s_cbranch_execz .LBB61_36
; %bb.35:                               ;   in Loop: Header=BB61_22 Depth=2
	s_add_u32 s28, s51, s0
	s_mov_b32 s26, s0
	s_mov_b32 s27, s0
	s_addc_u32 s29, s0, s0
	s_delay_alu instid0(SALU_CYCLE_1) | instskip(NEXT) | instid1(SALU_CYCLE_1)
	s_xor_b64 s[28:29], s[28:29], s[26:27]
	v_cvt_f32_u32_e32 v3, s28
	v_cvt_f32_u32_e32 v5, s29
	s_sub_u32 s0, 0, s28
	s_subb_u32 s53, 0, s29
	s_delay_alu instid0(VALU_DEP_1) | instskip(NEXT) | instid1(VALU_DEP_1)
	v_fmac_f32_e32 v3, 0x4f800000, v5
	v_rcp_f32_e32 v3, v3
	s_waitcnt_depctr 0xfff
	v_mul_f32_e32 v3, 0x5f7ffffc, v3
	s_delay_alu instid0(VALU_DEP_1) | instskip(NEXT) | instid1(VALU_DEP_1)
	v_mul_f32_e32 v5, 0x2f800000, v3
	v_trunc_f32_e32 v5, v5
	s_delay_alu instid0(VALU_DEP_1) | instskip(SKIP_1) | instid1(VALU_DEP_2)
	v_fmac_f32_e32 v3, 0xcf800000, v5
	v_cvt_u32_f32_e32 v5, v5
	v_cvt_u32_f32_e32 v3, v3
	s_delay_alu instid0(VALU_DEP_2) | instskip(NEXT) | instid1(VALU_DEP_2)
	v_mul_lo_u32 v7, s0, v5
	v_mul_hi_u32 v9, s0, v3
	v_mul_lo_u32 v11, s53, v3
	s_delay_alu instid0(VALU_DEP_2) | instskip(SKIP_1) | instid1(VALU_DEP_2)
	v_add_nc_u32_e32 v7, v9, v7
	v_mul_lo_u32 v9, s0, v3
	v_add_nc_u32_e32 v7, v7, v11
	s_delay_alu instid0(VALU_DEP_2) | instskip(NEXT) | instid1(VALU_DEP_2)
	v_mul_hi_u32 v11, v3, v9
	v_mul_lo_u32 v13, v3, v7
	v_mul_hi_u32 v16, v3, v7
	v_mul_hi_u32 v17, v5, v9
	v_mul_lo_u32 v9, v5, v9
	v_mul_hi_u32 v21, v5, v7
	v_mul_lo_u32 v7, v5, v7
	v_add_co_u32 v11, vcc_lo, v11, v13
	v_add_co_ci_u32_e32 v13, vcc_lo, 0, v16, vcc_lo
	s_delay_alu instid0(VALU_DEP_2) | instskip(NEXT) | instid1(VALU_DEP_2)
	v_add_co_u32 v9, vcc_lo, v11, v9
	v_add_co_ci_u32_e32 v9, vcc_lo, v13, v17, vcc_lo
	v_add_co_ci_u32_e32 v11, vcc_lo, 0, v21, vcc_lo
	v_ashrrev_i32_e32 v17, 31, v15
	s_delay_alu instid0(VALU_DEP_3) | instskip(NEXT) | instid1(VALU_DEP_3)
	v_add_co_u32 v7, vcc_lo, v9, v7
	v_add_co_ci_u32_e32 v9, vcc_lo, 0, v11, vcc_lo
	s_delay_alu instid0(VALU_DEP_2) | instskip(NEXT) | instid1(VALU_DEP_2)
	v_add_co_u32 v3, vcc_lo, v3, v7
	v_add_co_ci_u32_e32 v5, vcc_lo, v5, v9, vcc_lo
	s_delay_alu instid0(VALU_DEP_2) | instskip(SKIP_1) | instid1(VALU_DEP_3)
	v_mul_hi_u32 v7, s0, v3
	v_mul_lo_u32 v11, s53, v3
	v_mul_lo_u32 v9, s0, v5
	s_delay_alu instid0(VALU_DEP_1) | instskip(SKIP_1) | instid1(VALU_DEP_2)
	v_add_nc_u32_e32 v7, v7, v9
	v_mul_lo_u32 v9, s0, v3
	v_add_nc_u32_e32 v7, v7, v11
	s_delay_alu instid0(VALU_DEP_2) | instskip(NEXT) | instid1(VALU_DEP_2)
	v_mul_hi_u32 v11, v3, v9
	v_mul_lo_u32 v13, v3, v7
	v_mul_hi_u32 v16, v3, v7
	v_mul_hi_u32 v21, v5, v9
	v_mul_lo_u32 v9, v5, v9
	v_mul_hi_u32 v22, v5, v7
	v_mul_lo_u32 v7, v5, v7
	v_add_co_u32 v11, vcc_lo, v11, v13
	v_add_co_ci_u32_e32 v13, vcc_lo, 0, v16, vcc_lo
	s_delay_alu instid0(VALU_DEP_2) | instskip(NEXT) | instid1(VALU_DEP_2)
	v_add_co_u32 v9, vcc_lo, v11, v9
	v_add_co_ci_u32_e32 v9, vcc_lo, v13, v21, vcc_lo
	v_add_co_ci_u32_e32 v11, vcc_lo, 0, v22, vcc_lo
	v_add_co_u32 v13, vcc_lo, v14, v17
	v_add_co_ci_u32_e32 v15, vcc_lo, v15, v17, vcc_lo
	s_delay_alu instid0(VALU_DEP_4) | instskip(NEXT) | instid1(VALU_DEP_4)
	v_add_co_u32 v7, vcc_lo, v9, v7
	v_add_co_ci_u32_e32 v9, vcc_lo, 0, v11, vcc_lo
	s_delay_alu instid0(VALU_DEP_4) | instskip(NEXT) | instid1(VALU_DEP_3)
	v_xor_b32_e32 v11, v13, v17
	v_add_co_u32 v3, vcc_lo, v3, v7
	s_delay_alu instid0(VALU_DEP_3) | instskip(SKIP_1) | instid1(VALU_DEP_3)
	v_add_co_ci_u32_e32 v5, vcc_lo, v5, v9, vcc_lo
	v_xor_b32_e32 v7, v15, v17
	v_mul_hi_u32 v9, v11, v3
	s_delay_alu instid0(VALU_DEP_3) | instskip(NEXT) | instid1(VALU_DEP_3)
	v_mad_u64_u32 v[15:16], null, v11, v5, 0
	v_mad_u64_u32 v[21:22], null, v7, v3, 0
	;; [unrolled: 1-line block ×3, first 2 shown]
	s_delay_alu instid0(VALU_DEP_3) | instskip(NEXT) | instid1(VALU_DEP_4)
	v_add_co_u32 v3, vcc_lo, v9, v15
	v_add_co_ci_u32_e32 v5, vcc_lo, 0, v16, vcc_lo
	s_delay_alu instid0(VALU_DEP_2) | instskip(NEXT) | instid1(VALU_DEP_2)
	v_add_co_u32 v3, vcc_lo, v3, v21
	v_add_co_ci_u32_e32 v3, vcc_lo, v5, v22, vcc_lo
	v_add_co_ci_u32_e32 v5, vcc_lo, 0, v24, vcc_lo
	s_delay_alu instid0(VALU_DEP_2) | instskip(NEXT) | instid1(VALU_DEP_2)
	v_add_co_u32 v3, vcc_lo, v3, v23
	v_add_co_ci_u32_e32 v5, vcc_lo, 0, v5, vcc_lo
	s_delay_alu instid0(VALU_DEP_2) | instskip(SKIP_1) | instid1(VALU_DEP_3)
	v_mul_lo_u32 v9, s29, v3
	v_mad_u64_u32 v[15:16], null, s28, v3, 0
	v_mul_lo_u32 v13, s28, v5
	s_delay_alu instid0(VALU_DEP_2) | instskip(NEXT) | instid1(VALU_DEP_2)
	v_sub_co_u32 v11, vcc_lo, v11, v15
	v_add3_u32 v9, v16, v13, v9
	s_delay_alu instid0(VALU_DEP_1) | instskip(NEXT) | instid1(VALU_DEP_1)
	v_sub_nc_u32_e32 v13, v7, v9
	v_subrev_co_ci_u32_e64 v13, s0, s29, v13, vcc_lo
	v_add_co_u32 v15, s0, v3, 2
	s_delay_alu instid0(VALU_DEP_1) | instskip(SKIP_3) | instid1(VALU_DEP_3)
	v_add_co_ci_u32_e64 v16, s0, 0, v5, s0
	v_sub_co_u32 v21, s0, v11, s28
	v_sub_co_ci_u32_e32 v7, vcc_lo, v7, v9, vcc_lo
	v_subrev_co_ci_u32_e64 v13, s0, 0, v13, s0
	v_cmp_le_u32_e32 vcc_lo, s28, v21
	s_delay_alu instid0(VALU_DEP_3) | instskip(SKIP_1) | instid1(VALU_DEP_4)
	v_cmp_eq_u32_e64 s0, s29, v7
	v_cndmask_b32_e64 v9, 0, -1, vcc_lo
	v_cmp_le_u32_e32 vcc_lo, s29, v13
	v_cndmask_b32_e64 v21, 0, -1, vcc_lo
	v_cmp_le_u32_e32 vcc_lo, s28, v11
	;; [unrolled: 2-line block ×3, first 2 shown]
	v_cndmask_b32_e64 v22, 0, -1, vcc_lo
	v_cmp_eq_u32_e32 vcc_lo, s29, v13
	s_delay_alu instid0(VALU_DEP_2) | instskip(SKIP_3) | instid1(VALU_DEP_3)
	v_cndmask_b32_e64 v7, v22, v11, s0
	v_cndmask_b32_e32 v9, v21, v9, vcc_lo
	v_add_co_u32 v13, vcc_lo, v3, 1
	v_add_co_ci_u32_e32 v21, vcc_lo, 0, v5, vcc_lo
	v_cmp_ne_u32_e32 vcc_lo, 0, v9
	s_delay_alu instid0(VALU_DEP_2) | instskip(NEXT) | instid1(VALU_DEP_4)
	v_cndmask_b32_e32 v9, v21, v16, vcc_lo
	v_cndmask_b32_e32 v11, v13, v15, vcc_lo
	v_cmp_ne_u32_e32 vcc_lo, 0, v7
	v_xor_b32_e32 v7, s26, v17
	s_delay_alu instid0(VALU_DEP_3) | instskip(SKIP_2) | instid1(VALU_DEP_3)
	v_cndmask_b32_e32 v3, v3, v11, vcc_lo
	v_cndmask_b32_e32 v5, v5, v9, vcc_lo
	v_xor_b32_e32 v9, s27, v17
	v_xor_b32_e32 v3, v3, v7
	s_delay_alu instid0(VALU_DEP_2) | instskip(NEXT) | instid1(VALU_DEP_2)
	v_xor_b32_e32 v5, v5, v9
	v_sub_co_u32 v16, vcc_lo, v3, v7
	s_delay_alu instid0(VALU_DEP_2)
	v_sub_co_ci_u32_e32 v17, vcc_lo, v5, v9, vcc_lo
.LBB61_36:                              ;   in Loop: Header=BB61_22 Depth=2
	s_and_not1_saveexec_b32 s0, s52
	s_cbranch_execz .LBB61_38
; %bb.37:                               ;   in Loop: Header=BB61_22 Depth=2
	v_cvt_f32_u32_e32 v3, s51
	s_sub_i32 s26, 0, s51
	v_mov_b32_e32 v17, v2
	s_delay_alu instid0(VALU_DEP_2) | instskip(SKIP_2) | instid1(VALU_DEP_1)
	v_rcp_iflag_f32_e32 v3, v3
	s_waitcnt_depctr 0xfff
	v_mul_f32_e32 v3, 0x4f7ffffe, v3
	v_cvt_u32_f32_e32 v3, v3
	s_delay_alu instid0(VALU_DEP_1) | instskip(NEXT) | instid1(VALU_DEP_1)
	v_mul_lo_u32 v5, s26, v3
	v_mul_hi_u32 v5, v3, v5
	s_delay_alu instid0(VALU_DEP_1) | instskip(NEXT) | instid1(VALU_DEP_1)
	v_add_nc_u32_e32 v3, v3, v5
	v_mul_hi_u32 v3, v14, v3
	s_delay_alu instid0(VALU_DEP_1) | instskip(SKIP_1) | instid1(VALU_DEP_2)
	v_mul_lo_u32 v5, v3, s51
	v_add_nc_u32_e32 v7, 1, v3
	v_sub_nc_u32_e32 v5, v14, v5
	s_delay_alu instid0(VALU_DEP_1) | instskip(SKIP_1) | instid1(VALU_DEP_4)
	v_cmp_le_u32_e32 vcc_lo, s51, v5
	v_subrev_nc_u32_e32 v9, s51, v5
	v_cndmask_b32_e32 v3, v3, v7, vcc_lo
	s_delay_alu instid0(VALU_DEP_1) | instskip(NEXT) | instid1(VALU_DEP_3)
	v_add_nc_u32_e32 v7, 1, v3
	v_cndmask_b32_e32 v5, v5, v9, vcc_lo
	s_delay_alu instid0(VALU_DEP_1) | instskip(NEXT) | instid1(VALU_DEP_3)
	v_cmp_le_u32_e32 vcc_lo, s51, v5
	v_cndmask_b32_e32 v16, v3, v7, vcc_lo
.LBB61_38:                              ;   in Loop: Header=BB61_22 Depth=2
	s_or_b32 exec_lo, exec_lo, s0
	s_add_u32 s24, s36, s24
	s_addc_u32 s25, s37, s25
	v_mul_lo_u32 v3, v10, s13
	s_clause 0x1
	s_load_b32 s0, s[22:23], 0x6c
	s_load_b32 s13, s[24:25], 0x0
	v_mul_lo_u32 v5, v12, s45
	v_mul_lo_u32 v7, v14, s48
	;; [unrolled: 1-line block ×3, first 2 shown]
	s_add_i32 s16, s16, -4
	s_delay_alu instid0(SALU_CYCLE_1) | instskip(SKIP_1) | instid1(VALU_DEP_4)
	s_cmp_eq_u32 s16, -1
	v_sub_nc_u32_e32 v3, v8, v3
	v_sub_nc_u32_e32 v5, v10, v5
	s_delay_alu instid0(VALU_DEP_4) | instskip(NEXT) | instid1(VALU_DEP_4)
	v_sub_nc_u32_e32 v7, v12, v7
	v_sub_nc_u32_e32 v8, v14, v9
	s_delay_alu instid0(VALU_DEP_4)
	v_mul_lo_u32 v9, s43, v3
	v_mul_lo_u32 v3, s44, v3
	;; [unrolled: 1-line block ×6, first 2 shown]
	s_waitcnt lgkmcnt(0)
	v_mul_lo_u32 v12, s0, v8
	v_mul_lo_u32 v8, s13, v8
	v_add3_u32 v6, v9, v6, v10
	v_add3_u32 v3, v3, v4, v5
	s_delay_alu instid0(VALU_DEP_2) | instskip(NEXT) | instid1(VALU_DEP_2)
	v_add3_u32 v6, v11, v6, v12
	v_add3_u32 v4, v7, v3, v8
	s_cbranch_scc1 .LBB61_40
; %bb.39:                               ;   in Loop: Header=BB61_22 Depth=2
	v_dual_mov_b32 v8, v16 :: v_dual_mov_b32 v9, v17
	s_branch .LBB61_22
.LBB61_40:                              ;   in Loop: Header=BB61_3 Depth=1
	v_sub_nc_u32_e32 v5, v19, v20
	s_delay_alu instid0(VALU_DEP_1) | instskip(NEXT) | instid1(VALU_DEP_1)
	v_add_nc_u32_e32 v7, 2, v5
	v_ashrrev_i32_e32 v8, 31, v7
	s_delay_alu instid0(VALU_DEP_1)
	v_cmp_le_i64_e32 vcc_lo, s[4:5], v[7:8]
	v_dual_mov_b32 v8, 0 :: v_dual_mov_b32 v7, 0
	s_and_saveexec_b32 s0, vcc_lo
	s_cbranch_execz .LBB61_46
; %bb.41:                               ;   in Loop: Header=BB61_3 Depth=1
	v_mov_b32_e32 v3, 0
	v_mov_b32_e32 v9, 0
	s_mov_b32 s13, exec_lo
	v_cmpx_gt_i32_e64 s9, v19
	s_cbranch_execz .LBB61_45
; %bb.42:                               ;   in Loop: Header=BB61_3 Depth=1
	v_ashrrev_i32_e32 v7, 31, v6
	v_dual_mov_b32 v9, 0 :: v_dual_add_nc_u32 v8, 1, v19
	s_mov_b32 s16, exec_lo
	s_delay_alu instid0(VALU_DEP_2) | instskip(NEXT) | instid1(VALU_DEP_1)
	v_lshlrev_b64 v[6:7], 2, v[6:7]
	v_add_co_u32 v6, vcc_lo, s2, v6
	s_delay_alu instid0(VALU_DEP_2)
	v_add_co_ci_u32_e32 v7, vcc_lo, s3, v7, vcc_lo
	global_load_b32 v3, v[6:7], off
	v_cmpx_gt_i32_e64 s9, v8
	s_xor_b32 s16, exec_lo, s16
	s_cbranch_execz .LBB61_44
; %bb.43:                               ;   in Loop: Header=BB61_3 Depth=1
	s_lshl_b64 s[22:23], s[18:19], 2
	s_delay_alu instid0(SALU_CYCLE_1)
	v_add_co_u32 v6, vcc_lo, v6, s22
	v_add_co_ci_u32_e32 v7, vcc_lo, s23, v7, vcc_lo
	global_load_b32 v9, v[6:7], off
.LBB61_44:                              ;   in Loop: Header=BB61_3 Depth=1
	s_or_b32 exec_lo, exec_lo, s16
.LBB61_45:                              ;   in Loop: Header=BB61_3 Depth=1
	s_delay_alu instid0(SALU_CYCLE_1) | instskip(SKIP_2) | instid1(VALU_DEP_2)
	s_or_b32 exec_lo, exec_lo, s13
	v_ashrrev_i32_e32 v6, 31, v5
	v_add_nc_u32_e32 v10, 1, v5
	v_cmp_le_i64_e32 vcc_lo, s[4:5], v[5:6]
	s_delay_alu instid0(VALU_DEP_2) | instskip(SKIP_2) | instid1(VALU_DEP_2)
	v_ashrrev_i32_e32 v11, 31, v10
	s_waitcnt vmcnt(0)
	v_cndmask_b32_e32 v8, 0, v3, vcc_lo
	v_cmp_le_i64_e32 vcc_lo, s[4:5], v[10:11]
	v_cndmask_b32_e32 v7, 0, v9, vcc_lo
.LBB61_46:                              ;   in Loop: Header=BB61_3 Depth=1
	s_or_b32 exec_lo, exec_lo, s0
	s_delay_alu instid0(SALU_CYCLE_1)
	s_mov_b32 s0, exec_lo
	v_cmpx_gt_i32_e64 s9, v19
	s_cbranch_execz .LBB61_2
; %bb.47:                               ;   in Loop: Header=BB61_3 Depth=1
	v_ashrrev_i32_e32 v5, 31, v4
	s_mov_b32 s13, exec_lo
	s_delay_alu instid0(VALU_DEP_1) | instskip(SKIP_1) | instid1(VALU_DEP_2)
	v_lshlrev_b64 v[3:4], 2, v[4:5]
	v_add_nc_u32_e32 v5, 1, v19
	v_add_co_u32 v3, vcc_lo, s14, v3
	s_delay_alu instid0(VALU_DEP_3)
	v_add_co_ci_u32_e32 v4, vcc_lo, s15, v4, vcc_lo
	global_store_b32 v[3:4], v8, off
	v_cmpx_gt_i32_e64 s9, v5
	s_xor_b32 s13, exec_lo, s13
	s_cbranch_execz .LBB61_2
; %bb.48:                               ;   in Loop: Header=BB61_3 Depth=1
	s_lshl_b64 s[22:23], s[20:21], 2
	s_delay_alu instid0(SALU_CYCLE_1)
	v_add_co_u32 v3, vcc_lo, v3, s22
	v_add_co_ci_u32_e32 v4, vcc_lo, s23, v4, vcc_lo
	global_store_b32 v[3:4], v7, off
	s_branch .LBB61_2
.LBB61_49:
	s_nop 0
	s_sendmsg sendmsg(MSG_DEALLOC_VGPRS)
	s_endpgm
	.section	.rodata,"a",@progbits
	.p2align	6, 0x0
	.amdhsa_kernel _ZN2at6native16triu_tril_kernelIiiLb1ELi2ELb0EEEvNS_4cuda6detail10TensorInfoIT_T0_EENS4_IKS5_S6_EEllS6_
		.amdhsa_group_segment_fixed_size 0
		.amdhsa_private_segment_fixed_size 0
		.amdhsa_kernarg_size 712
		.amdhsa_user_sgpr_count 15
		.amdhsa_user_sgpr_dispatch_ptr 0
		.amdhsa_user_sgpr_queue_ptr 0
		.amdhsa_user_sgpr_kernarg_segment_ptr 1
		.amdhsa_user_sgpr_dispatch_id 0
		.amdhsa_user_sgpr_private_segment_size 0
		.amdhsa_wavefront_size32 1
		.amdhsa_uses_dynamic_stack 0
		.amdhsa_enable_private_segment 0
		.amdhsa_system_sgpr_workgroup_id_x 1
		.amdhsa_system_sgpr_workgroup_id_y 0
		.amdhsa_system_sgpr_workgroup_id_z 0
		.amdhsa_system_sgpr_workgroup_info 0
		.amdhsa_system_vgpr_workitem_id 0
		.amdhsa_next_free_vgpr 25
		.amdhsa_next_free_sgpr 54
		.amdhsa_reserve_vcc 1
		.amdhsa_float_round_mode_32 0
		.amdhsa_float_round_mode_16_64 0
		.amdhsa_float_denorm_mode_32 3
		.amdhsa_float_denorm_mode_16_64 3
		.amdhsa_dx10_clamp 1
		.amdhsa_ieee_mode 1
		.amdhsa_fp16_overflow 0
		.amdhsa_workgroup_processor_mode 1
		.amdhsa_memory_ordered 1
		.amdhsa_forward_progress 0
		.amdhsa_shared_vgpr_count 0
		.amdhsa_exception_fp_ieee_invalid_op 0
		.amdhsa_exception_fp_denorm_src 0
		.amdhsa_exception_fp_ieee_div_zero 0
		.amdhsa_exception_fp_ieee_overflow 0
		.amdhsa_exception_fp_ieee_underflow 0
		.amdhsa_exception_fp_ieee_inexact 0
		.amdhsa_exception_int_div_zero 0
	.end_amdhsa_kernel
	.section	.text._ZN2at6native16triu_tril_kernelIiiLb1ELi2ELb0EEEvNS_4cuda6detail10TensorInfoIT_T0_EENS4_IKS5_S6_EEllS6_,"axG",@progbits,_ZN2at6native16triu_tril_kernelIiiLb1ELi2ELb0EEEvNS_4cuda6detail10TensorInfoIT_T0_EENS4_IKS5_S6_EEllS6_,comdat
.Lfunc_end61:
	.size	_ZN2at6native16triu_tril_kernelIiiLb1ELi2ELb0EEEvNS_4cuda6detail10TensorInfoIT_T0_EENS4_IKS5_S6_EEllS6_, .Lfunc_end61-_ZN2at6native16triu_tril_kernelIiiLb1ELi2ELb0EEEvNS_4cuda6detail10TensorInfoIT_T0_EENS4_IKS5_S6_EEllS6_
                                        ; -- End function
	.section	.AMDGPU.csdata,"",@progbits
; Kernel info:
; codeLenInByte = 8348
; NumSgprs: 56
; NumVgprs: 25
; ScratchSize: 0
; MemoryBound: 0
; FloatMode: 240
; IeeeMode: 1
; LDSByteSize: 0 bytes/workgroup (compile time only)
; SGPRBlocks: 6
; VGPRBlocks: 3
; NumSGPRsForWavesPerEU: 56
; NumVGPRsForWavesPerEU: 25
; Occupancy: 16
; WaveLimiterHint : 0
; COMPUTE_PGM_RSRC2:SCRATCH_EN: 0
; COMPUTE_PGM_RSRC2:USER_SGPR: 15
; COMPUTE_PGM_RSRC2:TRAP_HANDLER: 0
; COMPUTE_PGM_RSRC2:TGID_X_EN: 1
; COMPUTE_PGM_RSRC2:TGID_Y_EN: 0
; COMPUTE_PGM_RSRC2:TGID_Z_EN: 0
; COMPUTE_PGM_RSRC2:TIDIG_COMP_CNT: 0
	.section	.text._ZN2at6native16triu_tril_kernelIilLb1ELi2ELb1EEEvNS_4cuda6detail10TensorInfoIT_T0_EENS4_IKS5_S6_EEllS6_,"axG",@progbits,_ZN2at6native16triu_tril_kernelIilLb1ELi2ELb1EEEvNS_4cuda6detail10TensorInfoIT_T0_EENS4_IKS5_S6_EEllS6_,comdat
	.protected	_ZN2at6native16triu_tril_kernelIilLb1ELi2ELb1EEEvNS_4cuda6detail10TensorInfoIT_T0_EENS4_IKS5_S6_EEllS6_ ; -- Begin function _ZN2at6native16triu_tril_kernelIilLb1ELi2ELb1EEEvNS_4cuda6detail10TensorInfoIT_T0_EENS4_IKS5_S6_EEllS6_
	.globl	_ZN2at6native16triu_tril_kernelIilLb1ELi2ELb1EEEvNS_4cuda6detail10TensorInfoIT_T0_EENS4_IKS5_S6_EEllS6_
	.p2align	8
	.type	_ZN2at6native16triu_tril_kernelIilLb1ELi2ELb1EEEvNS_4cuda6detail10TensorInfoIT_T0_EENS4_IKS5_S6_EEllS6_,@function
_ZN2at6native16triu_tril_kernelIilLb1ELi2ELb1EEEvNS_4cuda6detail10TensorInfoIT_T0_EENS4_IKS5_S6_EEllS6_: ; @_ZN2at6native16triu_tril_kernelIilLb1ELi2ELb1EEEvNS_4cuda6detail10TensorInfoIT_T0_EENS4_IKS5_S6_EEllS6_
; %bb.0:
	s_clause 0x1
	s_load_b32 s2, s[0:1], 0x364
	s_load_b128 s[4:7], s[0:1], 0x340
	v_mov_b32_e32 v2, 0
	s_add_u32 s8, s0, 0x358
	s_addc_u32 s9, s1, 0
	s_delay_alu instid0(VALU_DEP_1) | instskip(SKIP_3) | instid1(VALU_DEP_1)
	v_mov_b32_e32 v1, v2
	s_waitcnt lgkmcnt(0)
	s_and_b32 s10, s2, 0xffff
	s_mov_b32 s2, exec_lo
	v_mad_u64_u32 v[3:4], null, s10, s15, v[0:1]
	s_delay_alu instid0(VALU_DEP_1) | instskip(NEXT) | instid1(VALU_DEP_1)
	v_lshlrev_b64 v[0:1], 1, v[3:4]
	v_cmpx_gt_i64_e64 s[6:7], v[0:1]
	s_cbranch_execz .LBB62_21
; %bb.1:
	s_clause 0x1
	s_load_b32 s24, s[0:1], 0x338
	s_load_b64 s[2:3], s[0:1], 0x350
	s_load_b32 s11, s[8:9], 0x0
	s_load_b64 s[8:9], s[0:1], 0x0
	s_mov_b32 s45, 0
	s_waitcnt lgkmcnt(0)
	s_ashr_i32 s25, s24, 31
	s_add_u32 s20, s0, 0x1a8
	s_addc_u32 s21, s1, 0
	s_lshl_b64 s[12:13], s[24:25], 3
	v_cvt_f32_u32_e32 v3, s2
	s_add_u32 s14, s12, -16
	s_addc_u32 s15, s13, -1
	s_add_u32 s22, s20, s14
	s_addc_u32 s23, s21, s15
	v_rcp_iflag_f32_e32 v3, v3
	s_add_u32 s17, s12, -8
	s_addc_u32 s18, s13, -1
	s_add_u32 s26, s0, 0xd0
	s_addc_u32 s27, s1, 0
	s_mul_i32 s16, s11, s10
	s_add_u32 s10, s26, s17
	s_addc_u32 s11, s27, s18
	s_add_u32 s12, s26, s14
	s_addc_u32 s13, s27, s15
	s_add_i32 s0, s24, -3
	s_waitcnt_depctr 0xfff
	v_mul_f32_e32 v3, 0x4f7ffffe, v3
	s_ashr_i32 s1, s0, 31
	s_add_u32 s14, s20, s17
	s_addc_u32 s15, s21, s18
	s_lshl_b64 s[18:19], s[0:1], 3
	s_lshl_b32 s33, s16, 1
	s_add_u32 s16, s26, s18
	s_addc_u32 s17, s27, s19
	v_cvt_u32_f32_e32 v3, v3
	s_add_u32 s18, s20, s18
	s_addc_u32 s19, s21, s19
	s_add_u32 s20, s0, 1
	s_addc_u32 s21, s1, 0
	s_sub_i32 s0, 0, s2
	s_load_b64 s[22:23], s[22:23], 0x0
	v_mul_lo_u32 v4, s0, v3
	v_cmp_gt_i64_e64 s44, s[24:25], 2
	s_ashr_i32 s24, s3, 31
	s_delay_alu instid0(VALU_DEP_2) | instskip(NEXT) | instid1(VALU_DEP_1)
	v_mul_hi_u32 v4, v3, v4
	v_add_nc_u32_e32 v14, v3, v4
	s_waitcnt lgkmcnt(0)
	s_ashr_i32 s26, s23, 31
	s_branch .LBB62_3
.LBB62_2:                               ;   in Loop: Header=BB62_3 Depth=1
	s_or_b32 exec_lo, exec_lo, s25
	v_add_co_u32 v0, vcc_lo, v0, s33
	v_add_co_ci_u32_e32 v1, vcc_lo, 0, v1, vcc_lo
	s_delay_alu instid0(VALU_DEP_1) | instskip(SKIP_1) | instid1(SALU_CYCLE_1)
	v_cmp_le_i64_e32 vcc_lo, s[6:7], v[0:1]
	s_or_b32 s45, vcc_lo, s45
	s_and_not1_b32 exec_lo, exec_lo, s45
	s_cbranch_execz .LBB62_21
.LBB62_3:                               ; =>This Loop Header: Depth=1
                                        ;     Child Loop BB62_17 Depth 2
	v_or_b32_e32 v3, s3, v1
                                        ; implicit-def: $vgpr8_vgpr9
	s_mov_b32 s0, exec_lo
	s_delay_alu instid0(VALU_DEP_1)
	v_cmpx_ne_u64_e32 0, v[2:3]
	s_xor_b32 s1, exec_lo, s0
	s_cbranch_execz .LBB62_5
; %bb.4:                                ;   in Loop: Header=BB62_3 Depth=1
	s_add_u32 s28, s2, s24
	s_mov_b32 s25, s24
	s_addc_u32 s29, s3, s24
	s_delay_alu instid0(SALU_CYCLE_1) | instskip(NEXT) | instid1(SALU_CYCLE_1)
	s_xor_b64 s[28:29], s[28:29], s[24:25]
	v_cvt_f32_u32_e32 v3, s28
	v_cvt_f32_u32_e32 v4, s29
	s_sub_u32 s0, 0, s28
	s_subb_u32 s25, 0, s29
	s_delay_alu instid0(VALU_DEP_1) | instskip(NEXT) | instid1(VALU_DEP_1)
	v_fmac_f32_e32 v3, 0x4f800000, v4
	v_rcp_f32_e32 v3, v3
	s_waitcnt_depctr 0xfff
	v_mul_f32_e32 v3, 0x5f7ffffc, v3
	s_delay_alu instid0(VALU_DEP_1) | instskip(NEXT) | instid1(VALU_DEP_1)
	v_mul_f32_e32 v4, 0x2f800000, v3
	v_trunc_f32_e32 v4, v4
	s_delay_alu instid0(VALU_DEP_1) | instskip(SKIP_1) | instid1(VALU_DEP_2)
	v_fmac_f32_e32 v3, 0xcf800000, v4
	v_cvt_u32_f32_e32 v4, v4
	v_cvt_u32_f32_e32 v3, v3
	s_delay_alu instid0(VALU_DEP_2) | instskip(NEXT) | instid1(VALU_DEP_2)
	v_mul_lo_u32 v5, s0, v4
	v_mul_hi_u32 v6, s0, v3
	v_mul_lo_u32 v7, s25, v3
	s_delay_alu instid0(VALU_DEP_2) | instskip(SKIP_1) | instid1(VALU_DEP_2)
	v_add_nc_u32_e32 v5, v6, v5
	v_mul_lo_u32 v6, s0, v3
	v_add_nc_u32_e32 v5, v5, v7
	s_delay_alu instid0(VALU_DEP_2) | instskip(NEXT) | instid1(VALU_DEP_2)
	v_mul_hi_u32 v7, v3, v6
	v_mul_lo_u32 v8, v3, v5
	v_mul_hi_u32 v9, v3, v5
	v_mul_hi_u32 v10, v4, v6
	v_mul_lo_u32 v6, v4, v6
	v_mul_hi_u32 v11, v4, v5
	v_mul_lo_u32 v5, v4, v5
	v_add_co_u32 v7, vcc_lo, v7, v8
	v_add_co_ci_u32_e32 v8, vcc_lo, 0, v9, vcc_lo
	s_delay_alu instid0(VALU_DEP_2) | instskip(NEXT) | instid1(VALU_DEP_2)
	v_add_co_u32 v6, vcc_lo, v7, v6
	v_add_co_ci_u32_e32 v6, vcc_lo, v8, v10, vcc_lo
	v_add_co_ci_u32_e32 v7, vcc_lo, 0, v11, vcc_lo
	v_ashrrev_i32_e32 v10, 31, v1
	s_delay_alu instid0(VALU_DEP_3) | instskip(NEXT) | instid1(VALU_DEP_3)
	v_add_co_u32 v5, vcc_lo, v6, v5
	v_add_co_ci_u32_e32 v6, vcc_lo, 0, v7, vcc_lo
	s_delay_alu instid0(VALU_DEP_2) | instskip(NEXT) | instid1(VALU_DEP_2)
	v_add_co_u32 v3, vcc_lo, v3, v5
	v_add_co_ci_u32_e32 v4, vcc_lo, v4, v6, vcc_lo
	s_delay_alu instid0(VALU_DEP_2) | instskip(SKIP_1) | instid1(VALU_DEP_3)
	v_mul_hi_u32 v5, s0, v3
	v_mul_lo_u32 v7, s25, v3
	v_mul_lo_u32 v6, s0, v4
	s_delay_alu instid0(VALU_DEP_1) | instskip(SKIP_1) | instid1(VALU_DEP_2)
	v_add_nc_u32_e32 v5, v5, v6
	v_mul_lo_u32 v6, s0, v3
	v_add_nc_u32_e32 v5, v5, v7
	s_delay_alu instid0(VALU_DEP_2) | instskip(NEXT) | instid1(VALU_DEP_2)
	v_mul_hi_u32 v7, v3, v6
	v_mul_lo_u32 v8, v3, v5
	v_mul_hi_u32 v9, v3, v5
	v_mul_hi_u32 v11, v4, v6
	v_mul_lo_u32 v6, v4, v6
	v_mul_hi_u32 v12, v4, v5
	v_mul_lo_u32 v5, v4, v5
	v_add_co_u32 v7, vcc_lo, v7, v8
	v_add_co_ci_u32_e32 v8, vcc_lo, 0, v9, vcc_lo
	s_delay_alu instid0(VALU_DEP_2) | instskip(NEXT) | instid1(VALU_DEP_2)
	v_add_co_u32 v6, vcc_lo, v7, v6
	v_add_co_ci_u32_e32 v6, vcc_lo, v8, v11, vcc_lo
	v_add_co_ci_u32_e32 v7, vcc_lo, 0, v12, vcc_lo
	v_add_co_u32 v8, vcc_lo, v0, v10
	v_add_co_ci_u32_e32 v9, vcc_lo, v1, v10, vcc_lo
	s_delay_alu instid0(VALU_DEP_4) | instskip(NEXT) | instid1(VALU_DEP_4)
	v_add_co_u32 v5, vcc_lo, v6, v5
	v_add_co_ci_u32_e32 v6, vcc_lo, 0, v7, vcc_lo
	s_delay_alu instid0(VALU_DEP_4) | instskip(NEXT) | instid1(VALU_DEP_3)
	v_xor_b32_e32 v11, v8, v10
	v_add_co_u32 v7, vcc_lo, v3, v5
	s_delay_alu instid0(VALU_DEP_3) | instskip(SKIP_1) | instid1(VALU_DEP_3)
	v_add_co_ci_u32_e32 v12, vcc_lo, v4, v6, vcc_lo
	v_xor_b32_e32 v9, v9, v10
	v_mul_hi_u32 v13, v11, v7
	s_delay_alu instid0(VALU_DEP_3) | instskip(NEXT) | instid1(VALU_DEP_3)
	v_mad_u64_u32 v[3:4], null, v11, v12, 0
	v_mad_u64_u32 v[5:6], null, v9, v7, 0
	;; [unrolled: 1-line block ×3, first 2 shown]
	s_delay_alu instid0(VALU_DEP_3) | instskip(NEXT) | instid1(VALU_DEP_4)
	v_add_co_u32 v3, vcc_lo, v13, v3
	v_add_co_ci_u32_e32 v4, vcc_lo, 0, v4, vcc_lo
	s_delay_alu instid0(VALU_DEP_2) | instskip(NEXT) | instid1(VALU_DEP_2)
	v_add_co_u32 v3, vcc_lo, v3, v5
	v_add_co_ci_u32_e32 v3, vcc_lo, v4, v6, vcc_lo
	v_add_co_ci_u32_e32 v4, vcc_lo, 0, v8, vcc_lo
	s_delay_alu instid0(VALU_DEP_2) | instskip(NEXT) | instid1(VALU_DEP_2)
	v_add_co_u32 v5, vcc_lo, v3, v7
	v_add_co_ci_u32_e32 v6, vcc_lo, 0, v4, vcc_lo
	s_delay_alu instid0(VALU_DEP_2) | instskip(SKIP_1) | instid1(VALU_DEP_3)
	v_mul_lo_u32 v7, s29, v5
	v_mad_u64_u32 v[3:4], null, s28, v5, 0
	v_mul_lo_u32 v8, s28, v6
	s_delay_alu instid0(VALU_DEP_2) | instskip(NEXT) | instid1(VALU_DEP_2)
	v_sub_co_u32 v3, vcc_lo, v11, v3
	v_add3_u32 v4, v4, v8, v7
	s_delay_alu instid0(VALU_DEP_1) | instskip(NEXT) | instid1(VALU_DEP_1)
	v_sub_nc_u32_e32 v7, v9, v4
	v_subrev_co_ci_u32_e64 v7, s0, s29, v7, vcc_lo
	v_add_co_u32 v8, s0, v5, 2
	s_delay_alu instid0(VALU_DEP_1) | instskip(SKIP_3) | instid1(VALU_DEP_3)
	v_add_co_ci_u32_e64 v11, s0, 0, v6, s0
	v_sub_co_u32 v12, s0, v3, s28
	v_sub_co_ci_u32_e32 v4, vcc_lo, v9, v4, vcc_lo
	v_subrev_co_ci_u32_e64 v7, s0, 0, v7, s0
	v_cmp_le_u32_e32 vcc_lo, s28, v12
	s_delay_alu instid0(VALU_DEP_3) | instskip(SKIP_1) | instid1(VALU_DEP_4)
	v_cmp_eq_u32_e64 s0, s29, v4
	v_cndmask_b32_e64 v9, 0, -1, vcc_lo
	v_cmp_le_u32_e32 vcc_lo, s29, v7
	v_cndmask_b32_e64 v12, 0, -1, vcc_lo
	v_cmp_le_u32_e32 vcc_lo, s28, v3
	;; [unrolled: 2-line block ×3, first 2 shown]
	v_cndmask_b32_e64 v13, 0, -1, vcc_lo
	v_cmp_eq_u32_e32 vcc_lo, s29, v7
	s_delay_alu instid0(VALU_DEP_2) | instskip(SKIP_3) | instid1(VALU_DEP_3)
	v_cndmask_b32_e64 v3, v13, v3, s0
	v_cndmask_b32_e32 v7, v12, v9, vcc_lo
	v_add_co_u32 v9, vcc_lo, v5, 1
	v_add_co_ci_u32_e32 v12, vcc_lo, 0, v6, vcc_lo
	v_cmp_ne_u32_e32 vcc_lo, 0, v7
	s_delay_alu instid0(VALU_DEP_2) | instskip(SKIP_2) | instid1(VALU_DEP_3)
	v_dual_cndmask_b32 v4, v12, v11 :: v_dual_cndmask_b32 v7, v9, v8
	v_cmp_ne_u32_e32 vcc_lo, 0, v3
	v_xor_b32_e32 v3, s24, v10
	v_dual_cndmask_b32 v5, v5, v7 :: v_dual_cndmask_b32 v4, v6, v4
	s_delay_alu instid0(VALU_DEP_1) | instskip(NEXT) | instid1(VALU_DEP_2)
	v_xor_b32_e32 v5, v5, v3
	v_xor_b32_e32 v4, v4, v3
	s_delay_alu instid0(VALU_DEP_2) | instskip(NEXT) | instid1(VALU_DEP_2)
	v_sub_co_u32 v8, vcc_lo, v5, v3
	v_sub_co_ci_u32_e32 v9, vcc_lo, v4, v3, vcc_lo
.LBB62_5:                               ;   in Loop: Header=BB62_3 Depth=1
	s_and_not1_saveexec_b32 s0, s1
; %bb.6:                                ;   in Loop: Header=BB62_3 Depth=1
	v_mul_hi_u32 v3, v0, v14
	v_mov_b32_e32 v9, v2
	s_delay_alu instid0(VALU_DEP_2) | instskip(NEXT) | instid1(VALU_DEP_1)
	v_mul_lo_u32 v4, v3, s2
	v_sub_nc_u32_e32 v4, v0, v4
	s_delay_alu instid0(VALU_DEP_1) | instskip(SKIP_1) | instid1(VALU_DEP_2)
	v_subrev_nc_u32_e32 v6, s2, v4
	v_cmp_le_u32_e32 vcc_lo, s2, v4
	v_dual_cndmask_b32 v4, v4, v6 :: v_dual_add_nc_u32 v5, 1, v3
	s_delay_alu instid0(VALU_DEP_1) | instskip(NEXT) | instid1(VALU_DEP_2)
	v_cndmask_b32_e32 v3, v3, v5, vcc_lo
	v_cmp_le_u32_e32 vcc_lo, s2, v4
	s_delay_alu instid0(VALU_DEP_2) | instskip(NEXT) | instid1(VALU_DEP_1)
	v_add_nc_u32_e32 v5, 1, v3
	v_cndmask_b32_e32 v8, v3, v5, vcc_lo
; %bb.7:                                ;   in Loop: Header=BB62_3 Depth=1
	s_or_b32 exec_lo, exec_lo, s0
	v_or_b32_e32 v3, s23, v9
                                        ; implicit-def: $vgpr6_vgpr7
	s_mov_b32 s0, exec_lo
	s_delay_alu instid0(VALU_DEP_1)
	v_cmpx_ne_u64_e32 0, v[2:3]
	s_xor_b32 s1, exec_lo, s0
	s_cbranch_execz .LBB62_9
; %bb.8:                                ;   in Loop: Header=BB62_3 Depth=1
	s_add_u32 s28, s22, s26
	s_mov_b32 s27, s26
	s_addc_u32 s29, s23, s26
	s_delay_alu instid0(SALU_CYCLE_1) | instskip(NEXT) | instid1(SALU_CYCLE_1)
	s_xor_b64 s[28:29], s[28:29], s[26:27]
	v_cvt_f32_u32_e32 v3, s28
	v_cvt_f32_u32_e32 v4, s29
	s_sub_u32 s0, 0, s28
	s_subb_u32 s25, 0, s29
	s_delay_alu instid0(VALU_DEP_1) | instskip(NEXT) | instid1(VALU_DEP_1)
	v_fmac_f32_e32 v3, 0x4f800000, v4
	v_rcp_f32_e32 v3, v3
	s_waitcnt_depctr 0xfff
	v_mul_f32_e32 v3, 0x5f7ffffc, v3
	s_delay_alu instid0(VALU_DEP_1) | instskip(NEXT) | instid1(VALU_DEP_1)
	v_mul_f32_e32 v4, 0x2f800000, v3
	v_trunc_f32_e32 v4, v4
	s_delay_alu instid0(VALU_DEP_1) | instskip(SKIP_1) | instid1(VALU_DEP_2)
	v_fmac_f32_e32 v3, 0xcf800000, v4
	v_cvt_u32_f32_e32 v4, v4
	v_cvt_u32_f32_e32 v3, v3
	s_delay_alu instid0(VALU_DEP_2) | instskip(NEXT) | instid1(VALU_DEP_2)
	v_mul_lo_u32 v5, s0, v4
	v_mul_hi_u32 v6, s0, v3
	v_mul_lo_u32 v7, s25, v3
	s_delay_alu instid0(VALU_DEP_2) | instskip(SKIP_1) | instid1(VALU_DEP_2)
	v_add_nc_u32_e32 v5, v6, v5
	v_mul_lo_u32 v6, s0, v3
	v_add_nc_u32_e32 v5, v5, v7
	s_delay_alu instid0(VALU_DEP_2) | instskip(NEXT) | instid1(VALU_DEP_2)
	v_mul_hi_u32 v7, v3, v6
	v_mul_lo_u32 v10, v3, v5
	v_mul_hi_u32 v11, v3, v5
	v_mul_hi_u32 v12, v4, v6
	v_mul_lo_u32 v6, v4, v6
	v_mul_hi_u32 v13, v4, v5
	v_mul_lo_u32 v5, v4, v5
	v_add_co_u32 v7, vcc_lo, v7, v10
	v_add_co_ci_u32_e32 v10, vcc_lo, 0, v11, vcc_lo
	s_delay_alu instid0(VALU_DEP_2) | instskip(NEXT) | instid1(VALU_DEP_2)
	v_add_co_u32 v6, vcc_lo, v7, v6
	v_add_co_ci_u32_e32 v6, vcc_lo, v10, v12, vcc_lo
	v_add_co_ci_u32_e32 v7, vcc_lo, 0, v13, vcc_lo
	v_ashrrev_i32_e32 v12, 31, v9
	s_delay_alu instid0(VALU_DEP_3) | instskip(NEXT) | instid1(VALU_DEP_3)
	v_add_co_u32 v5, vcc_lo, v6, v5
	v_add_co_ci_u32_e32 v6, vcc_lo, 0, v7, vcc_lo
	s_delay_alu instid0(VALU_DEP_2) | instskip(NEXT) | instid1(VALU_DEP_2)
	v_add_co_u32 v3, vcc_lo, v3, v5
	v_add_co_ci_u32_e32 v4, vcc_lo, v4, v6, vcc_lo
	s_delay_alu instid0(VALU_DEP_2) | instskip(SKIP_1) | instid1(VALU_DEP_3)
	v_mul_hi_u32 v5, s0, v3
	v_mul_lo_u32 v7, s25, v3
	v_mul_lo_u32 v6, s0, v4
	s_delay_alu instid0(VALU_DEP_1) | instskip(SKIP_1) | instid1(VALU_DEP_2)
	v_add_nc_u32_e32 v5, v5, v6
	v_mul_lo_u32 v6, s0, v3
	v_add_nc_u32_e32 v5, v5, v7
	s_delay_alu instid0(VALU_DEP_2) | instskip(NEXT) | instid1(VALU_DEP_2)
	v_mul_hi_u32 v7, v3, v6
	v_mul_lo_u32 v10, v3, v5
	v_mul_hi_u32 v11, v3, v5
	v_mul_hi_u32 v13, v4, v6
	v_mul_lo_u32 v6, v4, v6
	v_mul_hi_u32 v15, v4, v5
	v_mul_lo_u32 v5, v4, v5
	v_add_co_u32 v7, vcc_lo, v7, v10
	v_add_co_ci_u32_e32 v10, vcc_lo, 0, v11, vcc_lo
	s_delay_alu instid0(VALU_DEP_2) | instskip(NEXT) | instid1(VALU_DEP_2)
	v_add_co_u32 v6, vcc_lo, v7, v6
	v_add_co_ci_u32_e32 v6, vcc_lo, v10, v13, vcc_lo
	v_add_co_ci_u32_e32 v7, vcc_lo, 0, v15, vcc_lo
	v_add_co_u32 v10, vcc_lo, v8, v12
	v_add_co_ci_u32_e32 v11, vcc_lo, v9, v12, vcc_lo
	s_delay_alu instid0(VALU_DEP_4) | instskip(NEXT) | instid1(VALU_DEP_4)
	v_add_co_u32 v5, vcc_lo, v6, v5
	v_add_co_ci_u32_e32 v6, vcc_lo, 0, v7, vcc_lo
	s_delay_alu instid0(VALU_DEP_4) | instskip(NEXT) | instid1(VALU_DEP_3)
	v_xor_b32_e32 v7, v10, v12
	v_add_co_u32 v10, vcc_lo, v3, v5
	s_delay_alu instid0(VALU_DEP_3) | instskip(SKIP_1) | instid1(VALU_DEP_3)
	v_add_co_ci_u32_e32 v13, vcc_lo, v4, v6, vcc_lo
	v_xor_b32_e32 v15, v11, v12
	v_mul_hi_u32 v16, v7, v10
	s_delay_alu instid0(VALU_DEP_3) | instskip(NEXT) | instid1(VALU_DEP_3)
	v_mad_u64_u32 v[3:4], null, v7, v13, 0
	v_mad_u64_u32 v[5:6], null, v15, v10, 0
	;; [unrolled: 1-line block ×3, first 2 shown]
	s_delay_alu instid0(VALU_DEP_3) | instskip(NEXT) | instid1(VALU_DEP_4)
	v_add_co_u32 v3, vcc_lo, v16, v3
	v_add_co_ci_u32_e32 v4, vcc_lo, 0, v4, vcc_lo
	s_delay_alu instid0(VALU_DEP_2) | instskip(NEXT) | instid1(VALU_DEP_2)
	v_add_co_u32 v3, vcc_lo, v3, v5
	v_add_co_ci_u32_e32 v3, vcc_lo, v4, v6, vcc_lo
	v_add_co_ci_u32_e32 v4, vcc_lo, 0, v11, vcc_lo
	s_delay_alu instid0(VALU_DEP_2) | instskip(NEXT) | instid1(VALU_DEP_2)
	v_add_co_u32 v5, vcc_lo, v3, v10
	v_add_co_ci_u32_e32 v6, vcc_lo, 0, v4, vcc_lo
	s_delay_alu instid0(VALU_DEP_2) | instskip(SKIP_1) | instid1(VALU_DEP_3)
	v_mul_lo_u32 v10, s29, v5
	v_mad_u64_u32 v[3:4], null, s28, v5, 0
	v_mul_lo_u32 v11, s28, v6
	s_delay_alu instid0(VALU_DEP_2) | instskip(NEXT) | instid1(VALU_DEP_2)
	v_sub_co_u32 v3, vcc_lo, v7, v3
	v_add3_u32 v4, v4, v11, v10
	s_delay_alu instid0(VALU_DEP_1) | instskip(NEXT) | instid1(VALU_DEP_1)
	v_sub_nc_u32_e32 v10, v15, v4
	v_subrev_co_ci_u32_e64 v7, s0, s29, v10, vcc_lo
	v_add_co_u32 v10, s0, v5, 2
	s_delay_alu instid0(VALU_DEP_1) | instskip(SKIP_3) | instid1(VALU_DEP_3)
	v_add_co_ci_u32_e64 v11, s0, 0, v6, s0
	v_sub_co_u32 v13, s0, v3, s28
	v_sub_co_ci_u32_e32 v4, vcc_lo, v15, v4, vcc_lo
	v_subrev_co_ci_u32_e64 v7, s0, 0, v7, s0
	v_cmp_le_u32_e32 vcc_lo, s28, v13
	s_delay_alu instid0(VALU_DEP_3) | instskip(SKIP_1) | instid1(VALU_DEP_4)
	v_cmp_eq_u32_e64 s0, s29, v4
	v_cndmask_b32_e64 v13, 0, -1, vcc_lo
	v_cmp_le_u32_e32 vcc_lo, s29, v7
	v_cndmask_b32_e64 v15, 0, -1, vcc_lo
	v_cmp_le_u32_e32 vcc_lo, s28, v3
	;; [unrolled: 2-line block ×3, first 2 shown]
	v_cndmask_b32_e64 v16, 0, -1, vcc_lo
	v_cmp_eq_u32_e32 vcc_lo, s29, v7
	s_delay_alu instid0(VALU_DEP_2) | instskip(SKIP_3) | instid1(VALU_DEP_3)
	v_cndmask_b32_e64 v3, v16, v3, s0
	v_cndmask_b32_e32 v7, v15, v13, vcc_lo
	v_add_co_u32 v13, vcc_lo, v5, 1
	v_add_co_ci_u32_e32 v15, vcc_lo, 0, v6, vcc_lo
	v_cmp_ne_u32_e32 vcc_lo, 0, v7
	s_delay_alu instid0(VALU_DEP_2) | instskip(SKIP_2) | instid1(VALU_DEP_3)
	v_dual_cndmask_b32 v4, v15, v11 :: v_dual_cndmask_b32 v7, v13, v10
	v_cmp_ne_u32_e32 vcc_lo, 0, v3
	v_xor_b32_e32 v3, s26, v12
	v_dual_cndmask_b32 v5, v5, v7 :: v_dual_cndmask_b32 v4, v6, v4
	s_delay_alu instid0(VALU_DEP_1) | instskip(NEXT) | instid1(VALU_DEP_2)
	v_xor_b32_e32 v5, v5, v3
	v_xor_b32_e32 v4, v4, v3
	s_delay_alu instid0(VALU_DEP_2) | instskip(NEXT) | instid1(VALU_DEP_2)
	v_sub_co_u32 v6, vcc_lo, v5, v3
	v_sub_co_ci_u32_e32 v7, vcc_lo, v4, v3, vcc_lo
.LBB62_9:                               ;   in Loop: Header=BB62_3 Depth=1
	s_and_not1_saveexec_b32 s0, s1
	s_cbranch_execz .LBB62_11
; %bb.10:                               ;   in Loop: Header=BB62_3 Depth=1
	v_cvt_f32_u32_e32 v3, s22
	s_sub_i32 s1, 0, s22
	v_mov_b32_e32 v7, v2
	s_delay_alu instid0(VALU_DEP_2) | instskip(SKIP_2) | instid1(VALU_DEP_1)
	v_rcp_iflag_f32_e32 v3, v3
	s_waitcnt_depctr 0xfff
	v_mul_f32_e32 v3, 0x4f7ffffe, v3
	v_cvt_u32_f32_e32 v3, v3
	s_delay_alu instid0(VALU_DEP_1) | instskip(NEXT) | instid1(VALU_DEP_1)
	v_mul_lo_u32 v4, s1, v3
	v_mul_hi_u32 v4, v3, v4
	s_delay_alu instid0(VALU_DEP_1) | instskip(NEXT) | instid1(VALU_DEP_1)
	v_add_nc_u32_e32 v3, v3, v4
	v_mul_hi_u32 v3, v8, v3
	s_delay_alu instid0(VALU_DEP_1) | instskip(SKIP_1) | instid1(VALU_DEP_2)
	v_mul_lo_u32 v4, v3, s22
	v_add_nc_u32_e32 v5, 1, v3
	v_sub_nc_u32_e32 v4, v8, v4
	s_delay_alu instid0(VALU_DEP_1) | instskip(SKIP_1) | instid1(VALU_DEP_2)
	v_subrev_nc_u32_e32 v6, s22, v4
	v_cmp_le_u32_e32 vcc_lo, s22, v4
	v_dual_cndmask_b32 v4, v4, v6 :: v_dual_cndmask_b32 v3, v3, v5
	s_delay_alu instid0(VALU_DEP_1) | instskip(NEXT) | instid1(VALU_DEP_2)
	v_cmp_le_u32_e32 vcc_lo, s22, v4
	v_add_nc_u32_e32 v5, 1, v3
	s_delay_alu instid0(VALU_DEP_1)
	v_cndmask_b32_e32 v6, v3, v5, vcc_lo
.LBB62_11:                              ;   in Loop: Header=BB62_3 Depth=1
	s_or_b32 exec_lo, exec_lo, s0
	v_mul_lo_u32 v5, v9, s2
	v_mul_lo_u32 v12, v8, s3
	v_mad_u64_u32 v[3:4], null, v8, s2, 0
	v_mul_lo_u32 v13, v7, s22
	v_mul_lo_u32 v15, v6, s23
	v_mad_u64_u32 v[10:11], null, v6, s22, 0
	s_mov_b32 s25, exec_lo
	s_delay_alu instid0(VALU_DEP_4) | instskip(SKIP_1) | instid1(VALU_DEP_3)
	v_add3_u32 v5, v4, v12, v5
	v_sub_co_u32 v4, vcc_lo, v0, v3
	v_add3_u32 v11, v11, v15, v13
	s_delay_alu instid0(VALU_DEP_3) | instskip(SKIP_1) | instid1(VALU_DEP_3)
	v_sub_co_ci_u32_e32 v5, vcc_lo, v1, v5, vcc_lo
	v_sub_co_u32 v15, vcc_lo, v8, v10
	v_sub_co_ci_u32_e32 v16, vcc_lo, v9, v11, vcc_lo
	s_delay_alu instid0(VALU_DEP_2) | instskip(NEXT) | instid1(VALU_DEP_2)
	v_sub_co_u32 v8, vcc_lo, v4, v15
	v_sub_co_ci_u32_e32 v9, vcc_lo, v5, v16, vcc_lo
	s_delay_alu instid0(VALU_DEP_1)
	v_cmpx_gt_i64_e64 s[4:5], v[8:9]
	s_cbranch_execz .LBB62_2
; %bb.12:                               ;   in Loop: Header=BB62_3 Depth=1
	s_clause 0x1
	s_load_b64 s[28:29], s[10:11], 0x0
	s_load_b64 s[0:1], s[12:13], 0x0
	s_and_b32 vcc_lo, exec_lo, s44
	s_mov_b64 s[30:31], s[20:21]
	s_mov_b64 s[34:35], s[18:19]
	s_mov_b64 s[36:37], s[16:17]
	s_waitcnt lgkmcnt(0)
	v_mul_lo_u32 v3, s29, v4
	v_mul_lo_u32 v10, s28, v5
	v_mad_u64_u32 v[8:9], null, s28, v4, 0
	s_delay_alu instid0(VALU_DEP_1) | instskip(SKIP_1) | instid1(VALU_DEP_2)
	v_add3_u32 v9, v9, v10, v3
	v_mul_lo_u32 v3, s0, v16
	v_mad_u64_u32 v[12:13], null, s0, v15, v[8:9]
	v_mul_lo_u32 v8, s1, v15
	s_delay_alu instid0(VALU_DEP_1) | instskip(NEXT) | instid1(VALU_DEP_1)
	v_add3_u32 v13, v8, v13, v3
	v_dual_mov_b32 v8, v12 :: v_dual_mov_b32 v9, v13
	s_cbranch_vccnz .LBB62_17
.LBB62_13:                              ;   in Loop: Header=BB62_3 Depth=1
	s_load_b64 s[0:1], s[14:15], 0x0
	s_waitcnt lgkmcnt(0)
	v_cmp_gt_i64_e32 vcc_lo, s[0:1], v[4:5]
	s_and_b32 exec_lo, exec_lo, vcc_lo
	s_cbranch_execz .LBB62_2
; %bb.14:                               ;   in Loop: Header=BB62_3 Depth=1
	v_add_co_u32 v3, vcc_lo, v4, 1
	v_add_co_ci_u32_e32 v4, vcc_lo, 0, v5, vcc_lo
	v_lshlrev_b64 v[7:8], 2, v[12:13]
	s_delay_alu instid0(VALU_DEP_3) | instskip(NEXT) | instid1(VALU_DEP_3)
	v_sub_co_u32 v5, vcc_lo, v3, v15
	v_sub_co_ci_u32_e32 v6, vcc_lo, v4, v16, vcc_lo
	v_cmp_gt_i64_e32 vcc_lo, s[0:1], v[3:4]
	s_delay_alu instid0(VALU_DEP_4) | instskip(NEXT) | instid1(VALU_DEP_3)
	v_add_co_u32 v3, s1, s8, v7
	v_cmp_gt_i64_e64 s0, s[4:5], v[5:6]
	v_add_co_ci_u32_e64 v4, s1, s9, v8, s1
	global_store_b32 v[3:4], v2, off
	s_and_b32 s0, vcc_lo, s0
	s_delay_alu instid0(SALU_CYCLE_1)
	s_and_b32 exec_lo, exec_lo, s0
	s_cbranch_execz .LBB62_2
; %bb.15:                               ;   in Loop: Header=BB62_3 Depth=1
	s_lshl_b64 s[0:1], s[28:29], 2
	s_delay_alu instid0(SALU_CYCLE_1)
	v_add_co_u32 v3, vcc_lo, v3, s0
	v_add_co_ci_u32_e32 v4, vcc_lo, s1, v4, vcc_lo
	global_store_b32 v[3:4], v2, off
	s_branch .LBB62_2
.LBB62_16:                              ;   in Loop: Header=BB62_17 Depth=2
	s_or_b32 exec_lo, exec_lo, s0
	s_load_b64 s[0:1], s[36:37], 0x0
	s_delay_alu instid0(VALU_DEP_1)
	v_mul_lo_u32 v3, v11, s38
	v_mul_lo_u32 v17, v10, s39
	v_mad_u64_u32 v[12:13], null, v10, s38, 0
	s_add_u32 s36, s36, -8
	s_addc_u32 s37, s37, -1
	s_add_u32 s34, s34, -8
	s_addc_u32 s35, s35, -1
	;; [unrolled: 2-line block ×3, first 2 shown]
	s_delay_alu instid0(VALU_DEP_1) | instskip(SKIP_1) | instid1(VALU_DEP_2)
	v_add3_u32 v3, v13, v17, v3
	v_sub_co_u32 v6, vcc_lo, v6, v12
	v_sub_co_ci_u32_e32 v3, vcc_lo, v7, v3, vcc_lo
	s_waitcnt lgkmcnt(0)
	s_delay_alu instid0(VALU_DEP_2) | instskip(NEXT) | instid1(VALU_DEP_2)
	v_mul_lo_u32 v7, s1, v6
	v_mul_lo_u32 v3, s0, v3
	v_mad_u64_u32 v[12:13], null, s0, v6, v[8:9]
	v_cmp_lt_i64_e64 s0, s[30:31], 1
	s_delay_alu instid0(VALU_DEP_1) | instskip(NEXT) | instid1(VALU_DEP_2)
	s_and_b32 vcc_lo, exec_lo, s0
	v_add3_u32 v13, v7, v13, v3
	s_delay_alu instid0(VALU_DEP_3) | instskip(SKIP_1) | instid1(VALU_DEP_3)
	v_mov_b32_e32 v8, v12
	v_dual_mov_b32 v6, v10 :: v_dual_mov_b32 v7, v11
	v_mov_b32_e32 v9, v13
	s_cbranch_vccnz .LBB62_13
.LBB62_17:                              ;   Parent Loop BB62_3 Depth=1
                                        ; =>  This Inner Loop Header: Depth=2
	s_load_b64 s[38:39], s[34:35], 0x0
                                        ; implicit-def: $vgpr10_vgpr11
	s_mov_b32 s0, exec_lo
	s_waitcnt lgkmcnt(0)
	v_or_b32_e32 v3, s39, v7
	s_delay_alu instid0(VALU_DEP_1)
	v_cmpx_ne_u64_e32 0, v[2:3]
	s_xor_b32 s1, exec_lo, s0
	s_cbranch_execz .LBB62_19
; %bb.18:                               ;   in Loop: Header=BB62_17 Depth=2
	s_ashr_i32 s40, s39, 31
	s_delay_alu instid0(SALU_CYCLE_1) | instskip(SKIP_2) | instid1(SALU_CYCLE_1)
	s_add_u32 s42, s38, s40
	s_mov_b32 s41, s40
	s_addc_u32 s43, s39, s40
	s_xor_b64 s[42:43], s[42:43], s[40:41]
	s_delay_alu instid0(SALU_CYCLE_1) | instskip(SKIP_3) | instid1(VALU_DEP_1)
	v_cvt_f32_u32_e32 v3, s42
	v_cvt_f32_u32_e32 v10, s43
	s_sub_u32 s0, 0, s42
	s_subb_u32 s27, 0, s43
	v_fmac_f32_e32 v3, 0x4f800000, v10
	s_delay_alu instid0(VALU_DEP_1) | instskip(SKIP_2) | instid1(VALU_DEP_1)
	v_rcp_f32_e32 v3, v3
	s_waitcnt_depctr 0xfff
	v_mul_f32_e32 v3, 0x5f7ffffc, v3
	v_mul_f32_e32 v10, 0x2f800000, v3
	s_delay_alu instid0(VALU_DEP_1) | instskip(NEXT) | instid1(VALU_DEP_1)
	v_trunc_f32_e32 v10, v10
	v_fmac_f32_e32 v3, 0xcf800000, v10
	v_cvt_u32_f32_e32 v10, v10
	s_delay_alu instid0(VALU_DEP_2) | instskip(NEXT) | instid1(VALU_DEP_2)
	v_cvt_u32_f32_e32 v3, v3
	v_mul_lo_u32 v11, s0, v10
	s_delay_alu instid0(VALU_DEP_2) | instskip(SKIP_1) | instid1(VALU_DEP_2)
	v_mul_hi_u32 v12, s0, v3
	v_mul_lo_u32 v13, s27, v3
	v_add_nc_u32_e32 v11, v12, v11
	v_mul_lo_u32 v12, s0, v3
	s_delay_alu instid0(VALU_DEP_2) | instskip(NEXT) | instid1(VALU_DEP_2)
	v_add_nc_u32_e32 v11, v11, v13
	v_mul_hi_u32 v13, v3, v12
	s_delay_alu instid0(VALU_DEP_2)
	v_mul_lo_u32 v17, v3, v11
	v_mul_hi_u32 v18, v3, v11
	v_mul_hi_u32 v19, v10, v12
	v_mul_lo_u32 v12, v10, v12
	v_mul_hi_u32 v20, v10, v11
	v_mul_lo_u32 v11, v10, v11
	v_add_co_u32 v13, vcc_lo, v13, v17
	v_add_co_ci_u32_e32 v17, vcc_lo, 0, v18, vcc_lo
	s_delay_alu instid0(VALU_DEP_2) | instskip(NEXT) | instid1(VALU_DEP_2)
	v_add_co_u32 v12, vcc_lo, v13, v12
	v_add_co_ci_u32_e32 v12, vcc_lo, v17, v19, vcc_lo
	v_add_co_ci_u32_e32 v13, vcc_lo, 0, v20, vcc_lo
	v_ashrrev_i32_e32 v19, 31, v7
	s_delay_alu instid0(VALU_DEP_3) | instskip(NEXT) | instid1(VALU_DEP_3)
	v_add_co_u32 v11, vcc_lo, v12, v11
	v_add_co_ci_u32_e32 v12, vcc_lo, 0, v13, vcc_lo
	s_delay_alu instid0(VALU_DEP_2) | instskip(NEXT) | instid1(VALU_DEP_2)
	v_add_co_u32 v3, vcc_lo, v3, v11
	v_add_co_ci_u32_e32 v10, vcc_lo, v10, v12, vcc_lo
	s_delay_alu instid0(VALU_DEP_2) | instskip(SKIP_1) | instid1(VALU_DEP_3)
	v_mul_hi_u32 v11, s0, v3
	v_mul_lo_u32 v13, s27, v3
	v_mul_lo_u32 v12, s0, v10
	s_delay_alu instid0(VALU_DEP_1) | instskip(SKIP_1) | instid1(VALU_DEP_2)
	v_add_nc_u32_e32 v11, v11, v12
	v_mul_lo_u32 v12, s0, v3
	v_add_nc_u32_e32 v11, v11, v13
	s_delay_alu instid0(VALU_DEP_2) | instskip(NEXT) | instid1(VALU_DEP_2)
	v_mul_hi_u32 v13, v3, v12
	v_mul_lo_u32 v17, v3, v11
	v_mul_hi_u32 v18, v3, v11
	v_mul_hi_u32 v20, v10, v12
	v_mul_lo_u32 v12, v10, v12
	v_mul_hi_u32 v21, v10, v11
	v_mul_lo_u32 v11, v10, v11
	v_add_co_u32 v13, vcc_lo, v13, v17
	v_add_co_ci_u32_e32 v17, vcc_lo, 0, v18, vcc_lo
	s_delay_alu instid0(VALU_DEP_2) | instskip(NEXT) | instid1(VALU_DEP_2)
	v_add_co_u32 v12, vcc_lo, v13, v12
	v_add_co_ci_u32_e32 v12, vcc_lo, v17, v20, vcc_lo
	v_add_co_ci_u32_e32 v13, vcc_lo, 0, v21, vcc_lo
	v_add_co_u32 v17, vcc_lo, v6, v19
	v_add_co_ci_u32_e32 v18, vcc_lo, v7, v19, vcc_lo
	s_delay_alu instid0(VALU_DEP_4) | instskip(NEXT) | instid1(VALU_DEP_4)
	v_add_co_u32 v11, vcc_lo, v12, v11
	v_add_co_ci_u32_e32 v12, vcc_lo, 0, v13, vcc_lo
	s_delay_alu instid0(VALU_DEP_4) | instskip(NEXT) | instid1(VALU_DEP_3)
	v_xor_b32_e32 v20, v17, v19
	v_add_co_u32 v3, vcc_lo, v3, v11
	s_delay_alu instid0(VALU_DEP_3) | instskip(SKIP_1) | instid1(VALU_DEP_3)
	v_add_co_ci_u32_e32 v21, vcc_lo, v10, v12, vcc_lo
	v_xor_b32_e32 v22, v18, v19
	v_mul_hi_u32 v23, v20, v3
	s_delay_alu instid0(VALU_DEP_3) | instskip(NEXT) | instid1(VALU_DEP_3)
	v_mad_u64_u32 v[10:11], null, v20, v21, 0
	v_mad_u64_u32 v[12:13], null, v22, v3, 0
	;; [unrolled: 1-line block ×3, first 2 shown]
	s_delay_alu instid0(VALU_DEP_3) | instskip(NEXT) | instid1(VALU_DEP_4)
	v_add_co_u32 v3, vcc_lo, v23, v10
	v_add_co_ci_u32_e32 v10, vcc_lo, 0, v11, vcc_lo
	s_delay_alu instid0(VALU_DEP_2) | instskip(NEXT) | instid1(VALU_DEP_2)
	v_add_co_u32 v3, vcc_lo, v3, v12
	v_add_co_ci_u32_e32 v3, vcc_lo, v10, v13, vcc_lo
	v_add_co_ci_u32_e32 v10, vcc_lo, 0, v18, vcc_lo
	s_delay_alu instid0(VALU_DEP_2) | instskip(NEXT) | instid1(VALU_DEP_2)
	v_add_co_u32 v3, vcc_lo, v3, v17
	v_add_co_ci_u32_e32 v12, vcc_lo, 0, v10, vcc_lo
	s_delay_alu instid0(VALU_DEP_2) | instskip(SKIP_1) | instid1(VALU_DEP_3)
	v_mul_lo_u32 v13, s43, v3
	v_mad_u64_u32 v[10:11], null, s42, v3, 0
	v_mul_lo_u32 v17, s42, v12
	s_delay_alu instid0(VALU_DEP_2) | instskip(NEXT) | instid1(VALU_DEP_2)
	v_sub_co_u32 v10, vcc_lo, v20, v10
	v_add3_u32 v11, v11, v17, v13
	s_delay_alu instid0(VALU_DEP_1) | instskip(NEXT) | instid1(VALU_DEP_1)
	v_sub_nc_u32_e32 v13, v22, v11
	v_subrev_co_ci_u32_e64 v13, s0, s43, v13, vcc_lo
	v_add_co_u32 v17, s0, v3, 2
	s_delay_alu instid0(VALU_DEP_1) | instskip(SKIP_3) | instid1(VALU_DEP_3)
	v_add_co_ci_u32_e64 v18, s0, 0, v12, s0
	v_sub_co_u32 v20, s0, v10, s42
	v_sub_co_ci_u32_e32 v11, vcc_lo, v22, v11, vcc_lo
	v_subrev_co_ci_u32_e64 v13, s0, 0, v13, s0
	v_cmp_le_u32_e32 vcc_lo, s42, v20
	s_delay_alu instid0(VALU_DEP_3) | instskip(SKIP_1) | instid1(VALU_DEP_4)
	v_cmp_eq_u32_e64 s0, s43, v11
	v_cndmask_b32_e64 v20, 0, -1, vcc_lo
	v_cmp_le_u32_e32 vcc_lo, s43, v13
	v_cndmask_b32_e64 v21, 0, -1, vcc_lo
	v_cmp_le_u32_e32 vcc_lo, s42, v10
	;; [unrolled: 2-line block ×3, first 2 shown]
	v_cndmask_b32_e64 v22, 0, -1, vcc_lo
	v_cmp_eq_u32_e32 vcc_lo, s43, v13
	s_delay_alu instid0(VALU_DEP_2) | instskip(SKIP_3) | instid1(VALU_DEP_3)
	v_cndmask_b32_e64 v10, v22, v10, s0
	v_cndmask_b32_e32 v13, v21, v20, vcc_lo
	v_add_co_u32 v20, vcc_lo, v3, 1
	v_add_co_ci_u32_e32 v21, vcc_lo, 0, v12, vcc_lo
	v_cmp_ne_u32_e32 vcc_lo, 0, v13
	s_delay_alu instid0(VALU_DEP_2) | instskip(NEXT) | instid1(VALU_DEP_4)
	v_cndmask_b32_e32 v11, v21, v18, vcc_lo
	v_cndmask_b32_e32 v13, v20, v17, vcc_lo
	v_cmp_ne_u32_e32 vcc_lo, 0, v10
	v_xor_b32_e32 v17, s40, v19
	s_delay_alu instid0(VALU_DEP_3) | instskip(NEXT) | instid1(VALU_DEP_1)
	v_dual_cndmask_b32 v3, v3, v13 :: v_dual_cndmask_b32 v10, v12, v11
	v_xor_b32_e32 v3, v3, v17
	s_delay_alu instid0(VALU_DEP_2) | instskip(NEXT) | instid1(VALU_DEP_2)
	v_xor_b32_e32 v11, v10, v17
	v_sub_co_u32 v10, vcc_lo, v3, v17
	s_delay_alu instid0(VALU_DEP_2)
	v_sub_co_ci_u32_e32 v11, vcc_lo, v11, v17, vcc_lo
.LBB62_19:                              ;   in Loop: Header=BB62_17 Depth=2
	s_and_not1_saveexec_b32 s0, s1
	s_cbranch_execz .LBB62_16
; %bb.20:                               ;   in Loop: Header=BB62_17 Depth=2
	v_cvt_f32_u32_e32 v3, s38
	s_sub_i32 s1, 0, s38
	s_delay_alu instid0(VALU_DEP_1) | instskip(SKIP_2) | instid1(VALU_DEP_1)
	v_rcp_iflag_f32_e32 v3, v3
	s_waitcnt_depctr 0xfff
	v_mul_f32_e32 v3, 0x4f7ffffe, v3
	v_cvt_u32_f32_e32 v3, v3
	s_delay_alu instid0(VALU_DEP_1) | instskip(NEXT) | instid1(VALU_DEP_1)
	v_mul_lo_u32 v10, s1, v3
	v_mul_hi_u32 v10, v3, v10
	s_delay_alu instid0(VALU_DEP_1) | instskip(NEXT) | instid1(VALU_DEP_1)
	v_add_nc_u32_e32 v3, v3, v10
	v_mul_hi_u32 v3, v6, v3
	s_delay_alu instid0(VALU_DEP_1) | instskip(SKIP_1) | instid1(VALU_DEP_2)
	v_mul_lo_u32 v10, v3, s38
	v_add_nc_u32_e32 v11, 1, v3
	v_sub_nc_u32_e32 v10, v6, v10
	s_delay_alu instid0(VALU_DEP_1) | instskip(SKIP_1) | instid1(VALU_DEP_2)
	v_subrev_nc_u32_e32 v12, s38, v10
	v_cmp_le_u32_e32 vcc_lo, s38, v10
	v_dual_cndmask_b32 v10, v10, v12 :: v_dual_cndmask_b32 v3, v3, v11
	s_delay_alu instid0(VALU_DEP_1) | instskip(NEXT) | instid1(VALU_DEP_2)
	v_cmp_le_u32_e32 vcc_lo, s38, v10
	v_add_nc_u32_e32 v11, 1, v3
	s_delay_alu instid0(VALU_DEP_1)
	v_dual_cndmask_b32 v10, v3, v11 :: v_dual_mov_b32 v11, v2
	s_branch .LBB62_16
.LBB62_21:
	s_nop 0
	s_sendmsg sendmsg(MSG_DEALLOC_VGPRS)
	s_endpgm
	.section	.rodata,"a",@progbits
	.p2align	6, 0x0
	.amdhsa_kernel _ZN2at6native16triu_tril_kernelIilLb1ELi2ELb1EEEvNS_4cuda6detail10TensorInfoIT_T0_EENS4_IKS5_S6_EEllS6_
		.amdhsa_group_segment_fixed_size 0
		.amdhsa_private_segment_fixed_size 0
		.amdhsa_kernarg_size 1112
		.amdhsa_user_sgpr_count 15
		.amdhsa_user_sgpr_dispatch_ptr 0
		.amdhsa_user_sgpr_queue_ptr 0
		.amdhsa_user_sgpr_kernarg_segment_ptr 1
		.amdhsa_user_sgpr_dispatch_id 0
		.amdhsa_user_sgpr_private_segment_size 0
		.amdhsa_wavefront_size32 1
		.amdhsa_uses_dynamic_stack 0
		.amdhsa_enable_private_segment 0
		.amdhsa_system_sgpr_workgroup_id_x 1
		.amdhsa_system_sgpr_workgroup_id_y 0
		.amdhsa_system_sgpr_workgroup_id_z 0
		.amdhsa_system_sgpr_workgroup_info 0
		.amdhsa_system_vgpr_workitem_id 0
		.amdhsa_next_free_vgpr 24
		.amdhsa_next_free_sgpr 46
		.amdhsa_reserve_vcc 1
		.amdhsa_float_round_mode_32 0
		.amdhsa_float_round_mode_16_64 0
		.amdhsa_float_denorm_mode_32 3
		.amdhsa_float_denorm_mode_16_64 3
		.amdhsa_dx10_clamp 1
		.amdhsa_ieee_mode 1
		.amdhsa_fp16_overflow 0
		.amdhsa_workgroup_processor_mode 1
		.amdhsa_memory_ordered 1
		.amdhsa_forward_progress 0
		.amdhsa_shared_vgpr_count 0
		.amdhsa_exception_fp_ieee_invalid_op 0
		.amdhsa_exception_fp_denorm_src 0
		.amdhsa_exception_fp_ieee_div_zero 0
		.amdhsa_exception_fp_ieee_overflow 0
		.amdhsa_exception_fp_ieee_underflow 0
		.amdhsa_exception_fp_ieee_inexact 0
		.amdhsa_exception_int_div_zero 0
	.end_amdhsa_kernel
	.section	.text._ZN2at6native16triu_tril_kernelIilLb1ELi2ELb1EEEvNS_4cuda6detail10TensorInfoIT_T0_EENS4_IKS5_S6_EEllS6_,"axG",@progbits,_ZN2at6native16triu_tril_kernelIilLb1ELi2ELb1EEEvNS_4cuda6detail10TensorInfoIT_T0_EENS4_IKS5_S6_EEllS6_,comdat
.Lfunc_end62:
	.size	_ZN2at6native16triu_tril_kernelIilLb1ELi2ELb1EEEvNS_4cuda6detail10TensorInfoIT_T0_EENS4_IKS5_S6_EEllS6_, .Lfunc_end62-_ZN2at6native16triu_tril_kernelIilLb1ELi2ELb1EEEvNS_4cuda6detail10TensorInfoIT_T0_EENS4_IKS5_S6_EEllS6_
                                        ; -- End function
	.section	.AMDGPU.csdata,"",@progbits
; Kernel info:
; codeLenInByte = 3876
; NumSgprs: 48
; NumVgprs: 24
; ScratchSize: 0
; MemoryBound: 0
; FloatMode: 240
; IeeeMode: 1
; LDSByteSize: 0 bytes/workgroup (compile time only)
; SGPRBlocks: 5
; VGPRBlocks: 2
; NumSGPRsForWavesPerEU: 48
; NumVGPRsForWavesPerEU: 24
; Occupancy: 16
; WaveLimiterHint : 0
; COMPUTE_PGM_RSRC2:SCRATCH_EN: 0
; COMPUTE_PGM_RSRC2:USER_SGPR: 15
; COMPUTE_PGM_RSRC2:TRAP_HANDLER: 0
; COMPUTE_PGM_RSRC2:TGID_X_EN: 1
; COMPUTE_PGM_RSRC2:TGID_Y_EN: 0
; COMPUTE_PGM_RSRC2:TGID_Z_EN: 0
; COMPUTE_PGM_RSRC2:TIDIG_COMP_CNT: 0
	.section	.text._ZN2at6native16triu_tril_kernelIilLb1ELi2ELb0EEEvNS_4cuda6detail10TensorInfoIT_T0_EENS4_IKS5_S6_EEllS6_,"axG",@progbits,_ZN2at6native16triu_tril_kernelIilLb1ELi2ELb0EEEvNS_4cuda6detail10TensorInfoIT_T0_EENS4_IKS5_S6_EEllS6_,comdat
	.protected	_ZN2at6native16triu_tril_kernelIilLb1ELi2ELb0EEEvNS_4cuda6detail10TensorInfoIT_T0_EENS4_IKS5_S6_EEllS6_ ; -- Begin function _ZN2at6native16triu_tril_kernelIilLb1ELi2ELb0EEEvNS_4cuda6detail10TensorInfoIT_T0_EENS4_IKS5_S6_EEllS6_
	.globl	_ZN2at6native16triu_tril_kernelIilLb1ELi2ELb0EEEvNS_4cuda6detail10TensorInfoIT_T0_EENS4_IKS5_S6_EEllS6_
	.p2align	8
	.type	_ZN2at6native16triu_tril_kernelIilLb1ELi2ELb0EEEvNS_4cuda6detail10TensorInfoIT_T0_EENS4_IKS5_S6_EEllS6_,@function
_ZN2at6native16triu_tril_kernelIilLb1ELi2ELb0EEEvNS_4cuda6detail10TensorInfoIT_T0_EENS4_IKS5_S6_EEllS6_: ; @_ZN2at6native16triu_tril_kernelIilLb1ELi2ELb0EEEvNS_4cuda6detail10TensorInfoIT_T0_EENS4_IKS5_S6_EEllS6_
; %bb.0:
	s_clause 0x1
	s_load_b32 s2, s[0:1], 0x364
	s_load_b128 s[4:7], s[0:1], 0x340
	v_mov_b32_e32 v2, 0
	s_add_u32 s8, s0, 0x358
	s_addc_u32 s9, s1, 0
	s_delay_alu instid0(VALU_DEP_1) | instskip(SKIP_3) | instid1(VALU_DEP_1)
	v_mov_b32_e32 v1, v2
	s_waitcnt lgkmcnt(0)
	s_and_b32 s24, s2, 0xffff
	s_mov_b32 s2, exec_lo
	v_mad_u64_u32 v[3:4], null, s24, s15, v[0:1]
	s_delay_alu instid0(VALU_DEP_1) | instskip(NEXT) | instid1(VALU_DEP_1)
	v_lshlrev_b64 v[0:1], 1, v[3:4]
	v_cmpx_gt_i64_e64 s[6:7], v[0:1]
	s_cbranch_execz .LBB63_26
; %bb.1:
	s_clause 0x1
	s_load_b32 s26, s[0:1], 0x338
	s_load_b64 s[2:3], s[0:1], 0x350
	s_add_u32 s10, s0, 0x1a0
	s_addc_u32 s11, s1, 0
	s_load_b32 s25, s[8:9], 0x0
	s_clause 0x1
	s_load_b64 s[20:21], s[0:1], 0x1a0
	s_load_b64 s[22:23], s[0:1], 0x0
	s_mov_b32 s46, 0
	s_waitcnt lgkmcnt(0)
	s_ashr_i32 s27, s26, 31
	s_add_u32 s30, s0, 0x1a8
	s_addc_u32 s31, s1, 0
	s_lshl_b64 s[8:9], s[26:27], 3
	v_cvt_f32_u32_e32 v3, s2
	s_add_u32 s14, s8, -16
	s_addc_u32 s15, s9, -1
	s_add_u32 s8, s30, s14
	s_addc_u32 s9, s31, s15
	s_add_u32 s12, s10, s14
	s_addc_u32 s13, s11, s15
	s_add_u32 s34, s0, 0xd0
	s_addc_u32 s35, s1, 0
	s_add_u32 s0, s34, s14
	s_addc_u32 s1, s35, s15
	s_clause 0x2
	s_load_b128 s[8:11], s[8:9], 0x0
	s_load_b128 s[12:15], s[12:13], 0xd0
	;; [unrolled: 1-line block ×3, first 2 shown]
	v_rcp_iflag_f32_e32 v3, v3
	s_add_i32 s28, s26, -3
	s_mul_i32 s25, s25, s24
	s_ashr_i32 s29, s28, 31
	v_cmp_gt_i64_e64 s1, s[26:27], 2
	s_lshl_b64 s[26:27], s[28:29], 3
	s_lshl_b32 s33, s25, 1
	s_add_u32 s24, s34, s26
	s_addc_u32 s25, s35, s27
	s_add_u32 s26, s30, s26
	s_waitcnt_depctr 0xfff
	v_mul_f32_e32 v3, 0x4f7ffffe, v3
	s_addc_u32 s27, s31, s27
	s_add_u32 s28, s28, 1
	s_addc_u32 s29, s29, 0
	s_ashr_i32 s30, s3, 31
	v_cvt_u32_f32_e32 v18, v3
	s_branch .LBB63_3
.LBB63_2:                               ;   in Loop: Header=BB63_3 Depth=1
	s_or_b32 exec_lo, exec_lo, s0
	v_add_co_u32 v0, vcc_lo, v0, s33
	v_add_co_ci_u32_e32 v1, vcc_lo, 0, v1, vcc_lo
	s_delay_alu instid0(VALU_DEP_1) | instskip(SKIP_1) | instid1(SALU_CYCLE_1)
	v_cmp_le_i64_e32 vcc_lo, s[6:7], v[0:1]
	s_or_b32 s46, vcc_lo, s46
	s_and_not1_b32 exec_lo, exec_lo, s46
	s_cbranch_execz .LBB63_26
.LBB63_3:                               ; =>This Loop Header: Depth=1
                                        ;     Child Loop BB63_22 Depth 2
	v_or_b32_e32 v3, s3, v1
                                        ; implicit-def: $vgpr8_vgpr9
	s_mov_b32 s0, exec_lo
	s_delay_alu instid0(VALU_DEP_1)
	v_cmpx_ne_u64_e32 0, v[2:3]
	s_xor_b32 s36, exec_lo, s0
	s_cbranch_execz .LBB63_5
; %bb.4:                                ;   in Loop: Header=BB63_3 Depth=1
	s_add_u32 s34, s2, s30
	s_mov_b32 s31, s30
	s_addc_u32 s35, s3, s30
	s_delay_alu instid0(SALU_CYCLE_1) | instskip(NEXT) | instid1(SALU_CYCLE_1)
	s_xor_b64 s[34:35], s[34:35], s[30:31]
	v_cvt_f32_u32_e32 v3, s34
	v_cvt_f32_u32_e32 v4, s35
	s_sub_u32 s0, 0, s34
	s_subb_u32 s31, 0, s35
	s_delay_alu instid0(VALU_DEP_1) | instskip(NEXT) | instid1(VALU_DEP_1)
	v_fmac_f32_e32 v3, 0x4f800000, v4
	v_rcp_f32_e32 v3, v3
	s_waitcnt_depctr 0xfff
	v_mul_f32_e32 v3, 0x5f7ffffc, v3
	s_delay_alu instid0(VALU_DEP_1) | instskip(NEXT) | instid1(VALU_DEP_1)
	v_mul_f32_e32 v4, 0x2f800000, v3
	v_trunc_f32_e32 v4, v4
	s_delay_alu instid0(VALU_DEP_1) | instskip(SKIP_1) | instid1(VALU_DEP_2)
	v_fmac_f32_e32 v3, 0xcf800000, v4
	v_cvt_u32_f32_e32 v4, v4
	v_cvt_u32_f32_e32 v3, v3
	s_delay_alu instid0(VALU_DEP_2) | instskip(NEXT) | instid1(VALU_DEP_2)
	v_mul_lo_u32 v5, s0, v4
	v_mul_hi_u32 v6, s0, v3
	v_mul_lo_u32 v7, s31, v3
	s_delay_alu instid0(VALU_DEP_2) | instskip(SKIP_1) | instid1(VALU_DEP_2)
	v_add_nc_u32_e32 v5, v6, v5
	v_mul_lo_u32 v6, s0, v3
	v_add_nc_u32_e32 v5, v5, v7
	s_delay_alu instid0(VALU_DEP_2) | instskip(NEXT) | instid1(VALU_DEP_2)
	v_mul_hi_u32 v7, v3, v6
	v_mul_lo_u32 v8, v3, v5
	v_mul_hi_u32 v9, v3, v5
	v_mul_hi_u32 v10, v4, v6
	v_mul_lo_u32 v6, v4, v6
	v_mul_hi_u32 v11, v4, v5
	v_mul_lo_u32 v5, v4, v5
	v_add_co_u32 v7, vcc_lo, v7, v8
	v_add_co_ci_u32_e32 v8, vcc_lo, 0, v9, vcc_lo
	s_delay_alu instid0(VALU_DEP_2) | instskip(NEXT) | instid1(VALU_DEP_2)
	v_add_co_u32 v6, vcc_lo, v7, v6
	v_add_co_ci_u32_e32 v6, vcc_lo, v8, v10, vcc_lo
	v_add_co_ci_u32_e32 v7, vcc_lo, 0, v11, vcc_lo
	v_ashrrev_i32_e32 v10, 31, v1
	s_delay_alu instid0(VALU_DEP_3) | instskip(NEXT) | instid1(VALU_DEP_3)
	v_add_co_u32 v5, vcc_lo, v6, v5
	v_add_co_ci_u32_e32 v6, vcc_lo, 0, v7, vcc_lo
	s_delay_alu instid0(VALU_DEP_2) | instskip(NEXT) | instid1(VALU_DEP_2)
	v_add_co_u32 v3, vcc_lo, v3, v5
	v_add_co_ci_u32_e32 v4, vcc_lo, v4, v6, vcc_lo
	s_delay_alu instid0(VALU_DEP_2) | instskip(SKIP_1) | instid1(VALU_DEP_3)
	v_mul_hi_u32 v5, s0, v3
	v_mul_lo_u32 v7, s31, v3
	v_mul_lo_u32 v6, s0, v4
	s_delay_alu instid0(VALU_DEP_1) | instskip(SKIP_1) | instid1(VALU_DEP_2)
	v_add_nc_u32_e32 v5, v5, v6
	v_mul_lo_u32 v6, s0, v3
	v_add_nc_u32_e32 v5, v5, v7
	s_delay_alu instid0(VALU_DEP_2) | instskip(NEXT) | instid1(VALU_DEP_2)
	v_mul_hi_u32 v7, v3, v6
	v_mul_lo_u32 v8, v3, v5
	v_mul_hi_u32 v9, v3, v5
	v_mul_hi_u32 v11, v4, v6
	v_mul_lo_u32 v6, v4, v6
	v_mul_hi_u32 v12, v4, v5
	v_mul_lo_u32 v5, v4, v5
	v_add_co_u32 v7, vcc_lo, v7, v8
	v_add_co_ci_u32_e32 v8, vcc_lo, 0, v9, vcc_lo
	s_delay_alu instid0(VALU_DEP_2) | instskip(NEXT) | instid1(VALU_DEP_2)
	v_add_co_u32 v6, vcc_lo, v7, v6
	v_add_co_ci_u32_e32 v6, vcc_lo, v8, v11, vcc_lo
	v_add_co_ci_u32_e32 v7, vcc_lo, 0, v12, vcc_lo
	v_add_co_u32 v8, vcc_lo, v0, v10
	v_add_co_ci_u32_e32 v9, vcc_lo, v1, v10, vcc_lo
	s_delay_alu instid0(VALU_DEP_4) | instskip(NEXT) | instid1(VALU_DEP_4)
	v_add_co_u32 v5, vcc_lo, v6, v5
	v_add_co_ci_u32_e32 v6, vcc_lo, 0, v7, vcc_lo
	s_delay_alu instid0(VALU_DEP_4) | instskip(NEXT) | instid1(VALU_DEP_3)
	v_xor_b32_e32 v11, v8, v10
	v_add_co_u32 v7, vcc_lo, v3, v5
	s_delay_alu instid0(VALU_DEP_3) | instskip(SKIP_1) | instid1(VALU_DEP_3)
	v_add_co_ci_u32_e32 v12, vcc_lo, v4, v6, vcc_lo
	v_xor_b32_e32 v9, v9, v10
	v_mul_hi_u32 v13, v11, v7
	s_delay_alu instid0(VALU_DEP_3) | instskip(NEXT) | instid1(VALU_DEP_3)
	v_mad_u64_u32 v[3:4], null, v11, v12, 0
	v_mad_u64_u32 v[5:6], null, v9, v7, 0
	;; [unrolled: 1-line block ×3, first 2 shown]
	s_delay_alu instid0(VALU_DEP_3) | instskip(NEXT) | instid1(VALU_DEP_4)
	v_add_co_u32 v3, vcc_lo, v13, v3
	v_add_co_ci_u32_e32 v4, vcc_lo, 0, v4, vcc_lo
	s_delay_alu instid0(VALU_DEP_2) | instskip(NEXT) | instid1(VALU_DEP_2)
	v_add_co_u32 v3, vcc_lo, v3, v5
	v_add_co_ci_u32_e32 v3, vcc_lo, v4, v6, vcc_lo
	v_add_co_ci_u32_e32 v4, vcc_lo, 0, v8, vcc_lo
	s_delay_alu instid0(VALU_DEP_2) | instskip(NEXT) | instid1(VALU_DEP_2)
	v_add_co_u32 v5, vcc_lo, v3, v7
	v_add_co_ci_u32_e32 v6, vcc_lo, 0, v4, vcc_lo
	s_delay_alu instid0(VALU_DEP_2) | instskip(SKIP_1) | instid1(VALU_DEP_3)
	v_mul_lo_u32 v7, s35, v5
	v_mad_u64_u32 v[3:4], null, s34, v5, 0
	v_mul_lo_u32 v8, s34, v6
	s_delay_alu instid0(VALU_DEP_2) | instskip(NEXT) | instid1(VALU_DEP_2)
	v_sub_co_u32 v3, vcc_lo, v11, v3
	v_add3_u32 v4, v4, v8, v7
	s_delay_alu instid0(VALU_DEP_1) | instskip(NEXT) | instid1(VALU_DEP_1)
	v_sub_nc_u32_e32 v7, v9, v4
	v_subrev_co_ci_u32_e64 v7, s0, s35, v7, vcc_lo
	v_add_co_u32 v8, s0, v5, 2
	s_delay_alu instid0(VALU_DEP_1) | instskip(SKIP_3) | instid1(VALU_DEP_3)
	v_add_co_ci_u32_e64 v11, s0, 0, v6, s0
	v_sub_co_u32 v12, s0, v3, s34
	v_sub_co_ci_u32_e32 v4, vcc_lo, v9, v4, vcc_lo
	v_subrev_co_ci_u32_e64 v7, s0, 0, v7, s0
	v_cmp_le_u32_e32 vcc_lo, s34, v12
	s_delay_alu instid0(VALU_DEP_3) | instskip(SKIP_1) | instid1(VALU_DEP_4)
	v_cmp_eq_u32_e64 s0, s35, v4
	v_cndmask_b32_e64 v9, 0, -1, vcc_lo
	v_cmp_le_u32_e32 vcc_lo, s35, v7
	v_cndmask_b32_e64 v12, 0, -1, vcc_lo
	v_cmp_le_u32_e32 vcc_lo, s34, v3
	;; [unrolled: 2-line block ×3, first 2 shown]
	v_cndmask_b32_e64 v13, 0, -1, vcc_lo
	v_cmp_eq_u32_e32 vcc_lo, s35, v7
	s_delay_alu instid0(VALU_DEP_2) | instskip(SKIP_3) | instid1(VALU_DEP_3)
	v_cndmask_b32_e64 v3, v13, v3, s0
	v_cndmask_b32_e32 v7, v12, v9, vcc_lo
	v_add_co_u32 v9, vcc_lo, v5, 1
	v_add_co_ci_u32_e32 v12, vcc_lo, 0, v6, vcc_lo
	v_cmp_ne_u32_e32 vcc_lo, 0, v7
	s_delay_alu instid0(VALU_DEP_2) | instskip(SKIP_2) | instid1(VALU_DEP_3)
	v_dual_cndmask_b32 v4, v12, v11 :: v_dual_cndmask_b32 v7, v9, v8
	v_cmp_ne_u32_e32 vcc_lo, 0, v3
	v_xor_b32_e32 v3, s30, v10
	v_dual_cndmask_b32 v5, v5, v7 :: v_dual_cndmask_b32 v4, v6, v4
	s_delay_alu instid0(VALU_DEP_1) | instskip(NEXT) | instid1(VALU_DEP_2)
	v_xor_b32_e32 v5, v5, v3
	v_xor_b32_e32 v4, v4, v3
	s_delay_alu instid0(VALU_DEP_2) | instskip(NEXT) | instid1(VALU_DEP_2)
	v_sub_co_u32 v8, vcc_lo, v5, v3
	v_sub_co_ci_u32_e32 v9, vcc_lo, v4, v3, vcc_lo
.LBB63_5:                               ;   in Loop: Header=BB63_3 Depth=1
	s_and_not1_saveexec_b32 s0, s36
	s_cbranch_execz .LBB63_7
; %bb.6:                                ;   in Loop: Header=BB63_3 Depth=1
	s_sub_i32 s31, 0, s2
	v_mov_b32_e32 v9, v2
	v_mul_lo_u32 v3, s31, v18
	s_delay_alu instid0(VALU_DEP_1) | instskip(NEXT) | instid1(VALU_DEP_1)
	v_mul_hi_u32 v3, v18, v3
	v_add_nc_u32_e32 v3, v18, v3
	s_delay_alu instid0(VALU_DEP_1) | instskip(NEXT) | instid1(VALU_DEP_1)
	v_mul_hi_u32 v3, v0, v3
	v_mul_lo_u32 v4, v3, s2
	v_add_nc_u32_e32 v5, 1, v3
	s_delay_alu instid0(VALU_DEP_2) | instskip(NEXT) | instid1(VALU_DEP_1)
	v_sub_nc_u32_e32 v4, v0, v4
	v_subrev_nc_u32_e32 v6, s2, v4
	v_cmp_le_u32_e32 vcc_lo, s2, v4
	s_delay_alu instid0(VALU_DEP_2) | instskip(NEXT) | instid1(VALU_DEP_1)
	v_dual_cndmask_b32 v4, v4, v6 :: v_dual_cndmask_b32 v3, v3, v5
	v_cmp_le_u32_e32 vcc_lo, s2, v4
	s_delay_alu instid0(VALU_DEP_2) | instskip(NEXT) | instid1(VALU_DEP_1)
	v_add_nc_u32_e32 v5, 1, v3
	v_cndmask_b32_e32 v8, v3, v5, vcc_lo
.LBB63_7:                               ;   in Loop: Header=BB63_3 Depth=1
	s_or_b32 exec_lo, exec_lo, s0
	s_waitcnt lgkmcnt(0)
	v_or_b32_e32 v3, s9, v9
                                        ; implicit-def: $vgpr6_vgpr7
	s_mov_b32 s0, exec_lo
	s_delay_alu instid0(VALU_DEP_1)
	v_cmpx_ne_u64_e32 0, v[2:3]
	s_xor_b32 s31, exec_lo, s0
	s_cbranch_execz .LBB63_9
; %bb.8:                                ;   in Loop: Header=BB63_3 Depth=1
	s_ashr_i32 s34, s9, 31
	s_delay_alu instid0(SALU_CYCLE_1) | instskip(SKIP_2) | instid1(SALU_CYCLE_1)
	s_add_u32 s36, s8, s34
	s_mov_b32 s35, s34
	s_addc_u32 s37, s9, s34
	s_xor_b64 s[36:37], s[36:37], s[34:35]
	s_delay_alu instid0(SALU_CYCLE_1) | instskip(SKIP_3) | instid1(VALU_DEP_1)
	v_cvt_f32_u32_e32 v3, s36
	v_cvt_f32_u32_e32 v4, s37
	s_sub_u32 s0, 0, s36
	s_subb_u32 s35, 0, s37
	v_fmac_f32_e32 v3, 0x4f800000, v4
	s_delay_alu instid0(VALU_DEP_1) | instskip(SKIP_2) | instid1(VALU_DEP_1)
	v_rcp_f32_e32 v3, v3
	s_waitcnt_depctr 0xfff
	v_mul_f32_e32 v3, 0x5f7ffffc, v3
	v_mul_f32_e32 v4, 0x2f800000, v3
	s_delay_alu instid0(VALU_DEP_1) | instskip(NEXT) | instid1(VALU_DEP_1)
	v_trunc_f32_e32 v4, v4
	v_fmac_f32_e32 v3, 0xcf800000, v4
	v_cvt_u32_f32_e32 v4, v4
	s_delay_alu instid0(VALU_DEP_2) | instskip(NEXT) | instid1(VALU_DEP_2)
	v_cvt_u32_f32_e32 v3, v3
	v_mul_lo_u32 v5, s0, v4
	s_delay_alu instid0(VALU_DEP_2) | instskip(SKIP_1) | instid1(VALU_DEP_2)
	v_mul_hi_u32 v6, s0, v3
	v_mul_lo_u32 v7, s35, v3
	v_add_nc_u32_e32 v5, v6, v5
	v_mul_lo_u32 v6, s0, v3
	s_delay_alu instid0(VALU_DEP_2) | instskip(NEXT) | instid1(VALU_DEP_2)
	v_add_nc_u32_e32 v5, v5, v7
	v_mul_hi_u32 v7, v3, v6
	s_delay_alu instid0(VALU_DEP_2)
	v_mul_lo_u32 v10, v3, v5
	v_mul_hi_u32 v11, v3, v5
	v_mul_hi_u32 v12, v4, v6
	v_mul_lo_u32 v6, v4, v6
	v_mul_hi_u32 v13, v4, v5
	v_mul_lo_u32 v5, v4, v5
	v_add_co_u32 v7, vcc_lo, v7, v10
	v_add_co_ci_u32_e32 v10, vcc_lo, 0, v11, vcc_lo
	s_delay_alu instid0(VALU_DEP_2) | instskip(NEXT) | instid1(VALU_DEP_2)
	v_add_co_u32 v6, vcc_lo, v7, v6
	v_add_co_ci_u32_e32 v6, vcc_lo, v10, v12, vcc_lo
	v_add_co_ci_u32_e32 v7, vcc_lo, 0, v13, vcc_lo
	v_ashrrev_i32_e32 v12, 31, v9
	s_delay_alu instid0(VALU_DEP_3) | instskip(NEXT) | instid1(VALU_DEP_3)
	v_add_co_u32 v5, vcc_lo, v6, v5
	v_add_co_ci_u32_e32 v6, vcc_lo, 0, v7, vcc_lo
	s_delay_alu instid0(VALU_DEP_2) | instskip(NEXT) | instid1(VALU_DEP_2)
	v_add_co_u32 v3, vcc_lo, v3, v5
	v_add_co_ci_u32_e32 v4, vcc_lo, v4, v6, vcc_lo
	s_delay_alu instid0(VALU_DEP_2) | instskip(SKIP_1) | instid1(VALU_DEP_3)
	v_mul_hi_u32 v5, s0, v3
	v_mul_lo_u32 v7, s35, v3
	v_mul_lo_u32 v6, s0, v4
	s_delay_alu instid0(VALU_DEP_1) | instskip(SKIP_1) | instid1(VALU_DEP_2)
	v_add_nc_u32_e32 v5, v5, v6
	v_mul_lo_u32 v6, s0, v3
	v_add_nc_u32_e32 v5, v5, v7
	s_delay_alu instid0(VALU_DEP_2) | instskip(NEXT) | instid1(VALU_DEP_2)
	v_mul_hi_u32 v7, v3, v6
	v_mul_lo_u32 v10, v3, v5
	v_mul_hi_u32 v11, v3, v5
	v_mul_hi_u32 v13, v4, v6
	v_mul_lo_u32 v6, v4, v6
	v_mul_hi_u32 v14, v4, v5
	v_mul_lo_u32 v5, v4, v5
	v_add_co_u32 v7, vcc_lo, v7, v10
	v_add_co_ci_u32_e32 v10, vcc_lo, 0, v11, vcc_lo
	s_delay_alu instid0(VALU_DEP_2) | instskip(NEXT) | instid1(VALU_DEP_2)
	v_add_co_u32 v6, vcc_lo, v7, v6
	v_add_co_ci_u32_e32 v6, vcc_lo, v10, v13, vcc_lo
	v_add_co_ci_u32_e32 v7, vcc_lo, 0, v14, vcc_lo
	v_add_co_u32 v10, vcc_lo, v8, v12
	v_add_co_ci_u32_e32 v11, vcc_lo, v9, v12, vcc_lo
	s_delay_alu instid0(VALU_DEP_4) | instskip(NEXT) | instid1(VALU_DEP_4)
	v_add_co_u32 v5, vcc_lo, v6, v5
	v_add_co_ci_u32_e32 v6, vcc_lo, 0, v7, vcc_lo
	s_delay_alu instid0(VALU_DEP_4) | instskip(NEXT) | instid1(VALU_DEP_3)
	v_xor_b32_e32 v7, v10, v12
	v_add_co_u32 v10, vcc_lo, v3, v5
	s_delay_alu instid0(VALU_DEP_3) | instskip(SKIP_1) | instid1(VALU_DEP_3)
	v_add_co_ci_u32_e32 v13, vcc_lo, v4, v6, vcc_lo
	v_xor_b32_e32 v14, v11, v12
	v_mul_hi_u32 v15, v7, v10
	s_delay_alu instid0(VALU_DEP_3) | instskip(NEXT) | instid1(VALU_DEP_3)
	v_mad_u64_u32 v[3:4], null, v7, v13, 0
	v_mad_u64_u32 v[5:6], null, v14, v10, 0
	;; [unrolled: 1-line block ×3, first 2 shown]
	s_delay_alu instid0(VALU_DEP_3) | instskip(NEXT) | instid1(VALU_DEP_4)
	v_add_co_u32 v3, vcc_lo, v15, v3
	v_add_co_ci_u32_e32 v4, vcc_lo, 0, v4, vcc_lo
	s_delay_alu instid0(VALU_DEP_2) | instskip(NEXT) | instid1(VALU_DEP_2)
	v_add_co_u32 v3, vcc_lo, v3, v5
	v_add_co_ci_u32_e32 v3, vcc_lo, v4, v6, vcc_lo
	v_add_co_ci_u32_e32 v4, vcc_lo, 0, v11, vcc_lo
	s_delay_alu instid0(VALU_DEP_2) | instskip(NEXT) | instid1(VALU_DEP_2)
	v_add_co_u32 v5, vcc_lo, v3, v10
	v_add_co_ci_u32_e32 v6, vcc_lo, 0, v4, vcc_lo
	s_delay_alu instid0(VALU_DEP_2) | instskip(SKIP_1) | instid1(VALU_DEP_3)
	v_mul_lo_u32 v10, s37, v5
	v_mad_u64_u32 v[3:4], null, s36, v5, 0
	v_mul_lo_u32 v11, s36, v6
	s_delay_alu instid0(VALU_DEP_2) | instskip(NEXT) | instid1(VALU_DEP_2)
	v_sub_co_u32 v3, vcc_lo, v7, v3
	v_add3_u32 v4, v4, v11, v10
	s_delay_alu instid0(VALU_DEP_1) | instskip(NEXT) | instid1(VALU_DEP_1)
	v_sub_nc_u32_e32 v10, v14, v4
	v_subrev_co_ci_u32_e64 v7, s0, s37, v10, vcc_lo
	v_add_co_u32 v10, s0, v5, 2
	s_delay_alu instid0(VALU_DEP_1) | instskip(SKIP_3) | instid1(VALU_DEP_3)
	v_add_co_ci_u32_e64 v11, s0, 0, v6, s0
	v_sub_co_u32 v13, s0, v3, s36
	v_sub_co_ci_u32_e32 v4, vcc_lo, v14, v4, vcc_lo
	v_subrev_co_ci_u32_e64 v7, s0, 0, v7, s0
	v_cmp_le_u32_e32 vcc_lo, s36, v13
	s_delay_alu instid0(VALU_DEP_3) | instskip(SKIP_1) | instid1(VALU_DEP_4)
	v_cmp_eq_u32_e64 s0, s37, v4
	v_cndmask_b32_e64 v13, 0, -1, vcc_lo
	v_cmp_le_u32_e32 vcc_lo, s37, v7
	v_cndmask_b32_e64 v14, 0, -1, vcc_lo
	v_cmp_le_u32_e32 vcc_lo, s36, v3
	;; [unrolled: 2-line block ×3, first 2 shown]
	v_cndmask_b32_e64 v15, 0, -1, vcc_lo
	v_cmp_eq_u32_e32 vcc_lo, s37, v7
	s_delay_alu instid0(VALU_DEP_2) | instskip(SKIP_3) | instid1(VALU_DEP_3)
	v_cndmask_b32_e64 v3, v15, v3, s0
	v_cndmask_b32_e32 v7, v14, v13, vcc_lo
	v_add_co_u32 v13, vcc_lo, v5, 1
	v_add_co_ci_u32_e32 v14, vcc_lo, 0, v6, vcc_lo
	v_cmp_ne_u32_e32 vcc_lo, 0, v7
	s_delay_alu instid0(VALU_DEP_2) | instskip(SKIP_2) | instid1(VALU_DEP_3)
	v_dual_cndmask_b32 v4, v14, v11 :: v_dual_cndmask_b32 v7, v13, v10
	v_cmp_ne_u32_e32 vcc_lo, 0, v3
	v_xor_b32_e32 v3, s34, v12
	v_dual_cndmask_b32 v5, v5, v7 :: v_dual_cndmask_b32 v4, v6, v4
	s_delay_alu instid0(VALU_DEP_1) | instskip(NEXT) | instid1(VALU_DEP_2)
	v_xor_b32_e32 v5, v5, v3
	v_xor_b32_e32 v4, v4, v3
	s_delay_alu instid0(VALU_DEP_2) | instskip(NEXT) | instid1(VALU_DEP_2)
	v_sub_co_u32 v6, vcc_lo, v5, v3
	v_sub_co_ci_u32_e32 v7, vcc_lo, v4, v3, vcc_lo
.LBB63_9:                               ;   in Loop: Header=BB63_3 Depth=1
	s_and_not1_saveexec_b32 s0, s31
	s_cbranch_execz .LBB63_11
; %bb.10:                               ;   in Loop: Header=BB63_3 Depth=1
	v_cvt_f32_u32_e32 v3, s8
	s_sub_i32 s31, 0, s8
	v_mov_b32_e32 v7, v2
	s_delay_alu instid0(VALU_DEP_2) | instskip(SKIP_2) | instid1(VALU_DEP_1)
	v_rcp_iflag_f32_e32 v3, v3
	s_waitcnt_depctr 0xfff
	v_mul_f32_e32 v3, 0x4f7ffffe, v3
	v_cvt_u32_f32_e32 v3, v3
	s_delay_alu instid0(VALU_DEP_1) | instskip(NEXT) | instid1(VALU_DEP_1)
	v_mul_lo_u32 v4, s31, v3
	v_mul_hi_u32 v4, v3, v4
	s_delay_alu instid0(VALU_DEP_1) | instskip(NEXT) | instid1(VALU_DEP_1)
	v_add_nc_u32_e32 v3, v3, v4
	v_mul_hi_u32 v3, v8, v3
	s_delay_alu instid0(VALU_DEP_1) | instskip(SKIP_1) | instid1(VALU_DEP_2)
	v_mul_lo_u32 v4, v3, s8
	v_add_nc_u32_e32 v5, 1, v3
	v_sub_nc_u32_e32 v4, v8, v4
	s_delay_alu instid0(VALU_DEP_1) | instskip(SKIP_1) | instid1(VALU_DEP_2)
	v_subrev_nc_u32_e32 v6, s8, v4
	v_cmp_le_u32_e32 vcc_lo, s8, v4
	v_dual_cndmask_b32 v4, v4, v6 :: v_dual_cndmask_b32 v3, v3, v5
	s_delay_alu instid0(VALU_DEP_1) | instskip(NEXT) | instid1(VALU_DEP_2)
	v_cmp_le_u32_e32 vcc_lo, s8, v4
	v_add_nc_u32_e32 v5, 1, v3
	s_delay_alu instid0(VALU_DEP_1)
	v_cndmask_b32_e32 v6, v3, v5, vcc_lo
.LBB63_11:                              ;   in Loop: Header=BB63_3 Depth=1
	s_or_b32 exec_lo, exec_lo, s0
	v_mul_lo_u32 v5, v9, s2
	v_mul_lo_u32 v12, v8, s3
	v_mad_u64_u32 v[3:4], null, v8, s2, 0
	v_mul_lo_u32 v13, v7, s8
	v_mul_lo_u32 v14, v6, s9
	v_mad_u64_u32 v[10:11], null, v6, s8, 0
	s_mov_b64 s[34:35], s[28:29]
	s_mov_b64 s[36:37], s[26:27]
	s_delay_alu instid0(VALU_DEP_4) | instskip(SKIP_2) | instid1(VALU_DEP_3)
	v_add3_u32 v5, v4, v12, v5
	v_sub_co_u32 v4, vcc_lo, v0, v3
	s_mov_b64 s[38:39], s[24:25]
	v_add3_u32 v3, v11, v14, v13
	s_delay_alu instid0(VALU_DEP_3) | instskip(NEXT) | instid1(VALU_DEP_3)
	v_sub_co_ci_u32_e32 v5, vcc_lo, v1, v5, vcc_lo
	v_mul_lo_u32 v11, s15, v4
	v_mul_lo_u32 v12, s19, v4
	v_mad_u64_u32 v[14:15], null, s18, v4, 0
	s_delay_alu instid0(VALU_DEP_4)
	v_mul_lo_u32 v13, s14, v5
	v_mul_lo_u32 v16, s18, v5
	v_mad_u64_u32 v[21:22], null, s14, v4, 0
	v_sub_co_u32 v19, vcc_lo, v8, v10
	v_sub_co_ci_u32_e32 v20, vcc_lo, v9, v3, vcc_lo
	s_and_b32 vcc_lo, exec_lo, s1
	s_delay_alu instid0(VALU_DEP_4) | instskip(NEXT) | instid1(VALU_DEP_4)
	v_add3_u32 v15, v15, v16, v12
	v_add3_u32 v22, v22, v13, v11
	v_mul_lo_u32 v3, s13, v19
	v_mul_lo_u32 v8, s12, v20
	;; [unrolled: 1-line block ×3, first 2 shown]
	v_mad_u64_u32 v[12:13], null, s16, v19, v[14:15]
	v_mul_lo_u32 v10, s17, v19
	v_mad_u64_u32 v[16:17], null, s12, v19, v[21:22]
	s_delay_alu instid0(VALU_DEP_2) | instskip(NEXT) | instid1(VALU_DEP_2)
	v_add3_u32 v13, v10, v13, v9
	v_add3_u32 v17, v3, v17, v8
	v_mov_b32_e32 v8, v12
	s_delay_alu instid0(VALU_DEP_3) | instskip(NEXT) | instid1(VALU_DEP_3)
	v_dual_mov_b32 v10, v16 :: v_dual_mov_b32 v9, v13
	v_mov_b32_e32 v11, v17
	s_cbranch_vccnz .LBB63_22
.LBB63_12:                              ;   in Loop: Header=BB63_3 Depth=1
	v_sub_co_u32 v6, vcc_lo, v4, v19
	v_sub_co_ci_u32_e32 v7, vcc_lo, v5, v20, vcc_lo
	s_delay_alu instid0(VALU_DEP_2) | instskip(NEXT) | instid1(VALU_DEP_2)
	v_add_co_u32 v8, vcc_lo, v6, 2
	v_add_co_ci_u32_e32 v9, vcc_lo, 0, v7, vcc_lo
	s_delay_alu instid0(VALU_DEP_1)
	v_cmp_le_i64_e32 vcc_lo, s[4:5], v[8:9]
	v_dual_mov_b32 v8, 0 :: v_dual_mov_b32 v9, 0
	s_and_saveexec_b32 s0, vcc_lo
	s_cbranch_execz .LBB63_18
; %bb.13:                               ;   in Loop: Header=BB63_3 Depth=1
	v_dual_mov_b32 v3, 0 :: v_dual_mov_b32 v10, 0
	s_mov_b32 s31, exec_lo
	v_cmpx_gt_i64_e64 s[10:11], v[4:5]
	s_cbranch_execz .LBB63_17
; %bb.14:                               ;   in Loop: Header=BB63_3 Depth=1
	v_lshlrev_b64 v[8:9], 2, v[16:17]
	s_delay_alu instid0(VALU_DEP_1) | instskip(NEXT) | instid1(VALU_DEP_2)
	v_add_co_u32 v8, vcc_lo, s20, v8
	v_add_co_ci_u32_e32 v9, vcc_lo, s21, v9, vcc_lo
	v_add_co_u32 v10, vcc_lo, v4, 1
	v_add_co_ci_u32_e32 v11, vcc_lo, 0, v5, vcc_lo
	global_load_b32 v3, v[8:9], off
	v_cmp_gt_i64_e32 vcc_lo, s[10:11], v[10:11]
	v_mov_b32_e32 v10, 0
	s_and_saveexec_b32 s34, vcc_lo
	s_delay_alu instid0(SALU_CYCLE_1)
	s_xor_b32 s34, exec_lo, s34
	s_cbranch_execz .LBB63_16
; %bb.15:                               ;   in Loop: Header=BB63_3 Depth=1
	s_lshl_b64 s[36:37], s[14:15], 2
	s_delay_alu instid0(SALU_CYCLE_1)
	v_add_co_u32 v8, vcc_lo, v8, s36
	v_add_co_ci_u32_e32 v9, vcc_lo, s37, v9, vcc_lo
	global_load_b32 v10, v[8:9], off
.LBB63_16:                              ;   in Loop: Header=BB63_3 Depth=1
	s_or_b32 exec_lo, exec_lo, s34
.LBB63_17:                              ;   in Loop: Header=BB63_3 Depth=1
	s_delay_alu instid0(SALU_CYCLE_1)
	s_or_b32 exec_lo, exec_lo, s31
	v_add_co_u32 v14, vcc_lo, v6, 1
	v_add_co_ci_u32_e32 v15, vcc_lo, 0, v7, vcc_lo
	v_cmp_le_i64_e32 vcc_lo, s[4:5], v[6:7]
	s_waitcnt vmcnt(0)
	v_cndmask_b32_e32 v9, 0, v3, vcc_lo
	s_delay_alu instid0(VALU_DEP_3)
	v_cmp_le_i64_e32 vcc_lo, s[4:5], v[14:15]
	v_cndmask_b32_e32 v8, 0, v10, vcc_lo
.LBB63_18:                              ;   in Loop: Header=BB63_3 Depth=1
	s_or_b32 exec_lo, exec_lo, s0
	s_delay_alu instid0(SALU_CYCLE_1)
	s_mov_b32 s0, exec_lo
	v_cmpx_gt_i64_e64 s[10:11], v[4:5]
	s_cbranch_execz .LBB63_2
; %bb.19:                               ;   in Loop: Header=BB63_3 Depth=1
	v_lshlrev_b64 v[6:7], 2, v[12:13]
	v_add_co_u32 v10, vcc_lo, v4, 1
	v_add_co_ci_u32_e32 v11, vcc_lo, 0, v5, vcc_lo
	s_mov_b32 s31, exec_lo
	s_delay_alu instid0(VALU_DEP_3) | instskip(NEXT) | instid1(VALU_DEP_4)
	v_add_co_u32 v3, vcc_lo, s22, v6
	v_add_co_ci_u32_e32 v4, vcc_lo, s23, v7, vcc_lo
	global_store_b32 v[3:4], v9, off
	v_cmpx_gt_i64_e64 s[10:11], v[10:11]
	s_xor_b32 s31, exec_lo, s31
	s_cbranch_execz .LBB63_2
; %bb.20:                               ;   in Loop: Header=BB63_3 Depth=1
	s_lshl_b64 s[34:35], s[18:19], 2
	s_delay_alu instid0(SALU_CYCLE_1)
	v_add_co_u32 v3, vcc_lo, v3, s34
	v_add_co_ci_u32_e32 v4, vcc_lo, s35, v4, vcc_lo
	global_store_b32 v[3:4], v8, off
	s_branch .LBB63_2
.LBB63_21:                              ;   in Loop: Header=BB63_22 Depth=2
	s_or_b32 exec_lo, exec_lo, s0
	s_delay_alu instid0(VALU_DEP_1) | instskip(NEXT) | instid1(VALU_DEP_2)
	v_mul_lo_u32 v3, v15, s40
	v_mul_lo_u32 v16, v14, s41
	s_load_b64 s[42:43], s[36:37], 0xc8
	v_mad_u64_u32 v[12:13], null, v14, s40, 0
	s_load_b64 s[40:41], s[38:39], 0x0
	s_add_u32 s38, s38, -8
	s_addc_u32 s39, s39, -1
	s_add_u32 s36, s36, -8
	s_addc_u32 s37, s37, -1
	s_add_u32 s34, s34, -1
	s_delay_alu instid0(VALU_DEP_1) | instskip(SKIP_2) | instid1(VALU_DEP_2)
	v_add3_u32 v3, v13, v16, v3
	v_sub_co_u32 v6, vcc_lo, v6, v12
	s_addc_u32 s35, s35, -1
	v_sub_co_ci_u32_e32 v3, vcc_lo, v7, v3, vcc_lo
	v_cmp_lt_i64_e64 s0, s[34:35], 1
	s_waitcnt lgkmcnt(0)
	s_delay_alu instid0(VALU_DEP_2)
	v_mul_lo_u32 v7, s42, v3
	v_mul_lo_u32 v21, s43, v6
	v_mad_u64_u32 v[16:17], null, s42, v6, v[10:11]
	v_mul_lo_u32 v3, s40, v3
	v_mul_lo_u32 v10, s41, v6
	v_mad_u64_u32 v[12:13], null, s40, v6, v[8:9]
	s_and_b32 vcc_lo, exec_lo, s0
	s_delay_alu instid0(VALU_DEP_4) | instskip(SKIP_1) | instid1(VALU_DEP_3)
	v_add3_u32 v17, v21, v17, v7
	v_dual_mov_b32 v6, v14 :: v_dual_mov_b32 v7, v15
	v_add3_u32 v13, v10, v13, v3
	s_delay_alu instid0(VALU_DEP_4) | instskip(NEXT) | instid1(VALU_DEP_4)
	v_mov_b32_e32 v8, v12
	v_dual_mov_b32 v10, v16 :: v_dual_mov_b32 v11, v17
	s_delay_alu instid0(VALU_DEP_3)
	v_mov_b32_e32 v9, v13
	s_cbranch_vccnz .LBB63_12
.LBB63_22:                              ;   Parent Loop BB63_3 Depth=1
                                        ; =>  This Inner Loop Header: Depth=2
	s_load_b64 s[40:41], s[36:37], 0x0
                                        ; implicit-def: $vgpr14_vgpr15
	s_mov_b32 s0, exec_lo
	s_waitcnt lgkmcnt(0)
	v_or_b32_e32 v3, s41, v7
	s_delay_alu instid0(VALU_DEP_1)
	v_cmpx_ne_u64_e32 0, v[2:3]
	s_xor_b32 s31, exec_lo, s0
	s_cbranch_execz .LBB63_24
; %bb.23:                               ;   in Loop: Header=BB63_22 Depth=2
	s_ashr_i32 s42, s41, 31
	s_delay_alu instid0(SALU_CYCLE_1) | instskip(SKIP_2) | instid1(SALU_CYCLE_1)
	s_add_u32 s44, s40, s42
	s_mov_b32 s43, s42
	s_addc_u32 s45, s41, s42
	s_xor_b64 s[44:45], s[44:45], s[42:43]
	s_delay_alu instid0(SALU_CYCLE_1) | instskip(SKIP_3) | instid1(VALU_DEP_1)
	v_cvt_f32_u32_e32 v3, s44
	v_cvt_f32_u32_e32 v12, s45
	s_sub_u32 s0, 0, s44
	s_subb_u32 s43, 0, s45
	v_fmac_f32_e32 v3, 0x4f800000, v12
	s_delay_alu instid0(VALU_DEP_1) | instskip(SKIP_2) | instid1(VALU_DEP_1)
	v_rcp_f32_e32 v3, v3
	s_waitcnt_depctr 0xfff
	v_mul_f32_e32 v3, 0x5f7ffffc, v3
	v_mul_f32_e32 v12, 0x2f800000, v3
	s_delay_alu instid0(VALU_DEP_1) | instskip(NEXT) | instid1(VALU_DEP_1)
	v_trunc_f32_e32 v12, v12
	v_fmac_f32_e32 v3, 0xcf800000, v12
	v_cvt_u32_f32_e32 v12, v12
	s_delay_alu instid0(VALU_DEP_2) | instskip(NEXT) | instid1(VALU_DEP_2)
	v_cvt_u32_f32_e32 v3, v3
	v_mul_lo_u32 v13, s0, v12
	s_delay_alu instid0(VALU_DEP_2) | instskip(SKIP_1) | instid1(VALU_DEP_2)
	v_mul_hi_u32 v14, s0, v3
	v_mul_lo_u32 v15, s43, v3
	v_add_nc_u32_e32 v13, v14, v13
	v_mul_lo_u32 v14, s0, v3
	s_delay_alu instid0(VALU_DEP_2) | instskip(NEXT) | instid1(VALU_DEP_2)
	v_add_nc_u32_e32 v13, v13, v15
	v_mul_hi_u32 v15, v3, v14
	s_delay_alu instid0(VALU_DEP_2)
	v_mul_lo_u32 v16, v3, v13
	v_mul_hi_u32 v17, v3, v13
	v_mul_hi_u32 v21, v12, v14
	v_mul_lo_u32 v14, v12, v14
	v_mul_hi_u32 v22, v12, v13
	v_mul_lo_u32 v13, v12, v13
	v_add_co_u32 v15, vcc_lo, v15, v16
	v_add_co_ci_u32_e32 v16, vcc_lo, 0, v17, vcc_lo
	s_delay_alu instid0(VALU_DEP_2) | instskip(NEXT) | instid1(VALU_DEP_2)
	v_add_co_u32 v14, vcc_lo, v15, v14
	v_add_co_ci_u32_e32 v14, vcc_lo, v16, v21, vcc_lo
	v_add_co_ci_u32_e32 v15, vcc_lo, 0, v22, vcc_lo
	v_ashrrev_i32_e32 v21, 31, v7
	s_delay_alu instid0(VALU_DEP_3) | instskip(NEXT) | instid1(VALU_DEP_3)
	v_add_co_u32 v13, vcc_lo, v14, v13
	v_add_co_ci_u32_e32 v14, vcc_lo, 0, v15, vcc_lo
	s_delay_alu instid0(VALU_DEP_2) | instskip(NEXT) | instid1(VALU_DEP_2)
	v_add_co_u32 v3, vcc_lo, v3, v13
	v_add_co_ci_u32_e32 v12, vcc_lo, v12, v14, vcc_lo
	s_delay_alu instid0(VALU_DEP_2) | instskip(SKIP_1) | instid1(VALU_DEP_3)
	v_mul_hi_u32 v13, s0, v3
	v_mul_lo_u32 v15, s43, v3
	v_mul_lo_u32 v14, s0, v12
	s_delay_alu instid0(VALU_DEP_1) | instskip(SKIP_1) | instid1(VALU_DEP_2)
	v_add_nc_u32_e32 v13, v13, v14
	v_mul_lo_u32 v14, s0, v3
	v_add_nc_u32_e32 v13, v13, v15
	s_delay_alu instid0(VALU_DEP_2) | instskip(NEXT) | instid1(VALU_DEP_2)
	v_mul_hi_u32 v15, v3, v14
	v_mul_lo_u32 v16, v3, v13
	v_mul_hi_u32 v17, v3, v13
	v_mul_hi_u32 v22, v12, v14
	v_mul_lo_u32 v14, v12, v14
	v_mul_hi_u32 v23, v12, v13
	v_mul_lo_u32 v13, v12, v13
	v_add_co_u32 v15, vcc_lo, v15, v16
	v_add_co_ci_u32_e32 v16, vcc_lo, 0, v17, vcc_lo
	s_delay_alu instid0(VALU_DEP_2) | instskip(NEXT) | instid1(VALU_DEP_2)
	v_add_co_u32 v14, vcc_lo, v15, v14
	v_add_co_ci_u32_e32 v14, vcc_lo, v16, v22, vcc_lo
	v_add_co_ci_u32_e32 v15, vcc_lo, 0, v23, vcc_lo
	v_add_co_u32 v16, vcc_lo, v6, v21
	v_add_co_ci_u32_e32 v17, vcc_lo, v7, v21, vcc_lo
	s_delay_alu instid0(VALU_DEP_4) | instskip(NEXT) | instid1(VALU_DEP_4)
	v_add_co_u32 v13, vcc_lo, v14, v13
	v_add_co_ci_u32_e32 v14, vcc_lo, 0, v15, vcc_lo
	s_delay_alu instid0(VALU_DEP_4) | instskip(NEXT) | instid1(VALU_DEP_3)
	v_xor_b32_e32 v22, v16, v21
	v_add_co_u32 v3, vcc_lo, v3, v13
	s_delay_alu instid0(VALU_DEP_3) | instskip(SKIP_1) | instid1(VALU_DEP_3)
	v_add_co_ci_u32_e32 v23, vcc_lo, v12, v14, vcc_lo
	v_xor_b32_e32 v24, v17, v21
	v_mul_hi_u32 v25, v22, v3
	s_delay_alu instid0(VALU_DEP_3) | instskip(NEXT) | instid1(VALU_DEP_3)
	v_mad_u64_u32 v[12:13], null, v22, v23, 0
	v_mad_u64_u32 v[14:15], null, v24, v3, 0
	;; [unrolled: 1-line block ×3, first 2 shown]
	s_delay_alu instid0(VALU_DEP_3) | instskip(NEXT) | instid1(VALU_DEP_4)
	v_add_co_u32 v3, vcc_lo, v25, v12
	v_add_co_ci_u32_e32 v12, vcc_lo, 0, v13, vcc_lo
	s_delay_alu instid0(VALU_DEP_2) | instskip(NEXT) | instid1(VALU_DEP_2)
	v_add_co_u32 v3, vcc_lo, v3, v14
	v_add_co_ci_u32_e32 v3, vcc_lo, v12, v15, vcc_lo
	v_add_co_ci_u32_e32 v12, vcc_lo, 0, v17, vcc_lo
	s_delay_alu instid0(VALU_DEP_2) | instskip(NEXT) | instid1(VALU_DEP_2)
	v_add_co_u32 v3, vcc_lo, v3, v16
	v_add_co_ci_u32_e32 v14, vcc_lo, 0, v12, vcc_lo
	s_delay_alu instid0(VALU_DEP_2) | instskip(SKIP_1) | instid1(VALU_DEP_3)
	v_mul_lo_u32 v15, s45, v3
	v_mad_u64_u32 v[12:13], null, s44, v3, 0
	v_mul_lo_u32 v16, s44, v14
	s_delay_alu instid0(VALU_DEP_2) | instskip(NEXT) | instid1(VALU_DEP_2)
	v_sub_co_u32 v12, vcc_lo, v22, v12
	v_add3_u32 v13, v13, v16, v15
	s_delay_alu instid0(VALU_DEP_1) | instskip(NEXT) | instid1(VALU_DEP_1)
	v_sub_nc_u32_e32 v15, v24, v13
	v_subrev_co_ci_u32_e64 v15, s0, s45, v15, vcc_lo
	v_add_co_u32 v16, s0, v3, 2
	s_delay_alu instid0(VALU_DEP_1) | instskip(SKIP_3) | instid1(VALU_DEP_3)
	v_add_co_ci_u32_e64 v17, s0, 0, v14, s0
	v_sub_co_u32 v22, s0, v12, s44
	v_sub_co_ci_u32_e32 v13, vcc_lo, v24, v13, vcc_lo
	v_subrev_co_ci_u32_e64 v15, s0, 0, v15, s0
	v_cmp_le_u32_e32 vcc_lo, s44, v22
	s_delay_alu instid0(VALU_DEP_3) | instskip(SKIP_1) | instid1(VALU_DEP_4)
	v_cmp_eq_u32_e64 s0, s45, v13
	v_cndmask_b32_e64 v22, 0, -1, vcc_lo
	v_cmp_le_u32_e32 vcc_lo, s45, v15
	v_cndmask_b32_e64 v23, 0, -1, vcc_lo
	v_cmp_le_u32_e32 vcc_lo, s44, v12
	;; [unrolled: 2-line block ×3, first 2 shown]
	v_cndmask_b32_e64 v24, 0, -1, vcc_lo
	v_cmp_eq_u32_e32 vcc_lo, s45, v15
	s_delay_alu instid0(VALU_DEP_2) | instskip(SKIP_3) | instid1(VALU_DEP_3)
	v_cndmask_b32_e64 v12, v24, v12, s0
	v_cndmask_b32_e32 v15, v23, v22, vcc_lo
	v_add_co_u32 v22, vcc_lo, v3, 1
	v_add_co_ci_u32_e32 v23, vcc_lo, 0, v14, vcc_lo
	v_cmp_ne_u32_e32 vcc_lo, 0, v15
	s_delay_alu instid0(VALU_DEP_2) | instskip(NEXT) | instid1(VALU_DEP_4)
	v_cndmask_b32_e32 v13, v23, v17, vcc_lo
	v_cndmask_b32_e32 v15, v22, v16, vcc_lo
	v_cmp_ne_u32_e32 vcc_lo, 0, v12
	v_xor_b32_e32 v12, s42, v21
	s_delay_alu instid0(VALU_DEP_3) | instskip(SKIP_1) | instid1(VALU_DEP_2)
	v_cndmask_b32_e32 v3, v3, v15, vcc_lo
	v_cndmask_b32_e32 v13, v14, v13, vcc_lo
	v_xor_b32_e32 v3, v3, v12
	s_delay_alu instid0(VALU_DEP_2) | instskip(NEXT) | instid1(VALU_DEP_2)
	v_xor_b32_e32 v13, v13, v12
	v_sub_co_u32 v14, vcc_lo, v3, v12
	s_delay_alu instid0(VALU_DEP_2)
	v_sub_co_ci_u32_e32 v15, vcc_lo, v13, v12, vcc_lo
.LBB63_24:                              ;   in Loop: Header=BB63_22 Depth=2
	s_and_not1_saveexec_b32 s0, s31
	s_cbranch_execz .LBB63_21
; %bb.25:                               ;   in Loop: Header=BB63_22 Depth=2
	v_cvt_f32_u32_e32 v3, s40
	s_sub_i32 s31, 0, s40
	v_mov_b32_e32 v15, v2
	s_delay_alu instid0(VALU_DEP_2) | instskip(SKIP_2) | instid1(VALU_DEP_1)
	v_rcp_iflag_f32_e32 v3, v3
	s_waitcnt_depctr 0xfff
	v_mul_f32_e32 v3, 0x4f7ffffe, v3
	v_cvt_u32_f32_e32 v3, v3
	s_delay_alu instid0(VALU_DEP_1) | instskip(NEXT) | instid1(VALU_DEP_1)
	v_mul_lo_u32 v12, s31, v3
	v_mul_hi_u32 v12, v3, v12
	s_delay_alu instid0(VALU_DEP_1) | instskip(NEXT) | instid1(VALU_DEP_1)
	v_add_nc_u32_e32 v3, v3, v12
	v_mul_hi_u32 v3, v6, v3
	s_delay_alu instid0(VALU_DEP_1) | instskip(SKIP_1) | instid1(VALU_DEP_2)
	v_mul_lo_u32 v12, v3, s40
	v_add_nc_u32_e32 v13, 1, v3
	v_sub_nc_u32_e32 v12, v6, v12
	s_delay_alu instid0(VALU_DEP_1) | instskip(SKIP_1) | instid1(VALU_DEP_2)
	v_subrev_nc_u32_e32 v14, s40, v12
	v_cmp_le_u32_e32 vcc_lo, s40, v12
	v_dual_cndmask_b32 v12, v12, v14 :: v_dual_cndmask_b32 v3, v3, v13
	s_delay_alu instid0(VALU_DEP_1) | instskip(NEXT) | instid1(VALU_DEP_2)
	v_cmp_le_u32_e32 vcc_lo, s40, v12
	v_add_nc_u32_e32 v13, 1, v3
	s_delay_alu instid0(VALU_DEP_1)
	v_cndmask_b32_e32 v14, v3, v13, vcc_lo
	s_branch .LBB63_21
.LBB63_26:
	s_nop 0
	s_sendmsg sendmsg(MSG_DEALLOC_VGPRS)
	s_endpgm
	.section	.rodata,"a",@progbits
	.p2align	6, 0x0
	.amdhsa_kernel _ZN2at6native16triu_tril_kernelIilLb1ELi2ELb0EEEvNS_4cuda6detail10TensorInfoIT_T0_EENS4_IKS5_S6_EEllS6_
		.amdhsa_group_segment_fixed_size 0
		.amdhsa_private_segment_fixed_size 0
		.amdhsa_kernarg_size 1112
		.amdhsa_user_sgpr_count 15
		.amdhsa_user_sgpr_dispatch_ptr 0
		.amdhsa_user_sgpr_queue_ptr 0
		.amdhsa_user_sgpr_kernarg_segment_ptr 1
		.amdhsa_user_sgpr_dispatch_id 0
		.amdhsa_user_sgpr_private_segment_size 0
		.amdhsa_wavefront_size32 1
		.amdhsa_uses_dynamic_stack 0
		.amdhsa_enable_private_segment 0
		.amdhsa_system_sgpr_workgroup_id_x 1
		.amdhsa_system_sgpr_workgroup_id_y 0
		.amdhsa_system_sgpr_workgroup_id_z 0
		.amdhsa_system_sgpr_workgroup_info 0
		.amdhsa_system_vgpr_workitem_id 0
		.amdhsa_next_free_vgpr 26
		.amdhsa_next_free_sgpr 47
		.amdhsa_reserve_vcc 1
		.amdhsa_float_round_mode_32 0
		.amdhsa_float_round_mode_16_64 0
		.amdhsa_float_denorm_mode_32 3
		.amdhsa_float_denorm_mode_16_64 3
		.amdhsa_dx10_clamp 1
		.amdhsa_ieee_mode 1
		.amdhsa_fp16_overflow 0
		.amdhsa_workgroup_processor_mode 1
		.amdhsa_memory_ordered 1
		.amdhsa_forward_progress 0
		.amdhsa_shared_vgpr_count 0
		.amdhsa_exception_fp_ieee_invalid_op 0
		.amdhsa_exception_fp_denorm_src 0
		.amdhsa_exception_fp_ieee_div_zero 0
		.amdhsa_exception_fp_ieee_overflow 0
		.amdhsa_exception_fp_ieee_underflow 0
		.amdhsa_exception_fp_ieee_inexact 0
		.amdhsa_exception_int_div_zero 0
	.end_amdhsa_kernel
	.section	.text._ZN2at6native16triu_tril_kernelIilLb1ELi2ELb0EEEvNS_4cuda6detail10TensorInfoIT_T0_EENS4_IKS5_S6_EEllS6_,"axG",@progbits,_ZN2at6native16triu_tril_kernelIilLb1ELi2ELb0EEEvNS_4cuda6detail10TensorInfoIT_T0_EENS4_IKS5_S6_EEllS6_,comdat
.Lfunc_end63:
	.size	_ZN2at6native16triu_tril_kernelIilLb1ELi2ELb0EEEvNS_4cuda6detail10TensorInfoIT_T0_EENS4_IKS5_S6_EEllS6_, .Lfunc_end63-_ZN2at6native16triu_tril_kernelIilLb1ELi2ELb0EEEvNS_4cuda6detail10TensorInfoIT_T0_EENS4_IKS5_S6_EEllS6_
                                        ; -- End function
	.section	.AMDGPU.csdata,"",@progbits
; Kernel info:
; codeLenInByte = 4176
; NumSgprs: 49
; NumVgprs: 26
; ScratchSize: 0
; MemoryBound: 0
; FloatMode: 240
; IeeeMode: 1
; LDSByteSize: 0 bytes/workgroup (compile time only)
; SGPRBlocks: 6
; VGPRBlocks: 3
; NumSGPRsForWavesPerEU: 49
; NumVGPRsForWavesPerEU: 26
; Occupancy: 16
; WaveLimiterHint : 0
; COMPUTE_PGM_RSRC2:SCRATCH_EN: 0
; COMPUTE_PGM_RSRC2:USER_SGPR: 15
; COMPUTE_PGM_RSRC2:TRAP_HANDLER: 0
; COMPUTE_PGM_RSRC2:TGID_X_EN: 1
; COMPUTE_PGM_RSRC2:TGID_Y_EN: 0
; COMPUTE_PGM_RSRC2:TGID_Z_EN: 0
; COMPUTE_PGM_RSRC2:TIDIG_COMP_CNT: 0
	.section	.text._ZN2at6native16triu_tril_kernelIliLb1ELi2ELb1EEEvNS_4cuda6detail10TensorInfoIT_T0_EENS4_IKS5_S6_EEllS6_,"axG",@progbits,_ZN2at6native16triu_tril_kernelIliLb1ELi2ELb1EEEvNS_4cuda6detail10TensorInfoIT_T0_EENS4_IKS5_S6_EEllS6_,comdat
	.protected	_ZN2at6native16triu_tril_kernelIliLb1ELi2ELb1EEEvNS_4cuda6detail10TensorInfoIT_T0_EENS4_IKS5_S6_EEllS6_ ; -- Begin function _ZN2at6native16triu_tril_kernelIliLb1ELi2ELb1EEEvNS_4cuda6detail10TensorInfoIT_T0_EENS4_IKS5_S6_EEllS6_
	.globl	_ZN2at6native16triu_tril_kernelIliLb1ELi2ELb1EEEvNS_4cuda6detail10TensorInfoIT_T0_EENS4_IKS5_S6_EEllS6_
	.p2align	8
	.type	_ZN2at6native16triu_tril_kernelIliLb1ELi2ELb1EEEvNS_4cuda6detail10TensorInfoIT_T0_EENS4_IKS5_S6_EEllS6_,@function
_ZN2at6native16triu_tril_kernelIliLb1ELi2ELb1EEEvNS_4cuda6detail10TensorInfoIT_T0_EENS4_IKS5_S6_EEllS6_: ; @_ZN2at6native16triu_tril_kernelIliLb1ELi2ELb1EEEvNS_4cuda6detail10TensorInfoIT_T0_EENS4_IKS5_S6_EEllS6_
; %bb.0:
	s_clause 0x1
	s_load_b32 s2, s[0:1], 0x1d4
	s_load_b128 s[4:7], s[0:1], 0x1b0
	v_mov_b32_e32 v2, 0
	s_add_u32 s8, s0, 0x1c8
	s_addc_u32 s9, s1, 0
	s_delay_alu instid0(VALU_DEP_1) | instskip(SKIP_3) | instid1(VALU_DEP_1)
	v_mov_b32_e32 v1, v2
	s_waitcnt lgkmcnt(0)
	s_and_b32 s14, s2, 0xffff
	s_mov_b32 s2, exec_lo
	v_mad_u64_u32 v[3:4], null, s14, s15, v[0:1]
	s_delay_alu instid0(VALU_DEP_1) | instskip(NEXT) | instid1(VALU_DEP_1)
	v_lshlrev_b64 v[0:1], 1, v[3:4]
	v_cmpx_gt_i64_e64 s[6:7], v[0:1]
	s_cbranch_execz .LBB64_62
; %bb.1:
	s_clause 0x2
	s_load_b32 s24, s[0:1], 0x1c0
	s_load_b32 s16, s[0:1], 0x1a8
	s_load_b64 s[2:3], s[0:1], 0x0
	s_load_b32 s19, s[8:9], 0x0
	s_mov_b32 s38, 0
	s_waitcnt lgkmcnt(0)
	s_ashr_i32 s25, s24, 31
	s_ashr_i32 s17, s16, 31
	s_add_u32 s26, s0, 0xe0
	s_addc_u32 s27, s1, 0
	s_lshl_b64 s[10:11], s[16:17], 2
	v_cvt_f32_u32_e32 v3, s24
	s_add_u32 s15, s10, -8
	s_addc_u32 s18, s11, -1
	s_add_u32 s12, s26, s15
	s_addc_u32 s13, s27, s18
	v_rcp_iflag_f32_e32 v3, v3
	s_load_b32 s28, s[12:13], 0x0
	s_mul_i32 s19, s19, s14
	v_cmp_gt_i64_e64 s37, s[16:17], 2
	s_waitcnt_depctr 0xfff
	v_mul_f32_e32 v3, 0x4f7ffffe, v3
	s_delay_alu instid0(VALU_DEP_1)
	v_cvt_u32_f32_e32 v3, v3
	s_waitcnt lgkmcnt(0)
	s_ashr_i32 s29, s28, 31
	s_add_u32 s12, s10, -4
	s_addc_u32 s13, s11, -1
	s_add_u32 s30, s0, 0x6c
	s_addc_u32 s1, s1, 0
	s_add_u32 s8, s30, s12
	s_addc_u32 s9, s1, s13
	;; [unrolled: 2-line block ×3, first 2 shown]
	s_add_i32 s31, s16, -3
	s_add_u32 s12, s26, s12
	s_addc_u32 s13, s27, s13
	s_add_i32 s0, s16, 6
	s_lshl_b32 s34, s19, 1
	s_and_b32 s33, s0, 7
	s_mov_b32 s15, 0
	s_cmp_lg_u32 s33, 0
	s_cselect_b32 s35, -1, 0
	s_cmp_gt_u32 s31, 6
	s_cselect_b32 s36, -1, 0
	s_sub_i32 s0, 0, s24
	s_delay_alu instid0(SALU_CYCLE_1) | instskip(NEXT) | instid1(VALU_DEP_1)
	v_mul_lo_u32 v4, s0, v3
	v_mul_hi_u32 v4, v3, v4
	s_delay_alu instid0(VALU_DEP_1)
	v_add_nc_u32_e32 v24, v3, v4
	s_branch .LBB64_3
.LBB64_2:                               ;   in Loop: Header=BB64_3 Depth=1
	s_or_b32 exec_lo, exec_lo, s39
	v_add_co_u32 v0, vcc_lo, v0, s34
	v_add_co_ci_u32_e32 v1, vcc_lo, 0, v1, vcc_lo
	s_delay_alu instid0(VALU_DEP_1) | instskip(SKIP_1) | instid1(SALU_CYCLE_1)
	v_cmp_le_i64_e32 vcc_lo, s[6:7], v[0:1]
	s_or_b32 s38, vcc_lo, s38
	s_and_not1_b32 exec_lo, exec_lo, s38
	s_cbranch_execz .LBB64_62
.LBB64_3:                               ; =>This Loop Header: Depth=1
                                        ;     Child Loop BB64_15 Depth 2
                                        ;     Child Loop BB64_24 Depth 2
	v_or_b32_e32 v3, s25, v1
                                        ; implicit-def: $vgpr4_vgpr5
	s_mov_b32 s0, exec_lo
	s_delay_alu instid0(VALU_DEP_1)
	v_cmpx_ne_u64_e32 0, v[2:3]
	s_xor_b32 s14, exec_lo, s0
	s_cbranch_execz .LBB64_5
; %bb.4:                                ;   in Loop: Header=BB64_3 Depth=1
	s_add_u32 s18, s24, s25
	s_mov_b32 s16, s25
	s_mov_b32 s17, s25
	s_addc_u32 s19, s25, s25
	s_delay_alu instid0(SALU_CYCLE_1) | instskip(NEXT) | instid1(SALU_CYCLE_1)
	s_xor_b64 s[18:19], s[18:19], s[16:17]
	v_cvt_f32_u32_e32 v3, s18
	v_cvt_f32_u32_e32 v4, s19
	s_sub_u32 s0, 0, s18
	s_subb_u32 s20, 0, s19
	s_delay_alu instid0(VALU_DEP_1) | instskip(NEXT) | instid1(VALU_DEP_1)
	v_fmac_f32_e32 v3, 0x4f800000, v4
	v_rcp_f32_e32 v3, v3
	s_waitcnt_depctr 0xfff
	v_mul_f32_e32 v3, 0x5f7ffffc, v3
	s_delay_alu instid0(VALU_DEP_1) | instskip(NEXT) | instid1(VALU_DEP_1)
	v_mul_f32_e32 v4, 0x2f800000, v3
	v_trunc_f32_e32 v4, v4
	s_delay_alu instid0(VALU_DEP_1) | instskip(SKIP_1) | instid1(VALU_DEP_2)
	v_fmac_f32_e32 v3, 0xcf800000, v4
	v_cvt_u32_f32_e32 v4, v4
	v_cvt_u32_f32_e32 v3, v3
	s_delay_alu instid0(VALU_DEP_2) | instskip(NEXT) | instid1(VALU_DEP_2)
	v_mul_lo_u32 v5, s0, v4
	v_mul_hi_u32 v6, s0, v3
	v_mul_lo_u32 v7, s20, v3
	s_delay_alu instid0(VALU_DEP_2) | instskip(SKIP_1) | instid1(VALU_DEP_2)
	v_add_nc_u32_e32 v5, v6, v5
	v_mul_lo_u32 v6, s0, v3
	v_add_nc_u32_e32 v5, v5, v7
	s_delay_alu instid0(VALU_DEP_2) | instskip(NEXT) | instid1(VALU_DEP_2)
	v_mul_hi_u32 v7, v3, v6
	v_mul_lo_u32 v8, v3, v5
	v_mul_hi_u32 v9, v3, v5
	v_mul_hi_u32 v10, v4, v6
	v_mul_lo_u32 v6, v4, v6
	v_mul_hi_u32 v11, v4, v5
	v_mul_lo_u32 v5, v4, v5
	v_add_co_u32 v7, vcc_lo, v7, v8
	v_add_co_ci_u32_e32 v8, vcc_lo, 0, v9, vcc_lo
	s_delay_alu instid0(VALU_DEP_2) | instskip(NEXT) | instid1(VALU_DEP_2)
	v_add_co_u32 v6, vcc_lo, v7, v6
	v_add_co_ci_u32_e32 v6, vcc_lo, v8, v10, vcc_lo
	v_add_co_ci_u32_e32 v7, vcc_lo, 0, v11, vcc_lo
	v_ashrrev_i32_e32 v10, 31, v1
	s_delay_alu instid0(VALU_DEP_3) | instskip(NEXT) | instid1(VALU_DEP_3)
	v_add_co_u32 v5, vcc_lo, v6, v5
	v_add_co_ci_u32_e32 v6, vcc_lo, 0, v7, vcc_lo
	s_delay_alu instid0(VALU_DEP_2) | instskip(NEXT) | instid1(VALU_DEP_2)
	v_add_co_u32 v3, vcc_lo, v3, v5
	v_add_co_ci_u32_e32 v4, vcc_lo, v4, v6, vcc_lo
	s_delay_alu instid0(VALU_DEP_2) | instskip(SKIP_1) | instid1(VALU_DEP_3)
	v_mul_hi_u32 v5, s0, v3
	v_mul_lo_u32 v7, s20, v3
	v_mul_lo_u32 v6, s0, v4
	s_delay_alu instid0(VALU_DEP_1) | instskip(SKIP_1) | instid1(VALU_DEP_2)
	v_add_nc_u32_e32 v5, v5, v6
	v_mul_lo_u32 v6, s0, v3
	v_add_nc_u32_e32 v5, v5, v7
	s_delay_alu instid0(VALU_DEP_2) | instskip(NEXT) | instid1(VALU_DEP_2)
	v_mul_hi_u32 v7, v3, v6
	v_mul_lo_u32 v8, v3, v5
	v_mul_hi_u32 v9, v3, v5
	v_mul_hi_u32 v11, v4, v6
	v_mul_lo_u32 v6, v4, v6
	v_mul_hi_u32 v12, v4, v5
	v_mul_lo_u32 v5, v4, v5
	v_add_co_u32 v7, vcc_lo, v7, v8
	v_add_co_ci_u32_e32 v8, vcc_lo, 0, v9, vcc_lo
	s_delay_alu instid0(VALU_DEP_2) | instskip(NEXT) | instid1(VALU_DEP_2)
	v_add_co_u32 v6, vcc_lo, v7, v6
	v_add_co_ci_u32_e32 v6, vcc_lo, v8, v11, vcc_lo
	v_add_co_ci_u32_e32 v7, vcc_lo, 0, v12, vcc_lo
	v_add_co_u32 v8, vcc_lo, v0, v10
	v_add_co_ci_u32_e32 v9, vcc_lo, v1, v10, vcc_lo
	s_delay_alu instid0(VALU_DEP_4) | instskip(NEXT) | instid1(VALU_DEP_4)
	v_add_co_u32 v5, vcc_lo, v6, v5
	v_add_co_ci_u32_e32 v6, vcc_lo, 0, v7, vcc_lo
	s_delay_alu instid0(VALU_DEP_4) | instskip(NEXT) | instid1(VALU_DEP_3)
	v_xor_b32_e32 v11, v8, v10
	v_add_co_u32 v7, vcc_lo, v3, v5
	s_delay_alu instid0(VALU_DEP_3) | instskip(SKIP_1) | instid1(VALU_DEP_3)
	v_add_co_ci_u32_e32 v12, vcc_lo, v4, v6, vcc_lo
	v_xor_b32_e32 v9, v9, v10
	v_mul_hi_u32 v13, v11, v7
	s_delay_alu instid0(VALU_DEP_3) | instskip(NEXT) | instid1(VALU_DEP_3)
	v_mad_u64_u32 v[3:4], null, v11, v12, 0
	v_mad_u64_u32 v[5:6], null, v9, v7, 0
	;; [unrolled: 1-line block ×3, first 2 shown]
	s_delay_alu instid0(VALU_DEP_3) | instskip(NEXT) | instid1(VALU_DEP_4)
	v_add_co_u32 v3, vcc_lo, v13, v3
	v_add_co_ci_u32_e32 v4, vcc_lo, 0, v4, vcc_lo
	s_delay_alu instid0(VALU_DEP_2) | instskip(NEXT) | instid1(VALU_DEP_2)
	v_add_co_u32 v3, vcc_lo, v3, v5
	v_add_co_ci_u32_e32 v3, vcc_lo, v4, v6, vcc_lo
	v_add_co_ci_u32_e32 v4, vcc_lo, 0, v8, vcc_lo
	s_delay_alu instid0(VALU_DEP_2) | instskip(NEXT) | instid1(VALU_DEP_2)
	v_add_co_u32 v5, vcc_lo, v3, v7
	v_add_co_ci_u32_e32 v6, vcc_lo, 0, v4, vcc_lo
	s_delay_alu instid0(VALU_DEP_2) | instskip(SKIP_1) | instid1(VALU_DEP_3)
	v_mul_lo_u32 v7, s19, v5
	v_mad_u64_u32 v[3:4], null, s18, v5, 0
	v_mul_lo_u32 v8, s18, v6
	s_delay_alu instid0(VALU_DEP_2) | instskip(NEXT) | instid1(VALU_DEP_2)
	v_sub_co_u32 v3, vcc_lo, v11, v3
	v_add3_u32 v4, v4, v8, v7
	s_delay_alu instid0(VALU_DEP_1) | instskip(NEXT) | instid1(VALU_DEP_1)
	v_sub_nc_u32_e32 v7, v9, v4
	v_subrev_co_ci_u32_e64 v7, s0, s19, v7, vcc_lo
	v_add_co_u32 v8, s0, v5, 2
	s_delay_alu instid0(VALU_DEP_1) | instskip(SKIP_3) | instid1(VALU_DEP_3)
	v_add_co_ci_u32_e64 v11, s0, 0, v6, s0
	v_sub_co_u32 v12, s0, v3, s18
	v_sub_co_ci_u32_e32 v4, vcc_lo, v9, v4, vcc_lo
	v_subrev_co_ci_u32_e64 v7, s0, 0, v7, s0
	v_cmp_le_u32_e32 vcc_lo, s18, v12
	s_delay_alu instid0(VALU_DEP_3) | instskip(SKIP_1) | instid1(VALU_DEP_4)
	v_cmp_eq_u32_e64 s0, s19, v4
	v_cndmask_b32_e64 v9, 0, -1, vcc_lo
	v_cmp_le_u32_e32 vcc_lo, s19, v7
	v_cndmask_b32_e64 v12, 0, -1, vcc_lo
	v_cmp_le_u32_e32 vcc_lo, s18, v3
	;; [unrolled: 2-line block ×3, first 2 shown]
	v_cndmask_b32_e64 v13, 0, -1, vcc_lo
	v_cmp_eq_u32_e32 vcc_lo, s19, v7
	s_delay_alu instid0(VALU_DEP_2) | instskip(SKIP_3) | instid1(VALU_DEP_3)
	v_cndmask_b32_e64 v3, v13, v3, s0
	v_cndmask_b32_e32 v7, v12, v9, vcc_lo
	v_add_co_u32 v9, vcc_lo, v5, 1
	v_add_co_ci_u32_e32 v12, vcc_lo, 0, v6, vcc_lo
	v_cmp_ne_u32_e32 vcc_lo, 0, v7
	s_delay_alu instid0(VALU_DEP_2) | instskip(SKIP_2) | instid1(VALU_DEP_3)
	v_dual_cndmask_b32 v4, v12, v11 :: v_dual_cndmask_b32 v7, v9, v8
	v_cmp_ne_u32_e32 vcc_lo, 0, v3
	v_xor_b32_e32 v3, s16, v10
	v_dual_cndmask_b32 v5, v5, v7 :: v_dual_cndmask_b32 v4, v6, v4
	v_xor_b32_e32 v6, s17, v10
	s_delay_alu instid0(VALU_DEP_2) | instskip(NEXT) | instid1(VALU_DEP_2)
	v_xor_b32_e32 v5, v5, v3
	v_xor_b32_e32 v7, v4, v6
	s_delay_alu instid0(VALU_DEP_2) | instskip(NEXT) | instid1(VALU_DEP_2)
	v_sub_co_u32 v4, vcc_lo, v5, v3
	v_sub_co_ci_u32_e32 v5, vcc_lo, v7, v6, vcc_lo
.LBB64_5:                               ;   in Loop: Header=BB64_3 Depth=1
	s_and_not1_saveexec_b32 s0, s14
; %bb.6:                                ;   in Loop: Header=BB64_3 Depth=1
	v_mul_hi_u32 v3, v0, v24
	s_delay_alu instid0(VALU_DEP_1) | instskip(NEXT) | instid1(VALU_DEP_1)
	v_mul_lo_u32 v4, v3, s24
	v_sub_nc_u32_e32 v4, v0, v4
	s_delay_alu instid0(VALU_DEP_1) | instskip(SKIP_1) | instid1(VALU_DEP_2)
	v_subrev_nc_u32_e32 v6, s24, v4
	v_cmp_le_u32_e32 vcc_lo, s24, v4
	v_dual_cndmask_b32 v4, v4, v6 :: v_dual_add_nc_u32 v5, 1, v3
	s_delay_alu instid0(VALU_DEP_1) | instskip(NEXT) | instid1(VALU_DEP_2)
	v_cndmask_b32_e32 v3, v3, v5, vcc_lo
	v_cmp_le_u32_e32 vcc_lo, s24, v4
	s_delay_alu instid0(VALU_DEP_2) | instskip(NEXT) | instid1(VALU_DEP_1)
	v_add_nc_u32_e32 v5, 1, v3
	v_dual_cndmask_b32 v4, v3, v5 :: v_dual_mov_b32 v5, v2
; %bb.7:                                ;   in Loop: Header=BB64_3 Depth=1
	s_or_b32 exec_lo, exec_lo, s0
	s_delay_alu instid0(VALU_DEP_1) | instskip(SKIP_1) | instid1(VALU_DEP_1)
	v_or_b32_e32 v3, s29, v5
                                        ; implicit-def: $vgpr6_vgpr7
	s_mov_b32 s0, exec_lo
	v_cmpx_ne_u64_e32 0, v[2:3]
	s_xor_b32 s14, exec_lo, s0
	s_cbranch_execz .LBB64_9
; %bb.8:                                ;   in Loop: Header=BB64_3 Depth=1
	s_add_u32 s18, s28, s29
	s_mov_b32 s16, s29
	s_mov_b32 s17, s29
	s_addc_u32 s19, s29, s29
	s_delay_alu instid0(SALU_CYCLE_1) | instskip(NEXT) | instid1(SALU_CYCLE_1)
	s_xor_b64 s[18:19], s[18:19], s[16:17]
	v_cvt_f32_u32_e32 v3, s18
	v_cvt_f32_u32_e32 v6, s19
	s_sub_u32 s0, 0, s18
	s_subb_u32 s20, 0, s19
	s_delay_alu instid0(VALU_DEP_1) | instskip(NEXT) | instid1(VALU_DEP_1)
	v_fmac_f32_e32 v3, 0x4f800000, v6
	v_rcp_f32_e32 v3, v3
	s_waitcnt_depctr 0xfff
	v_mul_f32_e32 v3, 0x5f7ffffc, v3
	s_delay_alu instid0(VALU_DEP_1) | instskip(NEXT) | instid1(VALU_DEP_1)
	v_mul_f32_e32 v6, 0x2f800000, v3
	v_trunc_f32_e32 v6, v6
	s_delay_alu instid0(VALU_DEP_1) | instskip(SKIP_1) | instid1(VALU_DEP_2)
	v_fmac_f32_e32 v3, 0xcf800000, v6
	v_cvt_u32_f32_e32 v6, v6
	v_cvt_u32_f32_e32 v3, v3
	s_delay_alu instid0(VALU_DEP_2) | instskip(NEXT) | instid1(VALU_DEP_2)
	v_mul_lo_u32 v7, s0, v6
	v_mul_hi_u32 v8, s0, v3
	v_mul_lo_u32 v9, s20, v3
	s_delay_alu instid0(VALU_DEP_2) | instskip(SKIP_1) | instid1(VALU_DEP_2)
	v_add_nc_u32_e32 v7, v8, v7
	v_mul_lo_u32 v8, s0, v3
	v_add_nc_u32_e32 v7, v7, v9
	s_delay_alu instid0(VALU_DEP_2) | instskip(NEXT) | instid1(VALU_DEP_2)
	v_mul_hi_u32 v9, v3, v8
	v_mul_lo_u32 v10, v3, v7
	v_mul_hi_u32 v11, v3, v7
	v_mul_hi_u32 v12, v6, v8
	v_mul_lo_u32 v8, v6, v8
	v_mul_hi_u32 v13, v6, v7
	v_mul_lo_u32 v7, v6, v7
	v_add_co_u32 v9, vcc_lo, v9, v10
	v_add_co_ci_u32_e32 v10, vcc_lo, 0, v11, vcc_lo
	s_delay_alu instid0(VALU_DEP_2) | instskip(NEXT) | instid1(VALU_DEP_2)
	v_add_co_u32 v8, vcc_lo, v9, v8
	v_add_co_ci_u32_e32 v8, vcc_lo, v10, v12, vcc_lo
	v_add_co_ci_u32_e32 v9, vcc_lo, 0, v13, vcc_lo
	v_ashrrev_i32_e32 v12, 31, v5
	s_delay_alu instid0(VALU_DEP_3) | instskip(NEXT) | instid1(VALU_DEP_3)
	v_add_co_u32 v7, vcc_lo, v8, v7
	v_add_co_ci_u32_e32 v8, vcc_lo, 0, v9, vcc_lo
	s_delay_alu instid0(VALU_DEP_2) | instskip(NEXT) | instid1(VALU_DEP_2)
	v_add_co_u32 v3, vcc_lo, v3, v7
	v_add_co_ci_u32_e32 v6, vcc_lo, v6, v8, vcc_lo
	s_delay_alu instid0(VALU_DEP_2) | instskip(SKIP_1) | instid1(VALU_DEP_3)
	v_mul_hi_u32 v7, s0, v3
	v_mul_lo_u32 v9, s20, v3
	v_mul_lo_u32 v8, s0, v6
	s_delay_alu instid0(VALU_DEP_1) | instskip(SKIP_1) | instid1(VALU_DEP_2)
	v_add_nc_u32_e32 v7, v7, v8
	v_mul_lo_u32 v8, s0, v3
	v_add_nc_u32_e32 v7, v7, v9
	s_delay_alu instid0(VALU_DEP_2) | instskip(NEXT) | instid1(VALU_DEP_2)
	v_mul_hi_u32 v9, v3, v8
	v_mul_lo_u32 v10, v3, v7
	v_mul_hi_u32 v11, v3, v7
	v_mul_hi_u32 v13, v6, v8
	v_mul_lo_u32 v8, v6, v8
	v_mul_hi_u32 v14, v6, v7
	v_mul_lo_u32 v7, v6, v7
	v_add_co_u32 v9, vcc_lo, v9, v10
	v_add_co_ci_u32_e32 v10, vcc_lo, 0, v11, vcc_lo
	s_delay_alu instid0(VALU_DEP_2) | instskip(NEXT) | instid1(VALU_DEP_2)
	v_add_co_u32 v8, vcc_lo, v9, v8
	v_add_co_ci_u32_e32 v8, vcc_lo, v10, v13, vcc_lo
	v_add_co_ci_u32_e32 v9, vcc_lo, 0, v14, vcc_lo
	v_add_co_u32 v10, vcc_lo, v4, v12
	v_add_co_ci_u32_e32 v5, vcc_lo, v5, v12, vcc_lo
	s_delay_alu instid0(VALU_DEP_4) | instskip(NEXT) | instid1(VALU_DEP_4)
	v_add_co_u32 v7, vcc_lo, v8, v7
	v_add_co_ci_u32_e32 v8, vcc_lo, 0, v9, vcc_lo
	s_delay_alu instid0(VALU_DEP_4) | instskip(NEXT) | instid1(VALU_DEP_3)
	v_xor_b32_e32 v11, v10, v12
	v_add_co_u32 v3, vcc_lo, v3, v7
	s_delay_alu instid0(VALU_DEP_3) | instskip(SKIP_1) | instid1(VALU_DEP_3)
	v_add_co_ci_u32_e32 v13, vcc_lo, v6, v8, vcc_lo
	v_xor_b32_e32 v14, v5, v12
	v_mul_hi_u32 v15, v11, v3
	s_delay_alu instid0(VALU_DEP_3) | instskip(NEXT) | instid1(VALU_DEP_3)
	v_mad_u64_u32 v[5:6], null, v11, v13, 0
	v_mad_u64_u32 v[7:8], null, v14, v3, 0
	;; [unrolled: 1-line block ×3, first 2 shown]
	s_delay_alu instid0(VALU_DEP_3) | instskip(NEXT) | instid1(VALU_DEP_4)
	v_add_co_u32 v3, vcc_lo, v15, v5
	v_add_co_ci_u32_e32 v5, vcc_lo, 0, v6, vcc_lo
	s_delay_alu instid0(VALU_DEP_2) | instskip(NEXT) | instid1(VALU_DEP_2)
	v_add_co_u32 v3, vcc_lo, v3, v7
	v_add_co_ci_u32_e32 v3, vcc_lo, v5, v8, vcc_lo
	v_add_co_ci_u32_e32 v5, vcc_lo, 0, v10, vcc_lo
	s_delay_alu instid0(VALU_DEP_2) | instskip(NEXT) | instid1(VALU_DEP_2)
	v_add_co_u32 v3, vcc_lo, v3, v9
	v_add_co_ci_u32_e32 v7, vcc_lo, 0, v5, vcc_lo
	s_delay_alu instid0(VALU_DEP_2) | instskip(SKIP_1) | instid1(VALU_DEP_3)
	v_mul_lo_u32 v8, s19, v3
	v_mad_u64_u32 v[5:6], null, s18, v3, 0
	v_mul_lo_u32 v9, s18, v7
	s_delay_alu instid0(VALU_DEP_2) | instskip(NEXT) | instid1(VALU_DEP_2)
	v_sub_co_u32 v5, vcc_lo, v11, v5
	v_add3_u32 v6, v6, v9, v8
	s_delay_alu instid0(VALU_DEP_1) | instskip(NEXT) | instid1(VALU_DEP_1)
	v_sub_nc_u32_e32 v8, v14, v6
	v_subrev_co_ci_u32_e64 v8, s0, s19, v8, vcc_lo
	v_add_co_u32 v9, s0, v3, 2
	s_delay_alu instid0(VALU_DEP_1) | instskip(SKIP_3) | instid1(VALU_DEP_3)
	v_add_co_ci_u32_e64 v10, s0, 0, v7, s0
	v_sub_co_u32 v11, s0, v5, s18
	v_sub_co_ci_u32_e32 v6, vcc_lo, v14, v6, vcc_lo
	v_subrev_co_ci_u32_e64 v8, s0, 0, v8, s0
	v_cmp_le_u32_e32 vcc_lo, s18, v11
	s_delay_alu instid0(VALU_DEP_3) | instskip(SKIP_1) | instid1(VALU_DEP_4)
	v_cmp_eq_u32_e64 s0, s19, v6
	v_cndmask_b32_e64 v11, 0, -1, vcc_lo
	v_cmp_le_u32_e32 vcc_lo, s19, v8
	v_cndmask_b32_e64 v13, 0, -1, vcc_lo
	v_cmp_le_u32_e32 vcc_lo, s18, v5
	;; [unrolled: 2-line block ×3, first 2 shown]
	v_cndmask_b32_e64 v14, 0, -1, vcc_lo
	v_cmp_eq_u32_e32 vcc_lo, s19, v8
	s_delay_alu instid0(VALU_DEP_2) | instskip(SKIP_3) | instid1(VALU_DEP_3)
	v_cndmask_b32_e64 v5, v14, v5, s0
	v_cndmask_b32_e32 v8, v13, v11, vcc_lo
	v_add_co_u32 v11, vcc_lo, v3, 1
	v_add_co_ci_u32_e32 v13, vcc_lo, 0, v7, vcc_lo
	v_cmp_ne_u32_e32 vcc_lo, 0, v8
	s_delay_alu instid0(VALU_DEP_3) | instskip(NEXT) | instid1(VALU_DEP_3)
	v_cndmask_b32_e32 v8, v11, v9, vcc_lo
	v_cndmask_b32_e32 v6, v13, v10, vcc_lo
	v_cmp_ne_u32_e32 vcc_lo, 0, v5
	v_xor_b32_e32 v5, s16, v12
	s_delay_alu instid0(VALU_DEP_4) | instskip(NEXT) | instid1(VALU_DEP_4)
	v_cndmask_b32_e32 v3, v3, v8, vcc_lo
	v_cndmask_b32_e32 v6, v7, v6, vcc_lo
	v_xor_b32_e32 v7, s17, v12
	s_delay_alu instid0(VALU_DEP_3) | instskip(NEXT) | instid1(VALU_DEP_2)
	v_xor_b32_e32 v3, v3, v5
	v_xor_b32_e32 v8, v6, v7
	s_delay_alu instid0(VALU_DEP_2) | instskip(NEXT) | instid1(VALU_DEP_2)
	v_sub_co_u32 v6, vcc_lo, v3, v5
	v_sub_co_ci_u32_e32 v7, vcc_lo, v8, v7, vcc_lo
.LBB64_9:                               ;   in Loop: Header=BB64_3 Depth=1
	s_and_not1_saveexec_b32 s0, s14
	s_cbranch_execz .LBB64_11
; %bb.10:                               ;   in Loop: Header=BB64_3 Depth=1
	v_cvt_f32_u32_e32 v3, s28
	s_sub_i32 s14, 0, s28
	s_delay_alu instid0(VALU_DEP_1) | instskip(SKIP_2) | instid1(VALU_DEP_1)
	v_rcp_iflag_f32_e32 v3, v3
	s_waitcnt_depctr 0xfff
	v_mul_f32_e32 v3, 0x4f7ffffe, v3
	v_cvt_u32_f32_e32 v3, v3
	s_delay_alu instid0(VALU_DEP_1) | instskip(NEXT) | instid1(VALU_DEP_1)
	v_mul_lo_u32 v5, s14, v3
	v_mul_hi_u32 v5, v3, v5
	s_delay_alu instid0(VALU_DEP_1) | instskip(NEXT) | instid1(VALU_DEP_1)
	v_add_nc_u32_e32 v3, v3, v5
	v_mul_hi_u32 v3, v4, v3
	s_delay_alu instid0(VALU_DEP_1) | instskip(SKIP_1) | instid1(VALU_DEP_2)
	v_mul_lo_u32 v5, v3, s28
	v_add_nc_u32_e32 v6, 1, v3
	v_sub_nc_u32_e32 v5, v4, v5
	s_delay_alu instid0(VALU_DEP_1) | instskip(SKIP_1) | instid1(VALU_DEP_2)
	v_subrev_nc_u32_e32 v7, s28, v5
	v_cmp_le_u32_e32 vcc_lo, s28, v5
	v_cndmask_b32_e32 v5, v5, v7, vcc_lo
	v_mov_b32_e32 v7, v2
	v_cndmask_b32_e32 v3, v3, v6, vcc_lo
	s_delay_alu instid0(VALU_DEP_3) | instskip(NEXT) | instid1(VALU_DEP_2)
	v_cmp_le_u32_e32 vcc_lo, s28, v5
	v_add_nc_u32_e32 v6, 1, v3
	s_delay_alu instid0(VALU_DEP_1)
	v_cndmask_b32_e32 v6, v3, v6, vcc_lo
.LBB64_11:                              ;   in Loop: Header=BB64_3 Depth=1
	s_or_b32 exec_lo, exec_lo, s0
	v_mad_u64_u32 v[8:9], null, v4, s24, 0
	s_delay_alu instid0(VALU_DEP_2) | instskip(SKIP_1) | instid1(VALU_DEP_2)
	v_mad_u64_u32 v[9:10], null, v6, s28, 0
	s_mov_b32 s39, exec_lo
	v_sub_co_u32 v26, null, v0, v8
	s_delay_alu instid0(VALU_DEP_2) | instskip(NEXT) | instid1(VALU_DEP_1)
	v_sub_co_u32 v25, null, v4, v9
	v_sub_nc_u32_e32 v3, v26, v25
	s_delay_alu instid0(VALU_DEP_1) | instskip(NEXT) | instid1(VALU_DEP_1)
	v_ashrrev_i32_e32 v4, 31, v3
	v_cmpx_gt_i64_e64 s[4:5], v[3:4]
	s_cbranch_execz .LBB64_2
; %bb.12:                               ;   in Loop: Header=BB64_3 Depth=1
	s_clause 0x1
	s_load_b32 s40, s[8:9], 0x0
	s_load_b32 s0, s[10:11], 0x0
	s_and_not1_b32 vcc_lo, exec_lo, s37
	s_waitcnt lgkmcnt(0)
	v_mul_lo_u32 v3, s40, v26
	s_delay_alu instid0(VALU_DEP_1)
	v_mad_u64_u32 v[4:5], null, s0, v25, v[3:4]
	s_cbranch_vccnz .LBB64_58
; %bb.13:                               ;   in Loop: Header=BB64_3 Depth=1
	s_and_not1_b32 vcc_lo, exec_lo, s35
	s_cbranch_vccnz .LBB64_21
; %bb.14:                               ;   in Loop: Header=BB64_3 Depth=1
	v_dual_mov_b32 v9, v7 :: v_dual_mov_b32 v8, v6
	s_mov_b32 s22, s33
	s_mov_b32 s14, s31
.LBB64_15:                              ;   Parent Loop BB64_3 Depth=1
                                        ; =>  This Inner Loop Header: Depth=2
	s_delay_alu instid0(SALU_CYCLE_1) | instskip(NEXT) | instid1(SALU_CYCLE_1)
	s_lshl_b64 s[16:17], s[14:15], 2
                                        ; implicit-def: $vgpr6_vgpr7
	s_add_u32 s18, s26, s16
	s_addc_u32 s19, s27, s17
	s_load_b32 s23, s[18:19], 0x0
	s_mov_b32 s18, exec_lo
	s_waitcnt lgkmcnt(0)
	s_ashr_i32 s0, s23, 31
	s_delay_alu instid0(SALU_CYCLE_1) | instskip(NEXT) | instid1(VALU_DEP_1)
	v_or_b32_e32 v3, s0, v9
	v_cmpx_ne_u64_e32 0, v[2:3]
	s_xor_b32 s41, exec_lo, s18
	s_cbranch_execz .LBB64_17
; %bb.16:                               ;   in Loop: Header=BB64_15 Depth=2
	s_add_u32 s20, s23, s0
	s_mov_b32 s18, s0
	s_mov_b32 s19, s0
	s_addc_u32 s21, s0, s0
	s_delay_alu instid0(SALU_CYCLE_1) | instskip(NEXT) | instid1(SALU_CYCLE_1)
	s_xor_b64 s[20:21], s[20:21], s[18:19]
	v_cvt_f32_u32_e32 v3, s20
	v_cvt_f32_u32_e32 v5, s21
	s_sub_u32 s0, 0, s20
	s_subb_u32 s42, 0, s21
	s_delay_alu instid0(VALU_DEP_1) | instskip(NEXT) | instid1(VALU_DEP_1)
	v_fmac_f32_e32 v3, 0x4f800000, v5
	v_rcp_f32_e32 v3, v3
	s_waitcnt_depctr 0xfff
	v_mul_f32_e32 v3, 0x5f7ffffc, v3
	s_delay_alu instid0(VALU_DEP_1) | instskip(NEXT) | instid1(VALU_DEP_1)
	v_mul_f32_e32 v5, 0x2f800000, v3
	v_trunc_f32_e32 v5, v5
	s_delay_alu instid0(VALU_DEP_1) | instskip(SKIP_1) | instid1(VALU_DEP_2)
	v_fmac_f32_e32 v3, 0xcf800000, v5
	v_cvt_u32_f32_e32 v5, v5
	v_cvt_u32_f32_e32 v3, v3
	s_delay_alu instid0(VALU_DEP_2) | instskip(NEXT) | instid1(VALU_DEP_2)
	v_mul_lo_u32 v6, s0, v5
	v_mul_hi_u32 v7, s0, v3
	v_mul_lo_u32 v10, s42, v3
	s_delay_alu instid0(VALU_DEP_2) | instskip(SKIP_1) | instid1(VALU_DEP_2)
	v_add_nc_u32_e32 v6, v7, v6
	v_mul_lo_u32 v7, s0, v3
	v_add_nc_u32_e32 v6, v6, v10
	s_delay_alu instid0(VALU_DEP_2) | instskip(NEXT) | instid1(VALU_DEP_2)
	v_mul_hi_u32 v10, v3, v7
	v_mul_lo_u32 v11, v3, v6
	v_mul_hi_u32 v12, v3, v6
	v_mul_hi_u32 v13, v5, v7
	v_mul_lo_u32 v7, v5, v7
	v_mul_hi_u32 v14, v5, v6
	v_mul_lo_u32 v6, v5, v6
	v_add_co_u32 v10, vcc_lo, v10, v11
	v_add_co_ci_u32_e32 v11, vcc_lo, 0, v12, vcc_lo
	s_delay_alu instid0(VALU_DEP_2) | instskip(NEXT) | instid1(VALU_DEP_2)
	v_add_co_u32 v7, vcc_lo, v10, v7
	v_add_co_ci_u32_e32 v7, vcc_lo, v11, v13, vcc_lo
	v_add_co_ci_u32_e32 v10, vcc_lo, 0, v14, vcc_lo
	v_ashrrev_i32_e32 v13, 31, v9
	s_delay_alu instid0(VALU_DEP_3) | instskip(NEXT) | instid1(VALU_DEP_3)
	v_add_co_u32 v6, vcc_lo, v7, v6
	v_add_co_ci_u32_e32 v7, vcc_lo, 0, v10, vcc_lo
	s_delay_alu instid0(VALU_DEP_2) | instskip(NEXT) | instid1(VALU_DEP_2)
	v_add_co_u32 v3, vcc_lo, v3, v6
	v_add_co_ci_u32_e32 v5, vcc_lo, v5, v7, vcc_lo
	s_delay_alu instid0(VALU_DEP_2) | instskip(SKIP_1) | instid1(VALU_DEP_3)
	v_mul_hi_u32 v6, s0, v3
	v_mul_lo_u32 v10, s42, v3
	v_mul_lo_u32 v7, s0, v5
	s_delay_alu instid0(VALU_DEP_1) | instskip(SKIP_1) | instid1(VALU_DEP_2)
	v_add_nc_u32_e32 v6, v6, v7
	v_mul_lo_u32 v7, s0, v3
	v_add_nc_u32_e32 v6, v6, v10
	s_delay_alu instid0(VALU_DEP_2) | instskip(NEXT) | instid1(VALU_DEP_2)
	v_mul_hi_u32 v10, v3, v7
	v_mul_lo_u32 v11, v3, v6
	v_mul_hi_u32 v12, v3, v6
	v_mul_hi_u32 v14, v5, v7
	v_mul_lo_u32 v7, v5, v7
	v_mul_hi_u32 v15, v5, v6
	v_mul_lo_u32 v6, v5, v6
	v_add_co_u32 v10, vcc_lo, v10, v11
	v_add_co_ci_u32_e32 v11, vcc_lo, 0, v12, vcc_lo
	s_delay_alu instid0(VALU_DEP_2) | instskip(NEXT) | instid1(VALU_DEP_2)
	v_add_co_u32 v7, vcc_lo, v10, v7
	v_add_co_ci_u32_e32 v7, vcc_lo, v11, v14, vcc_lo
	v_add_co_ci_u32_e32 v10, vcc_lo, 0, v15, vcc_lo
	v_add_co_u32 v11, vcc_lo, v8, v13
	v_add_co_ci_u32_e32 v9, vcc_lo, v9, v13, vcc_lo
	s_delay_alu instid0(VALU_DEP_4) | instskip(NEXT) | instid1(VALU_DEP_4)
	v_add_co_u32 v6, vcc_lo, v7, v6
	v_add_co_ci_u32_e32 v7, vcc_lo, 0, v10, vcc_lo
	s_delay_alu instid0(VALU_DEP_4) | instskip(NEXT) | instid1(VALU_DEP_3)
	v_xor_b32_e32 v14, v11, v13
	v_add_co_u32 v3, vcc_lo, v3, v6
	s_delay_alu instid0(VALU_DEP_3) | instskip(SKIP_1) | instid1(VALU_DEP_3)
	v_add_co_ci_u32_e32 v7, vcc_lo, v5, v7, vcc_lo
	v_xor_b32_e32 v15, v9, v13
	v_mul_hi_u32 v16, v14, v3
	s_delay_alu instid0(VALU_DEP_3) | instskip(NEXT) | instid1(VALU_DEP_3)
	v_mad_u64_u32 v[5:6], null, v14, v7, 0
	v_mad_u64_u32 v[9:10], null, v15, v3, 0
	;; [unrolled: 1-line block ×3, first 2 shown]
	s_delay_alu instid0(VALU_DEP_3) | instskip(NEXT) | instid1(VALU_DEP_4)
	v_add_co_u32 v3, vcc_lo, v16, v5
	v_add_co_ci_u32_e32 v5, vcc_lo, 0, v6, vcc_lo
	s_delay_alu instid0(VALU_DEP_2) | instskip(NEXT) | instid1(VALU_DEP_2)
	v_add_co_u32 v3, vcc_lo, v3, v9
	v_add_co_ci_u32_e32 v3, vcc_lo, v5, v10, vcc_lo
	v_add_co_ci_u32_e32 v5, vcc_lo, 0, v12, vcc_lo
	s_delay_alu instid0(VALU_DEP_2) | instskip(NEXT) | instid1(VALU_DEP_2)
	v_add_co_u32 v3, vcc_lo, v3, v11
	v_add_co_ci_u32_e32 v7, vcc_lo, 0, v5, vcc_lo
	s_delay_alu instid0(VALU_DEP_2) | instskip(SKIP_1) | instid1(VALU_DEP_3)
	v_mul_lo_u32 v9, s21, v3
	v_mad_u64_u32 v[5:6], null, s20, v3, 0
	v_mul_lo_u32 v10, s20, v7
	s_delay_alu instid0(VALU_DEP_2) | instskip(NEXT) | instid1(VALU_DEP_2)
	v_sub_co_u32 v5, vcc_lo, v14, v5
	v_add3_u32 v6, v6, v10, v9
	s_delay_alu instid0(VALU_DEP_1) | instskip(NEXT) | instid1(VALU_DEP_1)
	v_sub_nc_u32_e32 v9, v15, v6
	v_subrev_co_ci_u32_e64 v9, s0, s21, v9, vcc_lo
	v_add_co_u32 v10, s0, v3, 2
	s_delay_alu instid0(VALU_DEP_1) | instskip(SKIP_3) | instid1(VALU_DEP_3)
	v_add_co_ci_u32_e64 v11, s0, 0, v7, s0
	v_sub_co_u32 v12, s0, v5, s20
	v_sub_co_ci_u32_e32 v6, vcc_lo, v15, v6, vcc_lo
	v_subrev_co_ci_u32_e64 v9, s0, 0, v9, s0
	v_cmp_le_u32_e32 vcc_lo, s20, v12
	s_delay_alu instid0(VALU_DEP_3) | instskip(SKIP_1) | instid1(VALU_DEP_4)
	v_cmp_eq_u32_e64 s0, s21, v6
	v_cndmask_b32_e64 v12, 0, -1, vcc_lo
	v_cmp_le_u32_e32 vcc_lo, s21, v9
	v_cndmask_b32_e64 v14, 0, -1, vcc_lo
	v_cmp_le_u32_e32 vcc_lo, s20, v5
	;; [unrolled: 2-line block ×3, first 2 shown]
	v_cndmask_b32_e64 v15, 0, -1, vcc_lo
	v_cmp_eq_u32_e32 vcc_lo, s21, v9
	s_delay_alu instid0(VALU_DEP_2) | instskip(SKIP_3) | instid1(VALU_DEP_3)
	v_cndmask_b32_e64 v5, v15, v5, s0
	v_cndmask_b32_e32 v9, v14, v12, vcc_lo
	v_add_co_u32 v12, vcc_lo, v3, 1
	v_add_co_ci_u32_e32 v14, vcc_lo, 0, v7, vcc_lo
	v_cmp_ne_u32_e32 vcc_lo, 0, v9
	s_delay_alu instid0(VALU_DEP_2) | instskip(SKIP_2) | instid1(VALU_DEP_3)
	v_dual_cndmask_b32 v6, v14, v11 :: v_dual_cndmask_b32 v9, v12, v10
	v_cmp_ne_u32_e32 vcc_lo, 0, v5
	v_xor_b32_e32 v5, s18, v13
	v_cndmask_b32_e32 v3, v3, v9, vcc_lo
	s_delay_alu instid0(VALU_DEP_4) | instskip(SKIP_1) | instid1(VALU_DEP_3)
	v_cndmask_b32_e32 v6, v7, v6, vcc_lo
	v_xor_b32_e32 v7, s19, v13
	v_xor_b32_e32 v3, v3, v5
	s_delay_alu instid0(VALU_DEP_2) | instskip(NEXT) | instid1(VALU_DEP_2)
	v_xor_b32_e32 v9, v6, v7
	v_sub_co_u32 v6, vcc_lo, v3, v5
	s_delay_alu instid0(VALU_DEP_2)
	v_sub_co_ci_u32_e32 v7, vcc_lo, v9, v7, vcc_lo
.LBB64_17:                              ;   in Loop: Header=BB64_15 Depth=2
	s_and_not1_saveexec_b32 s0, s41
	s_cbranch_execz .LBB64_19
; %bb.18:                               ;   in Loop: Header=BB64_15 Depth=2
	v_cvt_f32_u32_e32 v3, s23
	s_sub_i32 s18, 0, s23
	s_delay_alu instid0(VALU_DEP_1) | instskip(SKIP_2) | instid1(VALU_DEP_1)
	v_rcp_iflag_f32_e32 v3, v3
	s_waitcnt_depctr 0xfff
	v_mul_f32_e32 v3, 0x4f7ffffe, v3
	v_cvt_u32_f32_e32 v3, v3
	s_delay_alu instid0(VALU_DEP_1) | instskip(NEXT) | instid1(VALU_DEP_1)
	v_mul_lo_u32 v5, s18, v3
	v_mul_hi_u32 v5, v3, v5
	s_delay_alu instid0(VALU_DEP_1) | instskip(NEXT) | instid1(VALU_DEP_1)
	v_add_nc_u32_e32 v3, v3, v5
	v_mul_hi_u32 v3, v8, v3
	s_delay_alu instid0(VALU_DEP_1) | instskip(SKIP_1) | instid1(VALU_DEP_2)
	v_mul_lo_u32 v5, v3, s23
	v_add_nc_u32_e32 v6, 1, v3
	v_sub_nc_u32_e32 v5, v8, v5
	s_delay_alu instid0(VALU_DEP_1) | instskip(SKIP_1) | instid1(VALU_DEP_2)
	v_subrev_nc_u32_e32 v7, s23, v5
	v_cmp_le_u32_e32 vcc_lo, s23, v5
	v_cndmask_b32_e32 v5, v5, v7, vcc_lo
	v_mov_b32_e32 v7, v2
	v_cndmask_b32_e32 v3, v3, v6, vcc_lo
	s_delay_alu instid0(VALU_DEP_3) | instskip(NEXT) | instid1(VALU_DEP_2)
	v_cmp_le_u32_e32 vcc_lo, s23, v5
	v_add_nc_u32_e32 v6, 1, v3
	s_delay_alu instid0(VALU_DEP_1)
	v_cndmask_b32_e32 v6, v3, v6, vcc_lo
.LBB64_19:                              ;   in Loop: Header=BB64_15 Depth=2
	s_or_b32 exec_lo, exec_lo, s0
	s_add_u32 s16, s30, s16
	s_addc_u32 s17, s1, s17
	s_delay_alu instid0(VALU_DEP_1) | instskip(SKIP_4) | instid1(VALU_DEP_1)
	v_mul_lo_u32 v3, v6, s23
	s_load_b32 s0, s[16:17], 0x0
	s_add_i32 s22, s22, -1
	s_add_i32 s14, s14, -1
	s_cmp_lg_u32 s22, 0
	v_sub_nc_u32_e32 v3, v8, v3
	s_waitcnt lgkmcnt(0)
	s_delay_alu instid0(VALU_DEP_1) | instskip(NEXT) | instid1(VALU_DEP_1)
	v_mad_u64_u32 v[8:9], null, s0, v3, v[4:5]
	v_mov_b32_e32 v4, v8
	s_cbranch_scc0 .LBB64_22
; %bb.20:                               ;   in Loop: Header=BB64_15 Depth=2
	v_dual_mov_b32 v9, v7 :: v_dual_mov_b32 v8, v6
	s_branch .LBB64_15
.LBB64_21:                              ;   in Loop: Header=BB64_3 Depth=1
	s_mov_b32 s14, s31
.LBB64_22:                              ;   in Loop: Header=BB64_3 Depth=1
	s_and_not1_b32 vcc_lo, exec_lo, s36
	s_cbranch_vccnz .LBB64_58
; %bb.23:                               ;   in Loop: Header=BB64_3 Depth=1
	s_add_i32 s16, s14, -7
.LBB64_24:                              ;   Parent Loop BB64_3 Depth=1
                                        ; =>  This Inner Loop Header: Depth=2
	s_delay_alu instid0(SALU_CYCLE_1) | instskip(NEXT) | instid1(SALU_CYCLE_1)
	s_add_i32 s14, s16, 7
                                        ; implicit-def: $vgpr8_vgpr9
	s_lshl_b64 s[18:19], s[14:15], 2
	s_mov_b32 s14, exec_lo
	s_add_u32 s20, s26, s18
	s_addc_u32 s21, s27, s19
	s_load_b32 s41, s[20:21], 0x0
	s_waitcnt lgkmcnt(0)
	s_ashr_i32 s0, s41, 31
	s_delay_alu instid0(SALU_CYCLE_1) | instskip(NEXT) | instid1(VALU_DEP_1)
	v_or_b32_e32 v3, s0, v7
	v_cmpx_ne_u64_e32 0, v[2:3]
	s_xor_b32 s14, exec_lo, s14
	s_cbranch_execz .LBB64_26
; %bb.25:                               ;   in Loop: Header=BB64_24 Depth=2
	s_add_u32 s22, s41, s0
	s_mov_b32 s20, s0
	s_mov_b32 s21, s0
	s_addc_u32 s23, s0, s0
	s_delay_alu instid0(SALU_CYCLE_1) | instskip(NEXT) | instid1(SALU_CYCLE_1)
	s_xor_b64 s[22:23], s[22:23], s[20:21]
	v_cvt_f32_u32_e32 v3, s22
	v_cvt_f32_u32_e32 v5, s23
	s_sub_u32 s0, 0, s22
	s_subb_u32 s17, 0, s23
	s_delay_alu instid0(VALU_DEP_1) | instskip(NEXT) | instid1(VALU_DEP_1)
	v_fmac_f32_e32 v3, 0x4f800000, v5
	v_rcp_f32_e32 v3, v3
	s_waitcnt_depctr 0xfff
	v_mul_f32_e32 v3, 0x5f7ffffc, v3
	s_delay_alu instid0(VALU_DEP_1) | instskip(NEXT) | instid1(VALU_DEP_1)
	v_mul_f32_e32 v5, 0x2f800000, v3
	v_trunc_f32_e32 v5, v5
	s_delay_alu instid0(VALU_DEP_1) | instskip(SKIP_1) | instid1(VALU_DEP_2)
	v_fmac_f32_e32 v3, 0xcf800000, v5
	v_cvt_u32_f32_e32 v5, v5
	v_cvt_u32_f32_e32 v3, v3
	s_delay_alu instid0(VALU_DEP_2) | instskip(NEXT) | instid1(VALU_DEP_2)
	v_mul_lo_u32 v8, s0, v5
	v_mul_hi_u32 v9, s0, v3
	v_mul_lo_u32 v10, s17, v3
	s_delay_alu instid0(VALU_DEP_2) | instskip(SKIP_1) | instid1(VALU_DEP_2)
	v_add_nc_u32_e32 v8, v9, v8
	v_mul_lo_u32 v9, s0, v3
	v_add_nc_u32_e32 v8, v8, v10
	s_delay_alu instid0(VALU_DEP_2) | instskip(NEXT) | instid1(VALU_DEP_2)
	v_mul_hi_u32 v10, v3, v9
	v_mul_lo_u32 v11, v3, v8
	v_mul_hi_u32 v12, v3, v8
	v_mul_hi_u32 v13, v5, v9
	v_mul_lo_u32 v9, v5, v9
	v_mul_hi_u32 v14, v5, v8
	v_mul_lo_u32 v8, v5, v8
	v_add_co_u32 v10, vcc_lo, v10, v11
	v_add_co_ci_u32_e32 v11, vcc_lo, 0, v12, vcc_lo
	s_delay_alu instid0(VALU_DEP_2) | instskip(NEXT) | instid1(VALU_DEP_2)
	v_add_co_u32 v9, vcc_lo, v10, v9
	v_add_co_ci_u32_e32 v9, vcc_lo, v11, v13, vcc_lo
	v_add_co_ci_u32_e32 v10, vcc_lo, 0, v14, vcc_lo
	v_ashrrev_i32_e32 v13, 31, v7
	s_delay_alu instid0(VALU_DEP_3) | instskip(NEXT) | instid1(VALU_DEP_3)
	v_add_co_u32 v8, vcc_lo, v9, v8
	v_add_co_ci_u32_e32 v9, vcc_lo, 0, v10, vcc_lo
	s_delay_alu instid0(VALU_DEP_2) | instskip(NEXT) | instid1(VALU_DEP_2)
	v_add_co_u32 v3, vcc_lo, v3, v8
	v_add_co_ci_u32_e32 v5, vcc_lo, v5, v9, vcc_lo
	s_delay_alu instid0(VALU_DEP_2) | instskip(SKIP_1) | instid1(VALU_DEP_3)
	v_mul_hi_u32 v8, s0, v3
	v_mul_lo_u32 v10, s17, v3
	v_mul_lo_u32 v9, s0, v5
	s_delay_alu instid0(VALU_DEP_1) | instskip(SKIP_1) | instid1(VALU_DEP_2)
	v_add_nc_u32_e32 v8, v8, v9
	v_mul_lo_u32 v9, s0, v3
	v_add_nc_u32_e32 v8, v8, v10
	s_delay_alu instid0(VALU_DEP_2) | instskip(NEXT) | instid1(VALU_DEP_2)
	v_mul_hi_u32 v10, v3, v9
	v_mul_lo_u32 v11, v3, v8
	v_mul_hi_u32 v12, v3, v8
	v_mul_hi_u32 v14, v5, v9
	v_mul_lo_u32 v9, v5, v9
	v_mul_hi_u32 v15, v5, v8
	v_mul_lo_u32 v8, v5, v8
	v_add_co_u32 v10, vcc_lo, v10, v11
	v_add_co_ci_u32_e32 v11, vcc_lo, 0, v12, vcc_lo
	s_delay_alu instid0(VALU_DEP_2) | instskip(NEXT) | instid1(VALU_DEP_2)
	v_add_co_u32 v9, vcc_lo, v10, v9
	v_add_co_ci_u32_e32 v9, vcc_lo, v11, v14, vcc_lo
	v_add_co_ci_u32_e32 v10, vcc_lo, 0, v15, vcc_lo
	v_add_co_u32 v11, vcc_lo, v6, v13
	v_add_co_ci_u32_e32 v7, vcc_lo, v7, v13, vcc_lo
	s_delay_alu instid0(VALU_DEP_4) | instskip(NEXT) | instid1(VALU_DEP_4)
	v_add_co_u32 v8, vcc_lo, v9, v8
	v_add_co_ci_u32_e32 v9, vcc_lo, 0, v10, vcc_lo
	s_delay_alu instid0(VALU_DEP_4) | instskip(NEXT) | instid1(VALU_DEP_3)
	v_xor_b32_e32 v14, v11, v13
	v_add_co_u32 v3, vcc_lo, v3, v8
	s_delay_alu instid0(VALU_DEP_3) | instskip(SKIP_1) | instid1(VALU_DEP_3)
	v_add_co_ci_u32_e32 v5, vcc_lo, v5, v9, vcc_lo
	v_xor_b32_e32 v15, v7, v13
	v_mul_hi_u32 v16, v14, v3
	s_delay_alu instid0(VALU_DEP_3) | instskip(NEXT) | instid1(VALU_DEP_3)
	v_mad_u64_u32 v[7:8], null, v14, v5, 0
	v_mad_u64_u32 v[9:10], null, v15, v3, 0
	v_mad_u64_u32 v[11:12], null, v15, v5, 0
	s_delay_alu instid0(VALU_DEP_3) | instskip(NEXT) | instid1(VALU_DEP_4)
	v_add_co_u32 v3, vcc_lo, v16, v7
	v_add_co_ci_u32_e32 v5, vcc_lo, 0, v8, vcc_lo
	s_delay_alu instid0(VALU_DEP_2) | instskip(NEXT) | instid1(VALU_DEP_2)
	v_add_co_u32 v3, vcc_lo, v3, v9
	v_add_co_ci_u32_e32 v3, vcc_lo, v5, v10, vcc_lo
	v_add_co_ci_u32_e32 v5, vcc_lo, 0, v12, vcc_lo
	s_delay_alu instid0(VALU_DEP_2) | instskip(NEXT) | instid1(VALU_DEP_2)
	v_add_co_u32 v3, vcc_lo, v3, v11
	v_add_co_ci_u32_e32 v5, vcc_lo, 0, v5, vcc_lo
	s_delay_alu instid0(VALU_DEP_2) | instskip(SKIP_1) | instid1(VALU_DEP_3)
	v_mul_lo_u32 v9, s23, v3
	v_mad_u64_u32 v[7:8], null, s22, v3, 0
	v_mul_lo_u32 v10, s22, v5
	s_delay_alu instid0(VALU_DEP_2) | instskip(NEXT) | instid1(VALU_DEP_2)
	v_sub_co_u32 v7, vcc_lo, v14, v7
	v_add3_u32 v8, v8, v10, v9
	s_delay_alu instid0(VALU_DEP_1) | instskip(NEXT) | instid1(VALU_DEP_1)
	v_sub_nc_u32_e32 v9, v15, v8
	v_subrev_co_ci_u32_e64 v9, s0, s23, v9, vcc_lo
	v_add_co_u32 v10, s0, v3, 2
	s_delay_alu instid0(VALU_DEP_1) | instskip(SKIP_3) | instid1(VALU_DEP_3)
	v_add_co_ci_u32_e64 v11, s0, 0, v5, s0
	v_sub_co_u32 v12, s0, v7, s22
	v_sub_co_ci_u32_e32 v8, vcc_lo, v15, v8, vcc_lo
	v_subrev_co_ci_u32_e64 v9, s0, 0, v9, s0
	v_cmp_le_u32_e32 vcc_lo, s22, v12
	s_delay_alu instid0(VALU_DEP_3) | instskip(SKIP_1) | instid1(VALU_DEP_4)
	v_cmp_eq_u32_e64 s0, s23, v8
	v_cndmask_b32_e64 v12, 0, -1, vcc_lo
	v_cmp_le_u32_e32 vcc_lo, s23, v9
	v_cndmask_b32_e64 v14, 0, -1, vcc_lo
	v_cmp_le_u32_e32 vcc_lo, s22, v7
	;; [unrolled: 2-line block ×3, first 2 shown]
	v_cndmask_b32_e64 v15, 0, -1, vcc_lo
	v_cmp_eq_u32_e32 vcc_lo, s23, v9
	s_delay_alu instid0(VALU_DEP_2) | instskip(SKIP_3) | instid1(VALU_DEP_3)
	v_cndmask_b32_e64 v7, v15, v7, s0
	v_cndmask_b32_e32 v9, v14, v12, vcc_lo
	v_add_co_u32 v12, vcc_lo, v3, 1
	v_add_co_ci_u32_e32 v14, vcc_lo, 0, v5, vcc_lo
	v_cmp_ne_u32_e32 vcc_lo, 0, v9
	s_delay_alu instid0(VALU_DEP_2) | instskip(SKIP_2) | instid1(VALU_DEP_3)
	v_dual_cndmask_b32 v8, v14, v11 :: v_dual_cndmask_b32 v9, v12, v10
	v_cmp_ne_u32_e32 vcc_lo, 0, v7
	v_xor_b32_e32 v7, s20, v13
	v_cndmask_b32_e32 v3, v3, v9, vcc_lo
	s_delay_alu instid0(VALU_DEP_4) | instskip(SKIP_1) | instid1(VALU_DEP_3)
	v_cndmask_b32_e32 v5, v5, v8, vcc_lo
	v_xor_b32_e32 v9, s21, v13
	v_xor_b32_e32 v3, v3, v7
	s_delay_alu instid0(VALU_DEP_2) | instskip(NEXT) | instid1(VALU_DEP_2)
	v_xor_b32_e32 v5, v5, v9
	v_sub_co_u32 v8, vcc_lo, v3, v7
	s_delay_alu instid0(VALU_DEP_2)
	v_sub_co_ci_u32_e32 v9, vcc_lo, v5, v9, vcc_lo
.LBB64_26:                              ;   in Loop: Header=BB64_24 Depth=2
	s_and_not1_saveexec_b32 s0, s14
	s_cbranch_execz .LBB64_28
; %bb.27:                               ;   in Loop: Header=BB64_24 Depth=2
	v_cvt_f32_u32_e32 v3, s41
	s_sub_i32 s14, 0, s41
	v_mov_b32_e32 v9, v2
	s_delay_alu instid0(VALU_DEP_2) | instskip(SKIP_2) | instid1(VALU_DEP_1)
	v_rcp_iflag_f32_e32 v3, v3
	s_waitcnt_depctr 0xfff
	v_mul_f32_e32 v3, 0x4f7ffffe, v3
	v_cvt_u32_f32_e32 v3, v3
	s_delay_alu instid0(VALU_DEP_1) | instskip(NEXT) | instid1(VALU_DEP_1)
	v_mul_lo_u32 v5, s14, v3
	v_mul_hi_u32 v5, v3, v5
	s_delay_alu instid0(VALU_DEP_1) | instskip(NEXT) | instid1(VALU_DEP_1)
	v_add_nc_u32_e32 v3, v3, v5
	v_mul_hi_u32 v3, v6, v3
	s_delay_alu instid0(VALU_DEP_1) | instskip(SKIP_1) | instid1(VALU_DEP_2)
	v_mul_lo_u32 v5, v3, s41
	v_add_nc_u32_e32 v7, 1, v3
	v_sub_nc_u32_e32 v5, v6, v5
	s_delay_alu instid0(VALU_DEP_1) | instskip(SKIP_1) | instid1(VALU_DEP_4)
	v_cmp_le_u32_e32 vcc_lo, s41, v5
	v_subrev_nc_u32_e32 v8, s41, v5
	v_cndmask_b32_e32 v3, v3, v7, vcc_lo
	s_delay_alu instid0(VALU_DEP_1) | instskip(NEXT) | instid1(VALU_DEP_3)
	v_add_nc_u32_e32 v7, 1, v3
	v_cndmask_b32_e32 v5, v5, v8, vcc_lo
	s_delay_alu instid0(VALU_DEP_1) | instskip(NEXT) | instid1(VALU_DEP_3)
	v_cmp_le_u32_e32 vcc_lo, s41, v5
	v_cndmask_b32_e32 v8, v3, v7, vcc_lo
.LBB64_28:                              ;   in Loop: Header=BB64_24 Depth=2
	s_or_b32 exec_lo, exec_lo, s0
	s_add_u32 s20, s30, s18
	s_addc_u32 s21, s1, s19
	s_add_i32 s14, s16, 6
                                        ; implicit-def: $vgpr10_vgpr11
	s_delay_alu instid0(SALU_CYCLE_1)
	s_lshl_b64 s[18:19], s[14:15], 2
	s_mov_b32 s14, exec_lo
	s_add_u32 s22, s26, s18
	s_addc_u32 s23, s27, s19
	s_clause 0x1
	s_load_b32 s43, s[22:23], 0x0
	s_load_b32 s42, s[20:21], 0x0
	s_waitcnt lgkmcnt(0)
	s_ashr_i32 s0, s43, 31
	s_delay_alu instid0(SALU_CYCLE_1) | instskip(NEXT) | instid1(VALU_DEP_1)
	v_or_b32_e32 v3, s0, v9
	v_cmpx_ne_u64_e32 0, v[2:3]
	s_xor_b32 s14, exec_lo, s14
	s_cbranch_execz .LBB64_30
; %bb.29:                               ;   in Loop: Header=BB64_24 Depth=2
	s_add_u32 s22, s43, s0
	s_mov_b32 s20, s0
	s_mov_b32 s21, s0
	s_addc_u32 s23, s0, s0
	s_delay_alu instid0(SALU_CYCLE_1) | instskip(NEXT) | instid1(SALU_CYCLE_1)
	s_xor_b64 s[22:23], s[22:23], s[20:21]
	v_cvt_f32_u32_e32 v3, s22
	v_cvt_f32_u32_e32 v5, s23
	s_sub_u32 s0, 0, s22
	s_subb_u32 s17, 0, s23
	s_delay_alu instid0(VALU_DEP_1) | instskip(NEXT) | instid1(VALU_DEP_1)
	v_fmac_f32_e32 v3, 0x4f800000, v5
	v_rcp_f32_e32 v3, v3
	s_waitcnt_depctr 0xfff
	v_mul_f32_e32 v3, 0x5f7ffffc, v3
	s_delay_alu instid0(VALU_DEP_1) | instskip(NEXT) | instid1(VALU_DEP_1)
	v_mul_f32_e32 v5, 0x2f800000, v3
	v_trunc_f32_e32 v5, v5
	s_delay_alu instid0(VALU_DEP_1) | instskip(SKIP_1) | instid1(VALU_DEP_2)
	v_fmac_f32_e32 v3, 0xcf800000, v5
	v_cvt_u32_f32_e32 v5, v5
	v_cvt_u32_f32_e32 v3, v3
	s_delay_alu instid0(VALU_DEP_2) | instskip(NEXT) | instid1(VALU_DEP_2)
	v_mul_lo_u32 v7, s0, v5
	v_mul_hi_u32 v10, s0, v3
	v_mul_lo_u32 v11, s17, v3
	s_delay_alu instid0(VALU_DEP_2) | instskip(SKIP_1) | instid1(VALU_DEP_2)
	v_add_nc_u32_e32 v7, v10, v7
	v_mul_lo_u32 v10, s0, v3
	v_add_nc_u32_e32 v7, v7, v11
	s_delay_alu instid0(VALU_DEP_2) | instskip(NEXT) | instid1(VALU_DEP_2)
	v_mul_hi_u32 v11, v3, v10
	v_mul_lo_u32 v12, v3, v7
	v_mul_hi_u32 v13, v3, v7
	v_mul_hi_u32 v14, v5, v10
	v_mul_lo_u32 v10, v5, v10
	v_mul_hi_u32 v15, v5, v7
	v_mul_lo_u32 v7, v5, v7
	v_add_co_u32 v11, vcc_lo, v11, v12
	v_add_co_ci_u32_e32 v12, vcc_lo, 0, v13, vcc_lo
	s_delay_alu instid0(VALU_DEP_2) | instskip(NEXT) | instid1(VALU_DEP_2)
	v_add_co_u32 v10, vcc_lo, v11, v10
	v_add_co_ci_u32_e32 v10, vcc_lo, v12, v14, vcc_lo
	v_add_co_ci_u32_e32 v11, vcc_lo, 0, v15, vcc_lo
	v_ashrrev_i32_e32 v15, 31, v9
	s_delay_alu instid0(VALU_DEP_3) | instskip(NEXT) | instid1(VALU_DEP_3)
	v_add_co_u32 v7, vcc_lo, v10, v7
	v_add_co_ci_u32_e32 v10, vcc_lo, 0, v11, vcc_lo
	s_delay_alu instid0(VALU_DEP_2) | instskip(NEXT) | instid1(VALU_DEP_2)
	v_add_co_u32 v3, vcc_lo, v3, v7
	v_add_co_ci_u32_e32 v5, vcc_lo, v5, v10, vcc_lo
	s_delay_alu instid0(VALU_DEP_2) | instskip(SKIP_1) | instid1(VALU_DEP_3)
	v_mul_hi_u32 v7, s0, v3
	v_mul_lo_u32 v11, s17, v3
	v_mul_lo_u32 v10, s0, v5
	s_delay_alu instid0(VALU_DEP_1) | instskip(SKIP_1) | instid1(VALU_DEP_2)
	v_add_nc_u32_e32 v7, v7, v10
	v_mul_lo_u32 v10, s0, v3
	v_add_nc_u32_e32 v7, v7, v11
	s_delay_alu instid0(VALU_DEP_2) | instskip(NEXT) | instid1(VALU_DEP_2)
	v_mul_hi_u32 v11, v3, v10
	v_mul_lo_u32 v12, v3, v7
	v_mul_hi_u32 v13, v3, v7
	v_mul_hi_u32 v14, v5, v10
	v_mul_lo_u32 v10, v5, v10
	v_mul_hi_u32 v16, v5, v7
	v_mul_lo_u32 v7, v5, v7
	v_add_co_u32 v11, vcc_lo, v11, v12
	v_add_co_ci_u32_e32 v12, vcc_lo, 0, v13, vcc_lo
	s_delay_alu instid0(VALU_DEP_2) | instskip(NEXT) | instid1(VALU_DEP_2)
	v_add_co_u32 v10, vcc_lo, v11, v10
	v_add_co_ci_u32_e32 v10, vcc_lo, v12, v14, vcc_lo
	v_add_co_ci_u32_e32 v11, vcc_lo, 0, v16, vcc_lo
	v_add_co_u32 v12, vcc_lo, v8, v15
	v_add_co_ci_u32_e32 v9, vcc_lo, v9, v15, vcc_lo
	s_delay_alu instid0(VALU_DEP_4) | instskip(NEXT) | instid1(VALU_DEP_4)
	v_add_co_u32 v7, vcc_lo, v10, v7
	v_add_co_ci_u32_e32 v10, vcc_lo, 0, v11, vcc_lo
	s_delay_alu instid0(VALU_DEP_4) | instskip(NEXT) | instid1(VALU_DEP_3)
	v_xor_b32_e32 v16, v12, v15
	v_add_co_u32 v3, vcc_lo, v3, v7
	s_delay_alu instid0(VALU_DEP_3) | instskip(SKIP_1) | instid1(VALU_DEP_3)
	v_add_co_ci_u32_e32 v5, vcc_lo, v5, v10, vcc_lo
	v_xor_b32_e32 v7, v9, v15
	v_mul_hi_u32 v17, v16, v3
	s_delay_alu instid0(VALU_DEP_3) | instskip(NEXT) | instid1(VALU_DEP_3)
	v_mad_u64_u32 v[9:10], null, v16, v5, 0
	v_mad_u64_u32 v[11:12], null, v7, v3, 0
	;; [unrolled: 1-line block ×3, first 2 shown]
	s_delay_alu instid0(VALU_DEP_3) | instskip(NEXT) | instid1(VALU_DEP_4)
	v_add_co_u32 v3, vcc_lo, v17, v9
	v_add_co_ci_u32_e32 v5, vcc_lo, 0, v10, vcc_lo
	s_delay_alu instid0(VALU_DEP_2) | instskip(NEXT) | instid1(VALU_DEP_2)
	v_add_co_u32 v3, vcc_lo, v3, v11
	v_add_co_ci_u32_e32 v3, vcc_lo, v5, v12, vcc_lo
	v_add_co_ci_u32_e32 v5, vcc_lo, 0, v14, vcc_lo
	s_delay_alu instid0(VALU_DEP_2) | instskip(NEXT) | instid1(VALU_DEP_2)
	v_add_co_u32 v3, vcc_lo, v3, v13
	v_add_co_ci_u32_e32 v5, vcc_lo, 0, v5, vcc_lo
	s_delay_alu instid0(VALU_DEP_2) | instskip(SKIP_1) | instid1(VALU_DEP_3)
	v_mul_lo_u32 v11, s23, v3
	v_mad_u64_u32 v[9:10], null, s22, v3, 0
	v_mul_lo_u32 v12, s22, v5
	s_delay_alu instid0(VALU_DEP_2) | instskip(NEXT) | instid1(VALU_DEP_2)
	v_sub_co_u32 v9, vcc_lo, v16, v9
	v_add3_u32 v10, v10, v12, v11
	s_delay_alu instid0(VALU_DEP_1) | instskip(NEXT) | instid1(VALU_DEP_1)
	v_sub_nc_u32_e32 v11, v7, v10
	v_subrev_co_ci_u32_e64 v11, s0, s23, v11, vcc_lo
	v_add_co_u32 v12, s0, v3, 2
	s_delay_alu instid0(VALU_DEP_1) | instskip(SKIP_3) | instid1(VALU_DEP_3)
	v_add_co_ci_u32_e64 v13, s0, 0, v5, s0
	v_sub_co_u32 v14, s0, v9, s22
	v_sub_co_ci_u32_e32 v7, vcc_lo, v7, v10, vcc_lo
	v_subrev_co_ci_u32_e64 v11, s0, 0, v11, s0
	v_cmp_le_u32_e32 vcc_lo, s22, v14
	s_delay_alu instid0(VALU_DEP_3) | instskip(SKIP_1) | instid1(VALU_DEP_4)
	v_cmp_eq_u32_e64 s0, s23, v7
	v_cndmask_b32_e64 v10, 0, -1, vcc_lo
	v_cmp_le_u32_e32 vcc_lo, s23, v11
	v_cndmask_b32_e64 v14, 0, -1, vcc_lo
	v_cmp_le_u32_e32 vcc_lo, s22, v9
	;; [unrolled: 2-line block ×3, first 2 shown]
	v_cndmask_b32_e64 v16, 0, -1, vcc_lo
	v_cmp_eq_u32_e32 vcc_lo, s23, v11
	s_delay_alu instid0(VALU_DEP_2) | instskip(SKIP_3) | instid1(VALU_DEP_3)
	v_cndmask_b32_e64 v7, v16, v9, s0
	v_cndmask_b32_e32 v10, v14, v10, vcc_lo
	v_add_co_u32 v11, vcc_lo, v3, 1
	v_add_co_ci_u32_e32 v14, vcc_lo, 0, v5, vcc_lo
	v_cmp_ne_u32_e32 vcc_lo, 0, v10
	s_delay_alu instid0(VALU_DEP_2) | instskip(SKIP_2) | instid1(VALU_DEP_3)
	v_dual_cndmask_b32 v10, v11, v12 :: v_dual_cndmask_b32 v9, v14, v13
	v_cmp_ne_u32_e32 vcc_lo, 0, v7
	v_xor_b32_e32 v7, s20, v15
	v_cndmask_b32_e32 v3, v3, v10, vcc_lo
	s_delay_alu instid0(VALU_DEP_4) | instskip(SKIP_1) | instid1(VALU_DEP_3)
	v_cndmask_b32_e32 v5, v5, v9, vcc_lo
	v_xor_b32_e32 v9, s21, v15
	v_xor_b32_e32 v3, v3, v7
	s_delay_alu instid0(VALU_DEP_2) | instskip(NEXT) | instid1(VALU_DEP_2)
	v_xor_b32_e32 v5, v5, v9
	v_sub_co_u32 v10, vcc_lo, v3, v7
	s_delay_alu instid0(VALU_DEP_2)
	v_sub_co_ci_u32_e32 v11, vcc_lo, v5, v9, vcc_lo
.LBB64_30:                              ;   in Loop: Header=BB64_24 Depth=2
	s_and_not1_saveexec_b32 s0, s14
	s_cbranch_execz .LBB64_32
; %bb.31:                               ;   in Loop: Header=BB64_24 Depth=2
	v_cvt_f32_u32_e32 v3, s43
	s_sub_i32 s14, 0, s43
	v_mov_b32_e32 v11, v2
	s_delay_alu instid0(VALU_DEP_2) | instskip(SKIP_2) | instid1(VALU_DEP_1)
	v_rcp_iflag_f32_e32 v3, v3
	s_waitcnt_depctr 0xfff
	v_mul_f32_e32 v3, 0x4f7ffffe, v3
	v_cvt_u32_f32_e32 v3, v3
	s_delay_alu instid0(VALU_DEP_1) | instskip(NEXT) | instid1(VALU_DEP_1)
	v_mul_lo_u32 v5, s14, v3
	v_mul_hi_u32 v5, v3, v5
	s_delay_alu instid0(VALU_DEP_1) | instskip(NEXT) | instid1(VALU_DEP_1)
	v_add_nc_u32_e32 v3, v3, v5
	v_mul_hi_u32 v3, v8, v3
	s_delay_alu instid0(VALU_DEP_1) | instskip(SKIP_1) | instid1(VALU_DEP_2)
	v_mul_lo_u32 v5, v3, s43
	v_add_nc_u32_e32 v7, 1, v3
	v_sub_nc_u32_e32 v5, v8, v5
	s_delay_alu instid0(VALU_DEP_1) | instskip(SKIP_1) | instid1(VALU_DEP_4)
	v_cmp_le_u32_e32 vcc_lo, s43, v5
	v_subrev_nc_u32_e32 v9, s43, v5
	v_cndmask_b32_e32 v3, v3, v7, vcc_lo
	s_delay_alu instid0(VALU_DEP_1) | instskip(NEXT) | instid1(VALU_DEP_3)
	v_add_nc_u32_e32 v7, 1, v3
	v_cndmask_b32_e32 v5, v5, v9, vcc_lo
	s_delay_alu instid0(VALU_DEP_1) | instskip(NEXT) | instid1(VALU_DEP_3)
	v_cmp_le_u32_e32 vcc_lo, s43, v5
	v_cndmask_b32_e32 v10, v3, v7, vcc_lo
.LBB64_32:                              ;   in Loop: Header=BB64_24 Depth=2
	s_or_b32 exec_lo, exec_lo, s0
	s_add_u32 s20, s30, s18
	s_addc_u32 s21, s1, s19
	s_add_i32 s14, s16, 5
                                        ; implicit-def: $vgpr12_vgpr13
	s_delay_alu instid0(SALU_CYCLE_1)
	s_lshl_b64 s[18:19], s[14:15], 2
	s_mov_b32 s14, exec_lo
	s_add_u32 s22, s26, s18
	s_addc_u32 s23, s27, s19
	s_clause 0x1
	s_load_b32 s45, s[22:23], 0x0
	s_load_b32 s44, s[20:21], 0x0
	s_waitcnt lgkmcnt(0)
	s_ashr_i32 s0, s45, 31
	s_delay_alu instid0(SALU_CYCLE_1) | instskip(NEXT) | instid1(VALU_DEP_1)
	v_or_b32_e32 v3, s0, v11
	v_cmpx_ne_u64_e32 0, v[2:3]
	s_xor_b32 s14, exec_lo, s14
	s_cbranch_execz .LBB64_34
; %bb.33:                               ;   in Loop: Header=BB64_24 Depth=2
	s_add_u32 s22, s45, s0
	s_mov_b32 s20, s0
	s_mov_b32 s21, s0
	s_addc_u32 s23, s0, s0
	v_ashrrev_i32_e32 v17, 31, v11
	s_xor_b64 s[22:23], s[22:23], s[20:21]
	s_delay_alu instid0(SALU_CYCLE_1) | instskip(SKIP_3) | instid1(VALU_DEP_1)
	v_cvt_f32_u32_e32 v3, s22
	v_cvt_f32_u32_e32 v5, s23
	s_sub_u32 s0, 0, s22
	s_subb_u32 s17, 0, s23
	v_fmac_f32_e32 v3, 0x4f800000, v5
	s_delay_alu instid0(VALU_DEP_1) | instskip(SKIP_2) | instid1(VALU_DEP_1)
	v_rcp_f32_e32 v3, v3
	s_waitcnt_depctr 0xfff
	v_mul_f32_e32 v3, 0x5f7ffffc, v3
	v_mul_f32_e32 v5, 0x2f800000, v3
	s_delay_alu instid0(VALU_DEP_1) | instskip(NEXT) | instid1(VALU_DEP_1)
	v_trunc_f32_e32 v5, v5
	v_fmac_f32_e32 v3, 0xcf800000, v5
	v_cvt_u32_f32_e32 v5, v5
	s_delay_alu instid0(VALU_DEP_2) | instskip(NEXT) | instid1(VALU_DEP_2)
	v_cvt_u32_f32_e32 v3, v3
	v_mul_lo_u32 v7, s0, v5
	s_delay_alu instid0(VALU_DEP_2) | instskip(SKIP_1) | instid1(VALU_DEP_2)
	v_mul_hi_u32 v9, s0, v3
	v_mul_lo_u32 v12, s17, v3
	v_add_nc_u32_e32 v7, v9, v7
	v_mul_lo_u32 v9, s0, v3
	s_delay_alu instid0(VALU_DEP_2) | instskip(NEXT) | instid1(VALU_DEP_2)
	v_add_nc_u32_e32 v7, v7, v12
	v_mul_hi_u32 v12, v3, v9
	s_delay_alu instid0(VALU_DEP_2)
	v_mul_lo_u32 v13, v3, v7
	v_mul_hi_u32 v14, v3, v7
	v_mul_hi_u32 v15, v5, v9
	v_mul_lo_u32 v9, v5, v9
	v_mul_hi_u32 v16, v5, v7
	v_mul_lo_u32 v7, v5, v7
	v_add_co_u32 v12, vcc_lo, v12, v13
	v_add_co_ci_u32_e32 v13, vcc_lo, 0, v14, vcc_lo
	s_delay_alu instid0(VALU_DEP_2) | instskip(NEXT) | instid1(VALU_DEP_2)
	v_add_co_u32 v9, vcc_lo, v12, v9
	v_add_co_ci_u32_e32 v9, vcc_lo, v13, v15, vcc_lo
	v_add_co_ci_u32_e32 v12, vcc_lo, 0, v16, vcc_lo
	s_delay_alu instid0(VALU_DEP_2) | instskip(NEXT) | instid1(VALU_DEP_2)
	v_add_co_u32 v7, vcc_lo, v9, v7
	v_add_co_ci_u32_e32 v9, vcc_lo, 0, v12, vcc_lo
	s_delay_alu instid0(VALU_DEP_2) | instskip(NEXT) | instid1(VALU_DEP_2)
	v_add_co_u32 v3, vcc_lo, v3, v7
	v_add_co_ci_u32_e32 v5, vcc_lo, v5, v9, vcc_lo
	s_delay_alu instid0(VALU_DEP_2) | instskip(SKIP_1) | instid1(VALU_DEP_3)
	v_mul_hi_u32 v7, s0, v3
	v_mul_lo_u32 v12, s17, v3
	v_mul_lo_u32 v9, s0, v5
	s_delay_alu instid0(VALU_DEP_1) | instskip(SKIP_1) | instid1(VALU_DEP_2)
	v_add_nc_u32_e32 v7, v7, v9
	v_mul_lo_u32 v9, s0, v3
	v_add_nc_u32_e32 v7, v7, v12
	s_delay_alu instid0(VALU_DEP_2) | instskip(NEXT) | instid1(VALU_DEP_2)
	v_mul_hi_u32 v12, v3, v9
	v_mul_lo_u32 v13, v3, v7
	v_mul_hi_u32 v14, v3, v7
	v_mul_hi_u32 v15, v5, v9
	v_mul_lo_u32 v9, v5, v9
	v_mul_hi_u32 v16, v5, v7
	v_mul_lo_u32 v7, v5, v7
	v_add_co_u32 v12, vcc_lo, v12, v13
	v_add_co_ci_u32_e32 v13, vcc_lo, 0, v14, vcc_lo
	s_delay_alu instid0(VALU_DEP_2) | instskip(NEXT) | instid1(VALU_DEP_2)
	v_add_co_u32 v9, vcc_lo, v12, v9
	v_add_co_ci_u32_e32 v9, vcc_lo, v13, v15, vcc_lo
	v_add_co_ci_u32_e32 v12, vcc_lo, 0, v16, vcc_lo
	v_add_co_u32 v13, vcc_lo, v10, v17
	v_add_co_ci_u32_e32 v11, vcc_lo, v11, v17, vcc_lo
	s_delay_alu instid0(VALU_DEP_4) | instskip(NEXT) | instid1(VALU_DEP_4)
	v_add_co_u32 v7, vcc_lo, v9, v7
	v_add_co_ci_u32_e32 v9, vcc_lo, 0, v12, vcc_lo
	s_delay_alu instid0(VALU_DEP_4) | instskip(NEXT) | instid1(VALU_DEP_3)
	v_xor_b32_e32 v18, v13, v17
	v_add_co_u32 v3, vcc_lo, v3, v7
	s_delay_alu instid0(VALU_DEP_3) | instskip(SKIP_1) | instid1(VALU_DEP_3)
	v_add_co_ci_u32_e32 v5, vcc_lo, v5, v9, vcc_lo
	v_xor_b32_e32 v7, v11, v17
	v_mul_hi_u32 v9, v18, v3
	s_delay_alu instid0(VALU_DEP_3) | instskip(NEXT) | instid1(VALU_DEP_3)
	v_mad_u64_u32 v[11:12], null, v18, v5, 0
	v_mad_u64_u32 v[13:14], null, v7, v3, 0
	;; [unrolled: 1-line block ×3, first 2 shown]
	s_delay_alu instid0(VALU_DEP_3) | instskip(NEXT) | instid1(VALU_DEP_4)
	v_add_co_u32 v3, vcc_lo, v9, v11
	v_add_co_ci_u32_e32 v5, vcc_lo, 0, v12, vcc_lo
	s_delay_alu instid0(VALU_DEP_2) | instskip(NEXT) | instid1(VALU_DEP_2)
	v_add_co_u32 v3, vcc_lo, v3, v13
	v_add_co_ci_u32_e32 v3, vcc_lo, v5, v14, vcc_lo
	v_add_co_ci_u32_e32 v5, vcc_lo, 0, v16, vcc_lo
	s_delay_alu instid0(VALU_DEP_2) | instskip(NEXT) | instid1(VALU_DEP_2)
	v_add_co_u32 v3, vcc_lo, v3, v15
	v_add_co_ci_u32_e32 v5, vcc_lo, 0, v5, vcc_lo
	s_delay_alu instid0(VALU_DEP_2) | instskip(SKIP_1) | instid1(VALU_DEP_3)
	v_mul_lo_u32 v9, s23, v3
	v_mad_u64_u32 v[11:12], null, s22, v3, 0
	v_mul_lo_u32 v13, s22, v5
	s_delay_alu instid0(VALU_DEP_2) | instskip(NEXT) | instid1(VALU_DEP_2)
	v_sub_co_u32 v11, vcc_lo, v18, v11
	v_add3_u32 v9, v12, v13, v9
	s_delay_alu instid0(VALU_DEP_1) | instskip(NEXT) | instid1(VALU_DEP_1)
	v_sub_nc_u32_e32 v12, v7, v9
	v_subrev_co_ci_u32_e64 v12, s0, s23, v12, vcc_lo
	v_add_co_u32 v13, s0, v3, 2
	s_delay_alu instid0(VALU_DEP_1) | instskip(SKIP_3) | instid1(VALU_DEP_3)
	v_add_co_ci_u32_e64 v14, s0, 0, v5, s0
	v_sub_co_u32 v15, s0, v11, s22
	v_sub_co_ci_u32_e32 v7, vcc_lo, v7, v9, vcc_lo
	v_subrev_co_ci_u32_e64 v12, s0, 0, v12, s0
	v_cmp_le_u32_e32 vcc_lo, s22, v15
	s_delay_alu instid0(VALU_DEP_3) | instskip(SKIP_1) | instid1(VALU_DEP_4)
	v_cmp_eq_u32_e64 s0, s23, v7
	v_cndmask_b32_e64 v9, 0, -1, vcc_lo
	v_cmp_le_u32_e32 vcc_lo, s23, v12
	v_cndmask_b32_e64 v15, 0, -1, vcc_lo
	v_cmp_le_u32_e32 vcc_lo, s22, v11
	;; [unrolled: 2-line block ×3, first 2 shown]
	v_cndmask_b32_e64 v16, 0, -1, vcc_lo
	v_cmp_eq_u32_e32 vcc_lo, s23, v12
	s_delay_alu instid0(VALU_DEP_2) | instskip(SKIP_3) | instid1(VALU_DEP_3)
	v_cndmask_b32_e64 v7, v16, v11, s0
	v_cndmask_b32_e32 v9, v15, v9, vcc_lo
	v_add_co_u32 v12, vcc_lo, v3, 1
	v_add_co_ci_u32_e32 v15, vcc_lo, 0, v5, vcc_lo
	v_cmp_ne_u32_e32 vcc_lo, 0, v9
	s_delay_alu instid0(VALU_DEP_2) | instskip(NEXT) | instid1(VALU_DEP_4)
	v_cndmask_b32_e32 v9, v15, v14, vcc_lo
	v_cndmask_b32_e32 v11, v12, v13, vcc_lo
	v_cmp_ne_u32_e32 vcc_lo, 0, v7
	v_xor_b32_e32 v7, s20, v17
	s_delay_alu instid0(VALU_DEP_3) | instskip(SKIP_2) | instid1(VALU_DEP_3)
	v_cndmask_b32_e32 v3, v3, v11, vcc_lo
	v_cndmask_b32_e32 v5, v5, v9, vcc_lo
	v_xor_b32_e32 v9, s21, v17
	v_xor_b32_e32 v3, v3, v7
	s_delay_alu instid0(VALU_DEP_2) | instskip(NEXT) | instid1(VALU_DEP_2)
	v_xor_b32_e32 v5, v5, v9
	v_sub_co_u32 v12, vcc_lo, v3, v7
	s_delay_alu instid0(VALU_DEP_2)
	v_sub_co_ci_u32_e32 v13, vcc_lo, v5, v9, vcc_lo
.LBB64_34:                              ;   in Loop: Header=BB64_24 Depth=2
	s_and_not1_saveexec_b32 s0, s14
	s_cbranch_execz .LBB64_36
; %bb.35:                               ;   in Loop: Header=BB64_24 Depth=2
	v_cvt_f32_u32_e32 v3, s45
	s_sub_i32 s14, 0, s45
	v_mov_b32_e32 v13, v2
	s_delay_alu instid0(VALU_DEP_2) | instskip(SKIP_2) | instid1(VALU_DEP_1)
	v_rcp_iflag_f32_e32 v3, v3
	s_waitcnt_depctr 0xfff
	v_mul_f32_e32 v3, 0x4f7ffffe, v3
	v_cvt_u32_f32_e32 v3, v3
	s_delay_alu instid0(VALU_DEP_1) | instskip(NEXT) | instid1(VALU_DEP_1)
	v_mul_lo_u32 v5, s14, v3
	v_mul_hi_u32 v5, v3, v5
	s_delay_alu instid0(VALU_DEP_1) | instskip(NEXT) | instid1(VALU_DEP_1)
	v_add_nc_u32_e32 v3, v3, v5
	v_mul_hi_u32 v3, v10, v3
	s_delay_alu instid0(VALU_DEP_1) | instskip(SKIP_1) | instid1(VALU_DEP_2)
	v_mul_lo_u32 v5, v3, s45
	v_add_nc_u32_e32 v7, 1, v3
	v_sub_nc_u32_e32 v5, v10, v5
	s_delay_alu instid0(VALU_DEP_1) | instskip(SKIP_1) | instid1(VALU_DEP_4)
	v_cmp_le_u32_e32 vcc_lo, s45, v5
	v_subrev_nc_u32_e32 v9, s45, v5
	v_cndmask_b32_e32 v3, v3, v7, vcc_lo
	s_delay_alu instid0(VALU_DEP_1) | instskip(NEXT) | instid1(VALU_DEP_3)
	v_add_nc_u32_e32 v7, 1, v3
	v_cndmask_b32_e32 v5, v5, v9, vcc_lo
	s_delay_alu instid0(VALU_DEP_1) | instskip(NEXT) | instid1(VALU_DEP_3)
	v_cmp_le_u32_e32 vcc_lo, s45, v5
	v_cndmask_b32_e32 v12, v3, v7, vcc_lo
.LBB64_36:                              ;   in Loop: Header=BB64_24 Depth=2
	s_or_b32 exec_lo, exec_lo, s0
	s_add_u32 s20, s30, s18
	s_addc_u32 s21, s1, s19
	s_add_i32 s14, s16, 4
                                        ; implicit-def: $vgpr14_vgpr15
	s_delay_alu instid0(SALU_CYCLE_1)
	s_lshl_b64 s[18:19], s[14:15], 2
	s_mov_b32 s14, exec_lo
	s_add_u32 s22, s26, s18
	s_addc_u32 s23, s27, s19
	s_clause 0x1
	s_load_b32 s47, s[22:23], 0x0
	s_load_b32 s46, s[20:21], 0x0
	s_waitcnt lgkmcnt(0)
	s_ashr_i32 s0, s47, 31
	s_delay_alu instid0(SALU_CYCLE_1) | instskip(NEXT) | instid1(VALU_DEP_1)
	v_or_b32_e32 v3, s0, v13
	v_cmpx_ne_u64_e32 0, v[2:3]
	s_xor_b32 s14, exec_lo, s14
	s_cbranch_execz .LBB64_38
; %bb.37:                               ;   in Loop: Header=BB64_24 Depth=2
	s_add_u32 s22, s47, s0
	s_mov_b32 s20, s0
	s_mov_b32 s21, s0
	s_addc_u32 s23, s0, s0
	v_ashrrev_i32_e32 v19, 31, v13
	s_xor_b64 s[22:23], s[22:23], s[20:21]
	s_delay_alu instid0(SALU_CYCLE_1) | instskip(SKIP_3) | instid1(VALU_DEP_1)
	v_cvt_f32_u32_e32 v3, s22
	v_cvt_f32_u32_e32 v5, s23
	s_sub_u32 s0, 0, s22
	s_subb_u32 s17, 0, s23
	v_fmac_f32_e32 v3, 0x4f800000, v5
	s_delay_alu instid0(VALU_DEP_1) | instskip(SKIP_2) | instid1(VALU_DEP_1)
	v_rcp_f32_e32 v3, v3
	s_waitcnt_depctr 0xfff
	v_mul_f32_e32 v3, 0x5f7ffffc, v3
	v_mul_f32_e32 v5, 0x2f800000, v3
	s_delay_alu instid0(VALU_DEP_1) | instskip(NEXT) | instid1(VALU_DEP_1)
	v_trunc_f32_e32 v5, v5
	v_fmac_f32_e32 v3, 0xcf800000, v5
	v_cvt_u32_f32_e32 v5, v5
	s_delay_alu instid0(VALU_DEP_2) | instskip(NEXT) | instid1(VALU_DEP_2)
	v_cvt_u32_f32_e32 v3, v3
	v_mul_lo_u32 v7, s0, v5
	s_delay_alu instid0(VALU_DEP_2) | instskip(SKIP_1) | instid1(VALU_DEP_2)
	v_mul_hi_u32 v9, s0, v3
	v_mul_lo_u32 v11, s17, v3
	v_add_nc_u32_e32 v7, v9, v7
	v_mul_lo_u32 v9, s0, v3
	s_delay_alu instid0(VALU_DEP_2) | instskip(NEXT) | instid1(VALU_DEP_2)
	v_add_nc_u32_e32 v7, v7, v11
	v_mul_hi_u32 v11, v3, v9
	s_delay_alu instid0(VALU_DEP_2)
	v_mul_lo_u32 v14, v3, v7
	v_mul_hi_u32 v15, v3, v7
	v_mul_hi_u32 v16, v5, v9
	v_mul_lo_u32 v9, v5, v9
	v_mul_hi_u32 v17, v5, v7
	v_mul_lo_u32 v7, v5, v7
	v_add_co_u32 v11, vcc_lo, v11, v14
	v_add_co_ci_u32_e32 v14, vcc_lo, 0, v15, vcc_lo
	s_delay_alu instid0(VALU_DEP_2) | instskip(NEXT) | instid1(VALU_DEP_2)
	v_add_co_u32 v9, vcc_lo, v11, v9
	v_add_co_ci_u32_e32 v9, vcc_lo, v14, v16, vcc_lo
	v_add_co_ci_u32_e32 v11, vcc_lo, 0, v17, vcc_lo
	s_delay_alu instid0(VALU_DEP_2) | instskip(NEXT) | instid1(VALU_DEP_2)
	v_add_co_u32 v7, vcc_lo, v9, v7
	v_add_co_ci_u32_e32 v9, vcc_lo, 0, v11, vcc_lo
	s_delay_alu instid0(VALU_DEP_2) | instskip(NEXT) | instid1(VALU_DEP_2)
	v_add_co_u32 v3, vcc_lo, v3, v7
	v_add_co_ci_u32_e32 v5, vcc_lo, v5, v9, vcc_lo
	s_delay_alu instid0(VALU_DEP_2) | instskip(SKIP_1) | instid1(VALU_DEP_3)
	v_mul_hi_u32 v7, s0, v3
	v_mul_lo_u32 v11, s17, v3
	v_mul_lo_u32 v9, s0, v5
	s_delay_alu instid0(VALU_DEP_1) | instskip(SKIP_1) | instid1(VALU_DEP_2)
	v_add_nc_u32_e32 v7, v7, v9
	v_mul_lo_u32 v9, s0, v3
	v_add_nc_u32_e32 v7, v7, v11
	s_delay_alu instid0(VALU_DEP_2) | instskip(NEXT) | instid1(VALU_DEP_2)
	v_mul_hi_u32 v11, v3, v9
	v_mul_lo_u32 v14, v3, v7
	v_mul_hi_u32 v15, v3, v7
	v_mul_hi_u32 v16, v5, v9
	v_mul_lo_u32 v9, v5, v9
	v_mul_hi_u32 v17, v5, v7
	v_mul_lo_u32 v7, v5, v7
	v_add_co_u32 v11, vcc_lo, v11, v14
	v_add_co_ci_u32_e32 v14, vcc_lo, 0, v15, vcc_lo
	s_delay_alu instid0(VALU_DEP_2) | instskip(NEXT) | instid1(VALU_DEP_2)
	v_add_co_u32 v9, vcc_lo, v11, v9
	v_add_co_ci_u32_e32 v9, vcc_lo, v14, v16, vcc_lo
	v_add_co_ci_u32_e32 v11, vcc_lo, 0, v17, vcc_lo
	v_add_co_u32 v14, vcc_lo, v12, v19
	v_add_co_ci_u32_e32 v13, vcc_lo, v13, v19, vcc_lo
	s_delay_alu instid0(VALU_DEP_4) | instskip(NEXT) | instid1(VALU_DEP_4)
	v_add_co_u32 v7, vcc_lo, v9, v7
	v_add_co_ci_u32_e32 v9, vcc_lo, 0, v11, vcc_lo
	s_delay_alu instid0(VALU_DEP_4) | instskip(NEXT) | instid1(VALU_DEP_3)
	v_xor_b32_e32 v11, v14, v19
	v_add_co_u32 v3, vcc_lo, v3, v7
	s_delay_alu instid0(VALU_DEP_3) | instskip(SKIP_1) | instid1(VALU_DEP_3)
	v_add_co_ci_u32_e32 v5, vcc_lo, v5, v9, vcc_lo
	v_xor_b32_e32 v7, v13, v19
	v_mul_hi_u32 v9, v11, v3
	s_delay_alu instid0(VALU_DEP_3) | instskip(NEXT) | instid1(VALU_DEP_3)
	v_mad_u64_u32 v[13:14], null, v11, v5, 0
	v_mad_u64_u32 v[15:16], null, v7, v3, 0
	;; [unrolled: 1-line block ×3, first 2 shown]
	s_delay_alu instid0(VALU_DEP_3) | instskip(NEXT) | instid1(VALU_DEP_4)
	v_add_co_u32 v3, vcc_lo, v9, v13
	v_add_co_ci_u32_e32 v5, vcc_lo, 0, v14, vcc_lo
	s_delay_alu instid0(VALU_DEP_2) | instskip(NEXT) | instid1(VALU_DEP_2)
	v_add_co_u32 v3, vcc_lo, v3, v15
	v_add_co_ci_u32_e32 v3, vcc_lo, v5, v16, vcc_lo
	v_add_co_ci_u32_e32 v5, vcc_lo, 0, v18, vcc_lo
	s_delay_alu instid0(VALU_DEP_2) | instskip(NEXT) | instid1(VALU_DEP_2)
	v_add_co_u32 v3, vcc_lo, v3, v17
	v_add_co_ci_u32_e32 v5, vcc_lo, 0, v5, vcc_lo
	s_delay_alu instid0(VALU_DEP_2) | instskip(SKIP_1) | instid1(VALU_DEP_3)
	v_mul_lo_u32 v9, s23, v3
	v_mad_u64_u32 v[13:14], null, s22, v3, 0
	v_mul_lo_u32 v15, s22, v5
	s_delay_alu instid0(VALU_DEP_2) | instskip(NEXT) | instid1(VALU_DEP_2)
	v_sub_co_u32 v11, vcc_lo, v11, v13
	v_add3_u32 v9, v14, v15, v9
	s_delay_alu instid0(VALU_DEP_1) | instskip(NEXT) | instid1(VALU_DEP_1)
	v_sub_nc_u32_e32 v14, v7, v9
	v_subrev_co_ci_u32_e64 v13, s0, s23, v14, vcc_lo
	v_add_co_u32 v14, s0, v3, 2
	s_delay_alu instid0(VALU_DEP_1) | instskip(SKIP_3) | instid1(VALU_DEP_3)
	v_add_co_ci_u32_e64 v15, s0, 0, v5, s0
	v_sub_co_u32 v16, s0, v11, s22
	v_sub_co_ci_u32_e32 v7, vcc_lo, v7, v9, vcc_lo
	v_subrev_co_ci_u32_e64 v13, s0, 0, v13, s0
	v_cmp_le_u32_e32 vcc_lo, s22, v16
	s_delay_alu instid0(VALU_DEP_3) | instskip(SKIP_1) | instid1(VALU_DEP_4)
	v_cmp_eq_u32_e64 s0, s23, v7
	v_cndmask_b32_e64 v9, 0, -1, vcc_lo
	v_cmp_le_u32_e32 vcc_lo, s23, v13
	v_cndmask_b32_e64 v16, 0, -1, vcc_lo
	v_cmp_le_u32_e32 vcc_lo, s22, v11
	;; [unrolled: 2-line block ×3, first 2 shown]
	v_cndmask_b32_e64 v17, 0, -1, vcc_lo
	v_cmp_eq_u32_e32 vcc_lo, s23, v13
	s_delay_alu instid0(VALU_DEP_2) | instskip(SKIP_3) | instid1(VALU_DEP_3)
	v_cndmask_b32_e64 v7, v17, v11, s0
	v_cndmask_b32_e32 v9, v16, v9, vcc_lo
	v_add_co_u32 v13, vcc_lo, v3, 1
	v_add_co_ci_u32_e32 v16, vcc_lo, 0, v5, vcc_lo
	v_cmp_ne_u32_e32 vcc_lo, 0, v9
	s_delay_alu instid0(VALU_DEP_2) | instskip(NEXT) | instid1(VALU_DEP_4)
	v_cndmask_b32_e32 v9, v16, v15, vcc_lo
	v_cndmask_b32_e32 v11, v13, v14, vcc_lo
	v_cmp_ne_u32_e32 vcc_lo, 0, v7
	v_xor_b32_e32 v7, s20, v19
	s_delay_alu instid0(VALU_DEP_3) | instskip(SKIP_2) | instid1(VALU_DEP_3)
	v_cndmask_b32_e32 v3, v3, v11, vcc_lo
	v_cndmask_b32_e32 v5, v5, v9, vcc_lo
	v_xor_b32_e32 v9, s21, v19
	v_xor_b32_e32 v3, v3, v7
	s_delay_alu instid0(VALU_DEP_2) | instskip(NEXT) | instid1(VALU_DEP_2)
	v_xor_b32_e32 v5, v5, v9
	v_sub_co_u32 v14, vcc_lo, v3, v7
	s_delay_alu instid0(VALU_DEP_2)
	v_sub_co_ci_u32_e32 v15, vcc_lo, v5, v9, vcc_lo
.LBB64_38:                              ;   in Loop: Header=BB64_24 Depth=2
	s_and_not1_saveexec_b32 s0, s14
	s_cbranch_execz .LBB64_40
; %bb.39:                               ;   in Loop: Header=BB64_24 Depth=2
	v_cvt_f32_u32_e32 v3, s47
	s_sub_i32 s14, 0, s47
	v_mov_b32_e32 v15, v2
	s_delay_alu instid0(VALU_DEP_2) | instskip(SKIP_2) | instid1(VALU_DEP_1)
	v_rcp_iflag_f32_e32 v3, v3
	s_waitcnt_depctr 0xfff
	v_mul_f32_e32 v3, 0x4f7ffffe, v3
	v_cvt_u32_f32_e32 v3, v3
	s_delay_alu instid0(VALU_DEP_1) | instskip(NEXT) | instid1(VALU_DEP_1)
	v_mul_lo_u32 v5, s14, v3
	v_mul_hi_u32 v5, v3, v5
	s_delay_alu instid0(VALU_DEP_1) | instskip(NEXT) | instid1(VALU_DEP_1)
	v_add_nc_u32_e32 v3, v3, v5
	v_mul_hi_u32 v3, v12, v3
	s_delay_alu instid0(VALU_DEP_1) | instskip(SKIP_1) | instid1(VALU_DEP_2)
	v_mul_lo_u32 v5, v3, s47
	v_add_nc_u32_e32 v7, 1, v3
	v_sub_nc_u32_e32 v5, v12, v5
	s_delay_alu instid0(VALU_DEP_1) | instskip(SKIP_1) | instid1(VALU_DEP_4)
	v_cmp_le_u32_e32 vcc_lo, s47, v5
	v_subrev_nc_u32_e32 v9, s47, v5
	v_cndmask_b32_e32 v3, v3, v7, vcc_lo
	s_delay_alu instid0(VALU_DEP_1) | instskip(NEXT) | instid1(VALU_DEP_3)
	v_add_nc_u32_e32 v7, 1, v3
	v_cndmask_b32_e32 v5, v5, v9, vcc_lo
	s_delay_alu instid0(VALU_DEP_1) | instskip(NEXT) | instid1(VALU_DEP_3)
	v_cmp_le_u32_e32 vcc_lo, s47, v5
	v_cndmask_b32_e32 v14, v3, v7, vcc_lo
.LBB64_40:                              ;   in Loop: Header=BB64_24 Depth=2
	s_or_b32 exec_lo, exec_lo, s0
	s_add_u32 s20, s30, s18
	s_addc_u32 s21, s1, s19
	s_add_i32 s14, s16, 3
                                        ; implicit-def: $vgpr16_vgpr17
	s_delay_alu instid0(SALU_CYCLE_1)
	s_lshl_b64 s[18:19], s[14:15], 2
	s_mov_b32 s14, exec_lo
	s_add_u32 s22, s26, s18
	s_addc_u32 s23, s27, s19
	s_clause 0x1
	s_load_b32 s49, s[22:23], 0x0
	s_load_b32 s48, s[20:21], 0x0
	s_waitcnt lgkmcnt(0)
	s_ashr_i32 s0, s49, 31
	s_delay_alu instid0(SALU_CYCLE_1) | instskip(NEXT) | instid1(VALU_DEP_1)
	v_or_b32_e32 v3, s0, v15
	v_cmpx_ne_u64_e32 0, v[2:3]
	s_xor_b32 s14, exec_lo, s14
	s_cbranch_execz .LBB64_42
; %bb.41:                               ;   in Loop: Header=BB64_24 Depth=2
	s_add_u32 s22, s49, s0
	s_mov_b32 s20, s0
	s_mov_b32 s21, s0
	s_addc_u32 s23, s0, s0
	v_ashrrev_i32_e32 v21, 31, v15
	s_xor_b64 s[22:23], s[22:23], s[20:21]
	s_delay_alu instid0(SALU_CYCLE_1) | instskip(SKIP_3) | instid1(VALU_DEP_1)
	v_cvt_f32_u32_e32 v3, s22
	v_cvt_f32_u32_e32 v5, s23
	s_sub_u32 s0, 0, s22
	s_subb_u32 s17, 0, s23
	v_fmac_f32_e32 v3, 0x4f800000, v5
	s_delay_alu instid0(VALU_DEP_1) | instskip(SKIP_2) | instid1(VALU_DEP_1)
	v_rcp_f32_e32 v3, v3
	s_waitcnt_depctr 0xfff
	v_mul_f32_e32 v3, 0x5f7ffffc, v3
	v_mul_f32_e32 v5, 0x2f800000, v3
	s_delay_alu instid0(VALU_DEP_1) | instskip(NEXT) | instid1(VALU_DEP_1)
	v_trunc_f32_e32 v5, v5
	v_fmac_f32_e32 v3, 0xcf800000, v5
	v_cvt_u32_f32_e32 v5, v5
	s_delay_alu instid0(VALU_DEP_2) | instskip(NEXT) | instid1(VALU_DEP_2)
	v_cvt_u32_f32_e32 v3, v3
	v_mul_lo_u32 v7, s0, v5
	s_delay_alu instid0(VALU_DEP_2) | instskip(SKIP_1) | instid1(VALU_DEP_2)
	v_mul_hi_u32 v9, s0, v3
	v_mul_lo_u32 v11, s17, v3
	v_add_nc_u32_e32 v7, v9, v7
	v_mul_lo_u32 v9, s0, v3
	s_delay_alu instid0(VALU_DEP_2) | instskip(NEXT) | instid1(VALU_DEP_2)
	v_add_nc_u32_e32 v7, v7, v11
	v_mul_hi_u32 v11, v3, v9
	s_delay_alu instid0(VALU_DEP_2)
	v_mul_lo_u32 v13, v3, v7
	v_mul_hi_u32 v16, v3, v7
	v_mul_hi_u32 v17, v5, v9
	v_mul_lo_u32 v9, v5, v9
	v_mul_hi_u32 v18, v5, v7
	v_mul_lo_u32 v7, v5, v7
	v_add_co_u32 v11, vcc_lo, v11, v13
	v_add_co_ci_u32_e32 v13, vcc_lo, 0, v16, vcc_lo
	s_delay_alu instid0(VALU_DEP_2) | instskip(NEXT) | instid1(VALU_DEP_2)
	v_add_co_u32 v9, vcc_lo, v11, v9
	v_add_co_ci_u32_e32 v9, vcc_lo, v13, v17, vcc_lo
	v_add_co_ci_u32_e32 v11, vcc_lo, 0, v18, vcc_lo
	s_delay_alu instid0(VALU_DEP_2) | instskip(NEXT) | instid1(VALU_DEP_2)
	v_add_co_u32 v7, vcc_lo, v9, v7
	v_add_co_ci_u32_e32 v9, vcc_lo, 0, v11, vcc_lo
	s_delay_alu instid0(VALU_DEP_2) | instskip(NEXT) | instid1(VALU_DEP_2)
	v_add_co_u32 v3, vcc_lo, v3, v7
	v_add_co_ci_u32_e32 v5, vcc_lo, v5, v9, vcc_lo
	s_delay_alu instid0(VALU_DEP_2) | instskip(SKIP_1) | instid1(VALU_DEP_3)
	v_mul_hi_u32 v7, s0, v3
	v_mul_lo_u32 v11, s17, v3
	v_mul_lo_u32 v9, s0, v5
	s_delay_alu instid0(VALU_DEP_1) | instskip(SKIP_1) | instid1(VALU_DEP_2)
	v_add_nc_u32_e32 v7, v7, v9
	v_mul_lo_u32 v9, s0, v3
	v_add_nc_u32_e32 v7, v7, v11
	s_delay_alu instid0(VALU_DEP_2) | instskip(NEXT) | instid1(VALU_DEP_2)
	v_mul_hi_u32 v11, v3, v9
	v_mul_lo_u32 v13, v3, v7
	v_mul_hi_u32 v16, v3, v7
	v_mul_hi_u32 v17, v5, v9
	v_mul_lo_u32 v9, v5, v9
	v_mul_hi_u32 v18, v5, v7
	v_mul_lo_u32 v7, v5, v7
	v_add_co_u32 v11, vcc_lo, v11, v13
	v_add_co_ci_u32_e32 v13, vcc_lo, 0, v16, vcc_lo
	s_delay_alu instid0(VALU_DEP_2) | instskip(NEXT) | instid1(VALU_DEP_2)
	v_add_co_u32 v9, vcc_lo, v11, v9
	v_add_co_ci_u32_e32 v9, vcc_lo, v13, v17, vcc_lo
	v_add_co_ci_u32_e32 v11, vcc_lo, 0, v18, vcc_lo
	v_add_co_u32 v13, vcc_lo, v14, v21
	v_add_co_ci_u32_e32 v15, vcc_lo, v15, v21, vcc_lo
	s_delay_alu instid0(VALU_DEP_4) | instskip(NEXT) | instid1(VALU_DEP_4)
	v_add_co_u32 v7, vcc_lo, v9, v7
	v_add_co_ci_u32_e32 v9, vcc_lo, 0, v11, vcc_lo
	s_delay_alu instid0(VALU_DEP_4) | instskip(NEXT) | instid1(VALU_DEP_3)
	v_xor_b32_e32 v11, v13, v21
	v_add_co_u32 v3, vcc_lo, v3, v7
	s_delay_alu instid0(VALU_DEP_3) | instskip(SKIP_1) | instid1(VALU_DEP_3)
	v_add_co_ci_u32_e32 v5, vcc_lo, v5, v9, vcc_lo
	v_xor_b32_e32 v7, v15, v21
	v_mul_hi_u32 v9, v11, v3
	s_delay_alu instid0(VALU_DEP_3) | instskip(NEXT) | instid1(VALU_DEP_3)
	v_mad_u64_u32 v[15:16], null, v11, v5, 0
	v_mad_u64_u32 v[17:18], null, v7, v3, 0
	;; [unrolled: 1-line block ×3, first 2 shown]
	s_delay_alu instid0(VALU_DEP_3) | instskip(NEXT) | instid1(VALU_DEP_4)
	v_add_co_u32 v3, vcc_lo, v9, v15
	v_add_co_ci_u32_e32 v5, vcc_lo, 0, v16, vcc_lo
	s_delay_alu instid0(VALU_DEP_2) | instskip(NEXT) | instid1(VALU_DEP_2)
	v_add_co_u32 v3, vcc_lo, v3, v17
	v_add_co_ci_u32_e32 v3, vcc_lo, v5, v18, vcc_lo
	v_add_co_ci_u32_e32 v5, vcc_lo, 0, v20, vcc_lo
	s_delay_alu instid0(VALU_DEP_2) | instskip(NEXT) | instid1(VALU_DEP_2)
	v_add_co_u32 v3, vcc_lo, v3, v19
	v_add_co_ci_u32_e32 v5, vcc_lo, 0, v5, vcc_lo
	s_delay_alu instid0(VALU_DEP_2) | instskip(SKIP_1) | instid1(VALU_DEP_3)
	v_mul_lo_u32 v9, s23, v3
	v_mad_u64_u32 v[15:16], null, s22, v3, 0
	v_mul_lo_u32 v13, s22, v5
	s_delay_alu instid0(VALU_DEP_2) | instskip(NEXT) | instid1(VALU_DEP_2)
	v_sub_co_u32 v11, vcc_lo, v11, v15
	v_add3_u32 v9, v16, v13, v9
	s_delay_alu instid0(VALU_DEP_1) | instskip(NEXT) | instid1(VALU_DEP_1)
	v_sub_nc_u32_e32 v13, v7, v9
	v_subrev_co_ci_u32_e64 v13, s0, s23, v13, vcc_lo
	v_add_co_u32 v15, s0, v3, 2
	s_delay_alu instid0(VALU_DEP_1) | instskip(SKIP_3) | instid1(VALU_DEP_3)
	v_add_co_ci_u32_e64 v16, s0, 0, v5, s0
	v_sub_co_u32 v17, s0, v11, s22
	v_sub_co_ci_u32_e32 v7, vcc_lo, v7, v9, vcc_lo
	v_subrev_co_ci_u32_e64 v13, s0, 0, v13, s0
	v_cmp_le_u32_e32 vcc_lo, s22, v17
	s_delay_alu instid0(VALU_DEP_3) | instskip(SKIP_1) | instid1(VALU_DEP_4)
	v_cmp_eq_u32_e64 s0, s23, v7
	v_cndmask_b32_e64 v9, 0, -1, vcc_lo
	v_cmp_le_u32_e32 vcc_lo, s23, v13
	v_cndmask_b32_e64 v17, 0, -1, vcc_lo
	v_cmp_le_u32_e32 vcc_lo, s22, v11
	;; [unrolled: 2-line block ×3, first 2 shown]
	v_cndmask_b32_e64 v18, 0, -1, vcc_lo
	v_cmp_eq_u32_e32 vcc_lo, s23, v13
	s_delay_alu instid0(VALU_DEP_2) | instskip(SKIP_3) | instid1(VALU_DEP_3)
	v_cndmask_b32_e64 v7, v18, v11, s0
	v_cndmask_b32_e32 v9, v17, v9, vcc_lo
	v_add_co_u32 v13, vcc_lo, v3, 1
	v_add_co_ci_u32_e32 v17, vcc_lo, 0, v5, vcc_lo
	v_cmp_ne_u32_e32 vcc_lo, 0, v9
	s_delay_alu instid0(VALU_DEP_2) | instskip(NEXT) | instid1(VALU_DEP_4)
	v_cndmask_b32_e32 v9, v17, v16, vcc_lo
	v_cndmask_b32_e32 v11, v13, v15, vcc_lo
	v_cmp_ne_u32_e32 vcc_lo, 0, v7
	v_xor_b32_e32 v7, s20, v21
	s_delay_alu instid0(VALU_DEP_3) | instskip(SKIP_2) | instid1(VALU_DEP_3)
	v_cndmask_b32_e32 v3, v3, v11, vcc_lo
	v_cndmask_b32_e32 v5, v5, v9, vcc_lo
	v_xor_b32_e32 v9, s21, v21
	v_xor_b32_e32 v3, v3, v7
	s_delay_alu instid0(VALU_DEP_2) | instskip(NEXT) | instid1(VALU_DEP_2)
	v_xor_b32_e32 v5, v5, v9
	v_sub_co_u32 v16, vcc_lo, v3, v7
	s_delay_alu instid0(VALU_DEP_2)
	v_sub_co_ci_u32_e32 v17, vcc_lo, v5, v9, vcc_lo
.LBB64_42:                              ;   in Loop: Header=BB64_24 Depth=2
	s_and_not1_saveexec_b32 s0, s14
	s_cbranch_execz .LBB64_44
; %bb.43:                               ;   in Loop: Header=BB64_24 Depth=2
	v_cvt_f32_u32_e32 v3, s49
	s_sub_i32 s14, 0, s49
	v_mov_b32_e32 v17, v2
	s_delay_alu instid0(VALU_DEP_2) | instskip(SKIP_2) | instid1(VALU_DEP_1)
	v_rcp_iflag_f32_e32 v3, v3
	s_waitcnt_depctr 0xfff
	v_mul_f32_e32 v3, 0x4f7ffffe, v3
	v_cvt_u32_f32_e32 v3, v3
	s_delay_alu instid0(VALU_DEP_1) | instskip(NEXT) | instid1(VALU_DEP_1)
	v_mul_lo_u32 v5, s14, v3
	v_mul_hi_u32 v5, v3, v5
	s_delay_alu instid0(VALU_DEP_1) | instskip(NEXT) | instid1(VALU_DEP_1)
	v_add_nc_u32_e32 v3, v3, v5
	v_mul_hi_u32 v3, v14, v3
	s_delay_alu instid0(VALU_DEP_1) | instskip(SKIP_1) | instid1(VALU_DEP_2)
	v_mul_lo_u32 v5, v3, s49
	v_add_nc_u32_e32 v7, 1, v3
	v_sub_nc_u32_e32 v5, v14, v5
	s_delay_alu instid0(VALU_DEP_1) | instskip(SKIP_1) | instid1(VALU_DEP_4)
	v_cmp_le_u32_e32 vcc_lo, s49, v5
	v_subrev_nc_u32_e32 v9, s49, v5
	v_cndmask_b32_e32 v3, v3, v7, vcc_lo
	s_delay_alu instid0(VALU_DEP_1) | instskip(NEXT) | instid1(VALU_DEP_3)
	v_add_nc_u32_e32 v7, 1, v3
	v_cndmask_b32_e32 v5, v5, v9, vcc_lo
	s_delay_alu instid0(VALU_DEP_1) | instskip(NEXT) | instid1(VALU_DEP_3)
	v_cmp_le_u32_e32 vcc_lo, s49, v5
	v_cndmask_b32_e32 v16, v3, v7, vcc_lo
.LBB64_44:                              ;   in Loop: Header=BB64_24 Depth=2
	s_or_b32 exec_lo, exec_lo, s0
	s_add_u32 s20, s30, s18
	s_addc_u32 s21, s1, s19
	s_add_i32 s14, s16, 2
                                        ; implicit-def: $vgpr18_vgpr19
	s_delay_alu instid0(SALU_CYCLE_1)
	s_lshl_b64 s[18:19], s[14:15], 2
	s_mov_b32 s14, exec_lo
	s_add_u32 s22, s26, s18
	s_addc_u32 s23, s27, s19
	s_clause 0x1
	s_load_b32 s51, s[22:23], 0x0
	s_load_b32 s50, s[20:21], 0x0
	s_waitcnt lgkmcnt(0)
	s_ashr_i32 s0, s51, 31
	s_delay_alu instid0(SALU_CYCLE_1) | instskip(NEXT) | instid1(VALU_DEP_1)
	v_or_b32_e32 v3, s0, v17
	v_cmpx_ne_u64_e32 0, v[2:3]
	s_xor_b32 s14, exec_lo, s14
	s_cbranch_execz .LBB64_46
; %bb.45:                               ;   in Loop: Header=BB64_24 Depth=2
	s_add_u32 s22, s51, s0
	s_mov_b32 s20, s0
	s_mov_b32 s21, s0
	s_addc_u32 s23, s0, s0
	v_ashrrev_i32_e32 v23, 31, v17
	s_xor_b64 s[22:23], s[22:23], s[20:21]
	s_delay_alu instid0(SALU_CYCLE_1) | instskip(SKIP_3) | instid1(VALU_DEP_1)
	v_cvt_f32_u32_e32 v3, s22
	v_cvt_f32_u32_e32 v5, s23
	s_sub_u32 s0, 0, s22
	s_subb_u32 s17, 0, s23
	v_fmac_f32_e32 v3, 0x4f800000, v5
	s_delay_alu instid0(VALU_DEP_1) | instskip(SKIP_2) | instid1(VALU_DEP_1)
	v_rcp_f32_e32 v3, v3
	s_waitcnt_depctr 0xfff
	v_mul_f32_e32 v3, 0x5f7ffffc, v3
	v_mul_f32_e32 v5, 0x2f800000, v3
	s_delay_alu instid0(VALU_DEP_1) | instskip(NEXT) | instid1(VALU_DEP_1)
	v_trunc_f32_e32 v5, v5
	v_fmac_f32_e32 v3, 0xcf800000, v5
	v_cvt_u32_f32_e32 v5, v5
	s_delay_alu instid0(VALU_DEP_2) | instskip(NEXT) | instid1(VALU_DEP_2)
	v_cvt_u32_f32_e32 v3, v3
	v_mul_lo_u32 v7, s0, v5
	s_delay_alu instid0(VALU_DEP_2) | instskip(SKIP_1) | instid1(VALU_DEP_2)
	v_mul_hi_u32 v9, s0, v3
	v_mul_lo_u32 v11, s17, v3
	v_add_nc_u32_e32 v7, v9, v7
	v_mul_lo_u32 v9, s0, v3
	s_delay_alu instid0(VALU_DEP_2) | instskip(NEXT) | instid1(VALU_DEP_2)
	v_add_nc_u32_e32 v7, v7, v11
	v_mul_hi_u32 v11, v3, v9
	s_delay_alu instid0(VALU_DEP_2)
	v_mul_lo_u32 v13, v3, v7
	v_mul_hi_u32 v15, v3, v7
	v_mul_hi_u32 v18, v5, v9
	v_mul_lo_u32 v9, v5, v9
	v_mul_hi_u32 v19, v5, v7
	v_mul_lo_u32 v7, v5, v7
	v_add_co_u32 v11, vcc_lo, v11, v13
	v_add_co_ci_u32_e32 v13, vcc_lo, 0, v15, vcc_lo
	s_delay_alu instid0(VALU_DEP_2) | instskip(NEXT) | instid1(VALU_DEP_2)
	v_add_co_u32 v9, vcc_lo, v11, v9
	v_add_co_ci_u32_e32 v9, vcc_lo, v13, v18, vcc_lo
	v_add_co_ci_u32_e32 v11, vcc_lo, 0, v19, vcc_lo
	s_delay_alu instid0(VALU_DEP_2) | instskip(NEXT) | instid1(VALU_DEP_2)
	v_add_co_u32 v7, vcc_lo, v9, v7
	v_add_co_ci_u32_e32 v9, vcc_lo, 0, v11, vcc_lo
	s_delay_alu instid0(VALU_DEP_2) | instskip(NEXT) | instid1(VALU_DEP_2)
	v_add_co_u32 v3, vcc_lo, v3, v7
	v_add_co_ci_u32_e32 v5, vcc_lo, v5, v9, vcc_lo
	s_delay_alu instid0(VALU_DEP_2) | instskip(SKIP_1) | instid1(VALU_DEP_3)
	v_mul_hi_u32 v7, s0, v3
	v_mul_lo_u32 v11, s17, v3
	v_mul_lo_u32 v9, s0, v5
	s_delay_alu instid0(VALU_DEP_1) | instskip(SKIP_1) | instid1(VALU_DEP_2)
	v_add_nc_u32_e32 v7, v7, v9
	v_mul_lo_u32 v9, s0, v3
	v_add_nc_u32_e32 v7, v7, v11
	s_delay_alu instid0(VALU_DEP_2) | instskip(NEXT) | instid1(VALU_DEP_2)
	v_mul_hi_u32 v11, v3, v9
	v_mul_lo_u32 v13, v3, v7
	v_mul_hi_u32 v15, v3, v7
	v_mul_hi_u32 v18, v5, v9
	v_mul_lo_u32 v9, v5, v9
	v_mul_hi_u32 v19, v5, v7
	v_mul_lo_u32 v7, v5, v7
	v_add_co_u32 v11, vcc_lo, v11, v13
	v_add_co_ci_u32_e32 v13, vcc_lo, 0, v15, vcc_lo
	s_delay_alu instid0(VALU_DEP_2) | instskip(NEXT) | instid1(VALU_DEP_2)
	v_add_co_u32 v9, vcc_lo, v11, v9
	v_add_co_ci_u32_e32 v9, vcc_lo, v13, v18, vcc_lo
	v_add_co_ci_u32_e32 v11, vcc_lo, 0, v19, vcc_lo
	v_add_co_u32 v13, vcc_lo, v16, v23
	v_add_co_ci_u32_e32 v15, vcc_lo, v17, v23, vcc_lo
	s_delay_alu instid0(VALU_DEP_4) | instskip(NEXT) | instid1(VALU_DEP_4)
	v_add_co_u32 v7, vcc_lo, v9, v7
	v_add_co_ci_u32_e32 v9, vcc_lo, 0, v11, vcc_lo
	s_delay_alu instid0(VALU_DEP_4) | instskip(NEXT) | instid1(VALU_DEP_3)
	v_xor_b32_e32 v11, v13, v23
	v_add_co_u32 v3, vcc_lo, v3, v7
	s_delay_alu instid0(VALU_DEP_3) | instskip(SKIP_1) | instid1(VALU_DEP_3)
	v_add_co_ci_u32_e32 v5, vcc_lo, v5, v9, vcc_lo
	v_xor_b32_e32 v7, v15, v23
	v_mul_hi_u32 v9, v11, v3
	s_delay_alu instid0(VALU_DEP_3) | instskip(NEXT) | instid1(VALU_DEP_3)
	v_mad_u64_u32 v[17:18], null, v11, v5, 0
	v_mad_u64_u32 v[19:20], null, v7, v3, 0
	;; [unrolled: 1-line block ×3, first 2 shown]
	s_delay_alu instid0(VALU_DEP_3) | instskip(NEXT) | instid1(VALU_DEP_4)
	v_add_co_u32 v3, vcc_lo, v9, v17
	v_add_co_ci_u32_e32 v5, vcc_lo, 0, v18, vcc_lo
	s_delay_alu instid0(VALU_DEP_2) | instskip(NEXT) | instid1(VALU_DEP_2)
	v_add_co_u32 v3, vcc_lo, v3, v19
	v_add_co_ci_u32_e32 v3, vcc_lo, v5, v20, vcc_lo
	v_add_co_ci_u32_e32 v5, vcc_lo, 0, v22, vcc_lo
	s_delay_alu instid0(VALU_DEP_2) | instskip(NEXT) | instid1(VALU_DEP_2)
	v_add_co_u32 v3, vcc_lo, v3, v21
	v_add_co_ci_u32_e32 v5, vcc_lo, 0, v5, vcc_lo
	s_delay_alu instid0(VALU_DEP_2) | instskip(SKIP_1) | instid1(VALU_DEP_3)
	v_mul_lo_u32 v9, s23, v3
	v_mad_u64_u32 v[17:18], null, s22, v3, 0
	v_mul_lo_u32 v13, s22, v5
	s_delay_alu instid0(VALU_DEP_2) | instskip(NEXT) | instid1(VALU_DEP_2)
	v_sub_co_u32 v11, vcc_lo, v11, v17
	v_add3_u32 v9, v18, v13, v9
	s_delay_alu instid0(VALU_DEP_1) | instskip(NEXT) | instid1(VALU_DEP_1)
	v_sub_nc_u32_e32 v13, v7, v9
	v_subrev_co_ci_u32_e64 v13, s0, s23, v13, vcc_lo
	v_add_co_u32 v15, s0, v3, 2
	s_delay_alu instid0(VALU_DEP_1) | instskip(SKIP_3) | instid1(VALU_DEP_3)
	v_add_co_ci_u32_e64 v17, s0, 0, v5, s0
	v_sub_co_u32 v18, s0, v11, s22
	v_sub_co_ci_u32_e32 v7, vcc_lo, v7, v9, vcc_lo
	v_subrev_co_ci_u32_e64 v13, s0, 0, v13, s0
	v_cmp_le_u32_e32 vcc_lo, s22, v18
	s_delay_alu instid0(VALU_DEP_3) | instskip(SKIP_1) | instid1(VALU_DEP_4)
	v_cmp_eq_u32_e64 s0, s23, v7
	v_cndmask_b32_e64 v9, 0, -1, vcc_lo
	v_cmp_le_u32_e32 vcc_lo, s23, v13
	v_cndmask_b32_e64 v18, 0, -1, vcc_lo
	v_cmp_le_u32_e32 vcc_lo, s22, v11
	;; [unrolled: 2-line block ×3, first 2 shown]
	v_cndmask_b32_e64 v19, 0, -1, vcc_lo
	v_cmp_eq_u32_e32 vcc_lo, s23, v13
	s_delay_alu instid0(VALU_DEP_2) | instskip(SKIP_3) | instid1(VALU_DEP_3)
	v_cndmask_b32_e64 v7, v19, v11, s0
	v_cndmask_b32_e32 v9, v18, v9, vcc_lo
	v_add_co_u32 v13, vcc_lo, v3, 1
	v_add_co_ci_u32_e32 v18, vcc_lo, 0, v5, vcc_lo
	v_cmp_ne_u32_e32 vcc_lo, 0, v9
	s_delay_alu instid0(VALU_DEP_2) | instskip(NEXT) | instid1(VALU_DEP_4)
	v_cndmask_b32_e32 v9, v18, v17, vcc_lo
	v_cndmask_b32_e32 v11, v13, v15, vcc_lo
	v_cmp_ne_u32_e32 vcc_lo, 0, v7
	v_xor_b32_e32 v7, s20, v23
	s_delay_alu instid0(VALU_DEP_3) | instskip(SKIP_2) | instid1(VALU_DEP_3)
	v_cndmask_b32_e32 v3, v3, v11, vcc_lo
	v_cndmask_b32_e32 v5, v5, v9, vcc_lo
	v_xor_b32_e32 v9, s21, v23
	v_xor_b32_e32 v3, v3, v7
	s_delay_alu instid0(VALU_DEP_2) | instskip(NEXT) | instid1(VALU_DEP_2)
	v_xor_b32_e32 v5, v5, v9
	v_sub_co_u32 v18, vcc_lo, v3, v7
	s_delay_alu instid0(VALU_DEP_2)
	v_sub_co_ci_u32_e32 v19, vcc_lo, v5, v9, vcc_lo
.LBB64_46:                              ;   in Loop: Header=BB64_24 Depth=2
	s_and_not1_saveexec_b32 s0, s14
	s_cbranch_execz .LBB64_48
; %bb.47:                               ;   in Loop: Header=BB64_24 Depth=2
	v_cvt_f32_u32_e32 v3, s51
	s_sub_i32 s14, 0, s51
	v_mov_b32_e32 v19, v2
	s_delay_alu instid0(VALU_DEP_2) | instskip(SKIP_2) | instid1(VALU_DEP_1)
	v_rcp_iflag_f32_e32 v3, v3
	s_waitcnt_depctr 0xfff
	v_mul_f32_e32 v3, 0x4f7ffffe, v3
	v_cvt_u32_f32_e32 v3, v3
	s_delay_alu instid0(VALU_DEP_1) | instskip(NEXT) | instid1(VALU_DEP_1)
	v_mul_lo_u32 v5, s14, v3
	v_mul_hi_u32 v5, v3, v5
	s_delay_alu instid0(VALU_DEP_1) | instskip(NEXT) | instid1(VALU_DEP_1)
	v_add_nc_u32_e32 v3, v3, v5
	v_mul_hi_u32 v3, v16, v3
	s_delay_alu instid0(VALU_DEP_1) | instskip(SKIP_1) | instid1(VALU_DEP_2)
	v_mul_lo_u32 v5, v3, s51
	v_add_nc_u32_e32 v7, 1, v3
	v_sub_nc_u32_e32 v5, v16, v5
	s_delay_alu instid0(VALU_DEP_1) | instskip(SKIP_1) | instid1(VALU_DEP_4)
	v_cmp_le_u32_e32 vcc_lo, s51, v5
	v_subrev_nc_u32_e32 v9, s51, v5
	v_cndmask_b32_e32 v3, v3, v7, vcc_lo
	s_delay_alu instid0(VALU_DEP_1) | instskip(NEXT) | instid1(VALU_DEP_3)
	v_add_nc_u32_e32 v7, 1, v3
	v_cndmask_b32_e32 v5, v5, v9, vcc_lo
	s_delay_alu instid0(VALU_DEP_1) | instskip(NEXT) | instid1(VALU_DEP_3)
	v_cmp_le_u32_e32 vcc_lo, s51, v5
	v_cndmask_b32_e32 v18, v3, v7, vcc_lo
.LBB64_48:                              ;   in Loop: Header=BB64_24 Depth=2
	s_or_b32 exec_lo, exec_lo, s0
	s_add_u32 s20, s30, s18
	s_addc_u32 s21, s1, s19
	s_add_i32 s14, s16, 1
	s_mov_b32 s17, exec_lo
	s_lshl_b64 s[18:19], s[14:15], 2
                                        ; implicit-def: $vgpr20_vgpr21
	s_delay_alu instid0(SALU_CYCLE_1)
	s_add_u32 s22, s26, s18
	s_addc_u32 s23, s27, s19
	s_clause 0x1
	s_load_b32 s52, s[22:23], 0x0
	s_load_b32 s14, s[20:21], 0x0
	s_waitcnt lgkmcnt(0)
	s_ashr_i32 s0, s52, 31
	s_delay_alu instid0(SALU_CYCLE_1) | instskip(NEXT) | instid1(VALU_DEP_1)
	v_or_b32_e32 v3, s0, v19
	v_cmpx_ne_u64_e32 0, v[2:3]
	s_xor_b32 s17, exec_lo, s17
	s_cbranch_execz .LBB64_50
; %bb.49:                               ;   in Loop: Header=BB64_24 Depth=2
	s_add_u32 s22, s52, s0
	s_mov_b32 s20, s0
	s_mov_b32 s21, s0
	s_addc_u32 s23, s0, s0
	s_delay_alu instid0(SALU_CYCLE_1) | instskip(NEXT) | instid1(SALU_CYCLE_1)
	s_xor_b64 s[22:23], s[22:23], s[20:21]
	v_cvt_f32_u32_e32 v3, s22
	v_cvt_f32_u32_e32 v5, s23
	s_sub_u32 s0, 0, s22
	s_subb_u32 s53, 0, s23
	s_delay_alu instid0(VALU_DEP_1) | instskip(NEXT) | instid1(VALU_DEP_1)
	v_fmac_f32_e32 v3, 0x4f800000, v5
	v_rcp_f32_e32 v3, v3
	s_waitcnt_depctr 0xfff
	v_mul_f32_e32 v3, 0x5f7ffffc, v3
	s_delay_alu instid0(VALU_DEP_1) | instskip(NEXT) | instid1(VALU_DEP_1)
	v_mul_f32_e32 v5, 0x2f800000, v3
	v_trunc_f32_e32 v5, v5
	s_delay_alu instid0(VALU_DEP_1) | instskip(SKIP_1) | instid1(VALU_DEP_2)
	v_fmac_f32_e32 v3, 0xcf800000, v5
	v_cvt_u32_f32_e32 v5, v5
	v_cvt_u32_f32_e32 v3, v3
	s_delay_alu instid0(VALU_DEP_2) | instskip(NEXT) | instid1(VALU_DEP_2)
	v_mul_lo_u32 v7, s0, v5
	v_mul_hi_u32 v9, s0, v3
	v_mul_lo_u32 v11, s53, v3
	s_delay_alu instid0(VALU_DEP_2) | instskip(SKIP_1) | instid1(VALU_DEP_2)
	v_add_nc_u32_e32 v7, v9, v7
	v_mul_lo_u32 v9, s0, v3
	v_add_nc_u32_e32 v7, v7, v11
	s_delay_alu instid0(VALU_DEP_2) | instskip(NEXT) | instid1(VALU_DEP_2)
	v_mul_hi_u32 v11, v3, v9
	v_mul_lo_u32 v13, v3, v7
	v_mul_hi_u32 v15, v3, v7
	v_mul_hi_u32 v17, v5, v9
	v_mul_lo_u32 v9, v5, v9
	v_mul_hi_u32 v20, v5, v7
	v_mul_lo_u32 v7, v5, v7
	v_add_co_u32 v11, vcc_lo, v11, v13
	v_add_co_ci_u32_e32 v13, vcc_lo, 0, v15, vcc_lo
	s_delay_alu instid0(VALU_DEP_2) | instskip(NEXT) | instid1(VALU_DEP_2)
	v_add_co_u32 v9, vcc_lo, v11, v9
	v_add_co_ci_u32_e32 v9, vcc_lo, v13, v17, vcc_lo
	v_add_co_ci_u32_e32 v11, vcc_lo, 0, v20, vcc_lo
	v_ashrrev_i32_e32 v17, 31, v19
	s_delay_alu instid0(VALU_DEP_3) | instskip(NEXT) | instid1(VALU_DEP_3)
	v_add_co_u32 v7, vcc_lo, v9, v7
	v_add_co_ci_u32_e32 v9, vcc_lo, 0, v11, vcc_lo
	s_delay_alu instid0(VALU_DEP_2) | instskip(NEXT) | instid1(VALU_DEP_2)
	v_add_co_u32 v3, vcc_lo, v3, v7
	v_add_co_ci_u32_e32 v5, vcc_lo, v5, v9, vcc_lo
	s_delay_alu instid0(VALU_DEP_2) | instskip(SKIP_1) | instid1(VALU_DEP_3)
	v_mul_hi_u32 v7, s0, v3
	v_mul_lo_u32 v11, s53, v3
	v_mul_lo_u32 v9, s0, v5
	s_delay_alu instid0(VALU_DEP_1) | instskip(SKIP_1) | instid1(VALU_DEP_2)
	v_add_nc_u32_e32 v7, v7, v9
	v_mul_lo_u32 v9, s0, v3
	v_add_nc_u32_e32 v7, v7, v11
	s_delay_alu instid0(VALU_DEP_2) | instskip(NEXT) | instid1(VALU_DEP_2)
	v_mul_hi_u32 v11, v3, v9
	v_mul_lo_u32 v13, v3, v7
	v_mul_hi_u32 v15, v3, v7
	v_mul_hi_u32 v20, v5, v9
	v_mul_lo_u32 v9, v5, v9
	v_mul_hi_u32 v21, v5, v7
	v_mul_lo_u32 v7, v5, v7
	v_add_co_u32 v11, vcc_lo, v11, v13
	v_add_co_ci_u32_e32 v13, vcc_lo, 0, v15, vcc_lo
	s_delay_alu instid0(VALU_DEP_2) | instskip(NEXT) | instid1(VALU_DEP_2)
	v_add_co_u32 v9, vcc_lo, v11, v9
	v_add_co_ci_u32_e32 v9, vcc_lo, v13, v20, vcc_lo
	v_add_co_ci_u32_e32 v11, vcc_lo, 0, v21, vcc_lo
	v_add_co_u32 v13, vcc_lo, v18, v17
	v_add_co_ci_u32_e32 v15, vcc_lo, v19, v17, vcc_lo
	s_delay_alu instid0(VALU_DEP_4) | instskip(NEXT) | instid1(VALU_DEP_4)
	v_add_co_u32 v7, vcc_lo, v9, v7
	v_add_co_ci_u32_e32 v9, vcc_lo, 0, v11, vcc_lo
	s_delay_alu instid0(VALU_DEP_4) | instskip(NEXT) | instid1(VALU_DEP_3)
	v_xor_b32_e32 v11, v13, v17
	v_add_co_u32 v3, vcc_lo, v3, v7
	s_delay_alu instid0(VALU_DEP_3) | instskip(SKIP_1) | instid1(VALU_DEP_3)
	v_add_co_ci_u32_e32 v5, vcc_lo, v5, v9, vcc_lo
	v_xor_b32_e32 v7, v15, v17
	v_mul_hi_u32 v9, v11, v3
	s_delay_alu instid0(VALU_DEP_3) | instskip(NEXT) | instid1(VALU_DEP_3)
	v_mad_u64_u32 v[19:20], null, v11, v5, 0
	v_mad_u64_u32 v[21:22], null, v7, v3, 0
	;; [unrolled: 1-line block ×3, first 2 shown]
	s_delay_alu instid0(VALU_DEP_3) | instskip(NEXT) | instid1(VALU_DEP_4)
	v_add_co_u32 v3, vcc_lo, v9, v19
	v_add_co_ci_u32_e32 v5, vcc_lo, 0, v20, vcc_lo
	s_delay_alu instid0(VALU_DEP_2) | instskip(NEXT) | instid1(VALU_DEP_2)
	v_add_co_u32 v3, vcc_lo, v3, v21
	v_add_co_ci_u32_e32 v3, vcc_lo, v5, v22, vcc_lo
	v_add_co_ci_u32_e32 v5, vcc_lo, 0, v28, vcc_lo
	s_delay_alu instid0(VALU_DEP_2) | instskip(NEXT) | instid1(VALU_DEP_2)
	v_add_co_u32 v3, vcc_lo, v3, v27
	v_add_co_ci_u32_e32 v5, vcc_lo, 0, v5, vcc_lo
	s_delay_alu instid0(VALU_DEP_2) | instskip(SKIP_1) | instid1(VALU_DEP_3)
	v_mul_lo_u32 v9, s23, v3
	v_mad_u64_u32 v[19:20], null, s22, v3, 0
	v_mul_lo_u32 v13, s22, v5
	s_delay_alu instid0(VALU_DEP_2) | instskip(NEXT) | instid1(VALU_DEP_2)
	v_sub_co_u32 v11, vcc_lo, v11, v19
	v_add3_u32 v9, v20, v13, v9
	s_delay_alu instid0(VALU_DEP_1) | instskip(NEXT) | instid1(VALU_DEP_1)
	v_sub_nc_u32_e32 v13, v7, v9
	v_subrev_co_ci_u32_e64 v13, s0, s23, v13, vcc_lo
	v_add_co_u32 v15, s0, v3, 2
	s_delay_alu instid0(VALU_DEP_1) | instskip(SKIP_3) | instid1(VALU_DEP_3)
	v_add_co_ci_u32_e64 v19, s0, 0, v5, s0
	v_sub_co_u32 v20, s0, v11, s22
	v_sub_co_ci_u32_e32 v7, vcc_lo, v7, v9, vcc_lo
	v_subrev_co_ci_u32_e64 v13, s0, 0, v13, s0
	v_cmp_le_u32_e32 vcc_lo, s22, v20
	s_delay_alu instid0(VALU_DEP_3) | instskip(SKIP_1) | instid1(VALU_DEP_4)
	v_cmp_eq_u32_e64 s0, s23, v7
	v_cndmask_b32_e64 v9, 0, -1, vcc_lo
	v_cmp_le_u32_e32 vcc_lo, s23, v13
	v_cndmask_b32_e64 v20, 0, -1, vcc_lo
	v_cmp_le_u32_e32 vcc_lo, s22, v11
	;; [unrolled: 2-line block ×3, first 2 shown]
	v_cndmask_b32_e64 v21, 0, -1, vcc_lo
	v_cmp_eq_u32_e32 vcc_lo, s23, v13
	s_delay_alu instid0(VALU_DEP_2) | instskip(SKIP_3) | instid1(VALU_DEP_3)
	v_cndmask_b32_e64 v7, v21, v11, s0
	v_cndmask_b32_e32 v9, v20, v9, vcc_lo
	v_add_co_u32 v13, vcc_lo, v3, 1
	v_add_co_ci_u32_e32 v20, vcc_lo, 0, v5, vcc_lo
	v_cmp_ne_u32_e32 vcc_lo, 0, v9
	s_delay_alu instid0(VALU_DEP_2) | instskip(NEXT) | instid1(VALU_DEP_4)
	v_cndmask_b32_e32 v9, v20, v19, vcc_lo
	v_cndmask_b32_e32 v11, v13, v15, vcc_lo
	v_cmp_ne_u32_e32 vcc_lo, 0, v7
	v_xor_b32_e32 v7, s20, v17
	s_delay_alu instid0(VALU_DEP_3) | instskip(SKIP_2) | instid1(VALU_DEP_3)
	v_cndmask_b32_e32 v3, v3, v11, vcc_lo
	v_cndmask_b32_e32 v5, v5, v9, vcc_lo
	v_xor_b32_e32 v9, s21, v17
	v_xor_b32_e32 v3, v3, v7
	s_delay_alu instid0(VALU_DEP_2) | instskip(NEXT) | instid1(VALU_DEP_2)
	v_xor_b32_e32 v5, v5, v9
	v_sub_co_u32 v20, vcc_lo, v3, v7
	s_delay_alu instid0(VALU_DEP_2)
	v_sub_co_ci_u32_e32 v21, vcc_lo, v5, v9, vcc_lo
.LBB64_50:                              ;   in Loop: Header=BB64_24 Depth=2
	s_and_not1_saveexec_b32 s0, s17
	s_cbranch_execz .LBB64_52
; %bb.51:                               ;   in Loop: Header=BB64_24 Depth=2
	v_cvt_f32_u32_e32 v3, s52
	s_sub_i32 s17, 0, s52
	v_mov_b32_e32 v21, v2
	s_delay_alu instid0(VALU_DEP_2) | instskip(SKIP_2) | instid1(VALU_DEP_1)
	v_rcp_iflag_f32_e32 v3, v3
	s_waitcnt_depctr 0xfff
	v_mul_f32_e32 v3, 0x4f7ffffe, v3
	v_cvt_u32_f32_e32 v3, v3
	s_delay_alu instid0(VALU_DEP_1) | instskip(NEXT) | instid1(VALU_DEP_1)
	v_mul_lo_u32 v5, s17, v3
	v_mul_hi_u32 v5, v3, v5
	s_delay_alu instid0(VALU_DEP_1) | instskip(NEXT) | instid1(VALU_DEP_1)
	v_add_nc_u32_e32 v3, v3, v5
	v_mul_hi_u32 v3, v18, v3
	s_delay_alu instid0(VALU_DEP_1) | instskip(SKIP_1) | instid1(VALU_DEP_2)
	v_mul_lo_u32 v5, v3, s52
	v_add_nc_u32_e32 v7, 1, v3
	v_sub_nc_u32_e32 v5, v18, v5
	s_delay_alu instid0(VALU_DEP_1) | instskip(SKIP_1) | instid1(VALU_DEP_4)
	v_cmp_le_u32_e32 vcc_lo, s52, v5
	v_subrev_nc_u32_e32 v9, s52, v5
	v_cndmask_b32_e32 v3, v3, v7, vcc_lo
	s_delay_alu instid0(VALU_DEP_1) | instskip(NEXT) | instid1(VALU_DEP_3)
	v_add_nc_u32_e32 v7, 1, v3
	v_cndmask_b32_e32 v5, v5, v9, vcc_lo
	s_delay_alu instid0(VALU_DEP_1) | instskip(NEXT) | instid1(VALU_DEP_3)
	v_cmp_le_u32_e32 vcc_lo, s52, v5
	v_cndmask_b32_e32 v20, v3, v7, vcc_lo
.LBB64_52:                              ;   in Loop: Header=BB64_24 Depth=2
	s_or_b32 exec_lo, exec_lo, s0
	s_mov_b32 s17, s15
	s_add_u32 s20, s30, s18
	s_addc_u32 s21, s1, s19
	s_lshl_b64 s[18:19], s[16:17], 2
                                        ; implicit-def: $vgpr22_vgpr23
	s_delay_alu instid0(SALU_CYCLE_1)
	s_add_u32 s22, s26, s18
	s_addc_u32 s23, s27, s19
	s_clause 0x1
	s_load_b32 s53, s[22:23], 0x0
	s_load_b32 s17, s[20:21], 0x0
	s_mov_b32 s20, exec_lo
	s_waitcnt lgkmcnt(0)
	s_ashr_i32 s0, s53, 31
	s_delay_alu instid0(SALU_CYCLE_1) | instskip(NEXT) | instid1(VALU_DEP_1)
	v_or_b32_e32 v3, s0, v21
	v_cmpx_ne_u64_e32 0, v[2:3]
	s_xor_b32 s54, exec_lo, s20
	s_cbranch_execz .LBB64_54
; %bb.53:                               ;   in Loop: Header=BB64_24 Depth=2
	s_add_u32 s22, s53, s0
	s_mov_b32 s20, s0
	s_mov_b32 s21, s0
	s_addc_u32 s23, s0, s0
	s_delay_alu instid0(SALU_CYCLE_1) | instskip(NEXT) | instid1(SALU_CYCLE_1)
	s_xor_b64 s[22:23], s[22:23], s[20:21]
	v_cvt_f32_u32_e32 v3, s22
	v_cvt_f32_u32_e32 v5, s23
	s_sub_u32 s0, 0, s22
	s_subb_u32 s55, 0, s23
	s_delay_alu instid0(VALU_DEP_1) | instskip(NEXT) | instid1(VALU_DEP_1)
	v_fmac_f32_e32 v3, 0x4f800000, v5
	v_rcp_f32_e32 v3, v3
	s_waitcnt_depctr 0xfff
	v_mul_f32_e32 v3, 0x5f7ffffc, v3
	s_delay_alu instid0(VALU_DEP_1) | instskip(NEXT) | instid1(VALU_DEP_1)
	v_mul_f32_e32 v5, 0x2f800000, v3
	v_trunc_f32_e32 v5, v5
	s_delay_alu instid0(VALU_DEP_1) | instskip(SKIP_1) | instid1(VALU_DEP_2)
	v_fmac_f32_e32 v3, 0xcf800000, v5
	v_cvt_u32_f32_e32 v5, v5
	v_cvt_u32_f32_e32 v3, v3
	s_delay_alu instid0(VALU_DEP_2) | instskip(NEXT) | instid1(VALU_DEP_2)
	v_mul_lo_u32 v7, s0, v5
	v_mul_hi_u32 v9, s0, v3
	v_mul_lo_u32 v11, s55, v3
	s_delay_alu instid0(VALU_DEP_2) | instskip(SKIP_1) | instid1(VALU_DEP_2)
	v_add_nc_u32_e32 v7, v9, v7
	v_mul_lo_u32 v9, s0, v3
	v_add_nc_u32_e32 v7, v7, v11
	s_delay_alu instid0(VALU_DEP_2) | instskip(NEXT) | instid1(VALU_DEP_2)
	v_mul_hi_u32 v11, v3, v9
	v_mul_lo_u32 v13, v3, v7
	v_mul_hi_u32 v15, v3, v7
	v_mul_hi_u32 v17, v5, v9
	v_mul_lo_u32 v9, v5, v9
	v_mul_hi_u32 v19, v5, v7
	v_mul_lo_u32 v7, v5, v7
	v_add_co_u32 v11, vcc_lo, v11, v13
	v_add_co_ci_u32_e32 v13, vcc_lo, 0, v15, vcc_lo
	s_delay_alu instid0(VALU_DEP_2) | instskip(NEXT) | instid1(VALU_DEP_2)
	v_add_co_u32 v9, vcc_lo, v11, v9
	v_add_co_ci_u32_e32 v9, vcc_lo, v13, v17, vcc_lo
	v_add_co_ci_u32_e32 v11, vcc_lo, 0, v19, vcc_lo
	v_ashrrev_i32_e32 v17, 31, v21
	s_delay_alu instid0(VALU_DEP_3) | instskip(NEXT) | instid1(VALU_DEP_3)
	v_add_co_u32 v7, vcc_lo, v9, v7
	v_add_co_ci_u32_e32 v9, vcc_lo, 0, v11, vcc_lo
	s_delay_alu instid0(VALU_DEP_2) | instskip(NEXT) | instid1(VALU_DEP_2)
	v_add_co_u32 v3, vcc_lo, v3, v7
	v_add_co_ci_u32_e32 v5, vcc_lo, v5, v9, vcc_lo
	s_delay_alu instid0(VALU_DEP_2) | instskip(SKIP_1) | instid1(VALU_DEP_3)
	v_mul_hi_u32 v7, s0, v3
	v_mul_lo_u32 v11, s55, v3
	v_mul_lo_u32 v9, s0, v5
	s_delay_alu instid0(VALU_DEP_1) | instskip(SKIP_1) | instid1(VALU_DEP_2)
	v_add_nc_u32_e32 v7, v7, v9
	v_mul_lo_u32 v9, s0, v3
	v_add_nc_u32_e32 v7, v7, v11
	s_delay_alu instid0(VALU_DEP_2) | instskip(NEXT) | instid1(VALU_DEP_2)
	v_mul_hi_u32 v11, v3, v9
	v_mul_lo_u32 v13, v3, v7
	v_mul_hi_u32 v15, v3, v7
	v_mul_hi_u32 v19, v5, v9
	v_mul_lo_u32 v9, v5, v9
	v_mul_hi_u32 v22, v5, v7
	v_mul_lo_u32 v7, v5, v7
	v_add_co_u32 v11, vcc_lo, v11, v13
	v_add_co_ci_u32_e32 v13, vcc_lo, 0, v15, vcc_lo
	s_delay_alu instid0(VALU_DEP_2) | instskip(NEXT) | instid1(VALU_DEP_2)
	v_add_co_u32 v9, vcc_lo, v11, v9
	v_add_co_ci_u32_e32 v9, vcc_lo, v13, v19, vcc_lo
	v_add_co_ci_u32_e32 v11, vcc_lo, 0, v22, vcc_lo
	v_add_co_u32 v13, vcc_lo, v20, v17
	v_add_co_ci_u32_e32 v15, vcc_lo, v21, v17, vcc_lo
	s_delay_alu instid0(VALU_DEP_4) | instskip(NEXT) | instid1(VALU_DEP_4)
	v_add_co_u32 v7, vcc_lo, v9, v7
	v_add_co_ci_u32_e32 v9, vcc_lo, 0, v11, vcc_lo
	s_delay_alu instid0(VALU_DEP_4) | instskip(NEXT) | instid1(VALU_DEP_3)
	v_xor_b32_e32 v11, v13, v17
	v_add_co_u32 v3, vcc_lo, v3, v7
	s_delay_alu instid0(VALU_DEP_3) | instskip(SKIP_1) | instid1(VALU_DEP_3)
	v_add_co_ci_u32_e32 v5, vcc_lo, v5, v9, vcc_lo
	v_xor_b32_e32 v7, v15, v17
	v_mul_hi_u32 v9, v11, v3
	s_delay_alu instid0(VALU_DEP_3) | instskip(NEXT) | instid1(VALU_DEP_3)
	v_mad_u64_u32 v[21:22], null, v11, v5, 0
	v_mad_u64_u32 v[27:28], null, v7, v3, 0
	;; [unrolled: 1-line block ×3, first 2 shown]
	s_delay_alu instid0(VALU_DEP_3) | instskip(NEXT) | instid1(VALU_DEP_4)
	v_add_co_u32 v3, vcc_lo, v9, v21
	v_add_co_ci_u32_e32 v5, vcc_lo, 0, v22, vcc_lo
	s_delay_alu instid0(VALU_DEP_2) | instskip(NEXT) | instid1(VALU_DEP_2)
	v_add_co_u32 v3, vcc_lo, v3, v27
	v_add_co_ci_u32_e32 v3, vcc_lo, v5, v28, vcc_lo
	v_add_co_ci_u32_e32 v5, vcc_lo, 0, v30, vcc_lo
	s_delay_alu instid0(VALU_DEP_2) | instskip(NEXT) | instid1(VALU_DEP_2)
	v_add_co_u32 v3, vcc_lo, v3, v29
	v_add_co_ci_u32_e32 v5, vcc_lo, 0, v5, vcc_lo
	s_delay_alu instid0(VALU_DEP_2) | instskip(SKIP_1) | instid1(VALU_DEP_3)
	v_mul_lo_u32 v9, s23, v3
	v_mad_u64_u32 v[21:22], null, s22, v3, 0
	v_mul_lo_u32 v13, s22, v5
	s_delay_alu instid0(VALU_DEP_2) | instskip(NEXT) | instid1(VALU_DEP_2)
	v_sub_co_u32 v11, vcc_lo, v11, v21
	v_add3_u32 v9, v22, v13, v9
	s_delay_alu instid0(VALU_DEP_1) | instskip(NEXT) | instid1(VALU_DEP_1)
	v_sub_nc_u32_e32 v13, v7, v9
	v_subrev_co_ci_u32_e64 v13, s0, s23, v13, vcc_lo
	v_add_co_u32 v15, s0, v3, 2
	s_delay_alu instid0(VALU_DEP_1) | instskip(SKIP_3) | instid1(VALU_DEP_3)
	v_add_co_ci_u32_e64 v19, s0, 0, v5, s0
	v_sub_co_u32 v21, s0, v11, s22
	v_sub_co_ci_u32_e32 v7, vcc_lo, v7, v9, vcc_lo
	v_subrev_co_ci_u32_e64 v13, s0, 0, v13, s0
	v_cmp_le_u32_e32 vcc_lo, s22, v21
	s_delay_alu instid0(VALU_DEP_3) | instskip(SKIP_1) | instid1(VALU_DEP_4)
	v_cmp_eq_u32_e64 s0, s23, v7
	v_cndmask_b32_e64 v9, 0, -1, vcc_lo
	v_cmp_le_u32_e32 vcc_lo, s23, v13
	v_cndmask_b32_e64 v21, 0, -1, vcc_lo
	v_cmp_le_u32_e32 vcc_lo, s22, v11
	;; [unrolled: 2-line block ×3, first 2 shown]
	v_cndmask_b32_e64 v22, 0, -1, vcc_lo
	v_cmp_eq_u32_e32 vcc_lo, s23, v13
	s_delay_alu instid0(VALU_DEP_2) | instskip(SKIP_3) | instid1(VALU_DEP_3)
	v_cndmask_b32_e64 v7, v22, v11, s0
	v_cndmask_b32_e32 v9, v21, v9, vcc_lo
	v_add_co_u32 v13, vcc_lo, v3, 1
	v_add_co_ci_u32_e32 v21, vcc_lo, 0, v5, vcc_lo
	v_cmp_ne_u32_e32 vcc_lo, 0, v9
	s_delay_alu instid0(VALU_DEP_2) | instskip(NEXT) | instid1(VALU_DEP_4)
	v_cndmask_b32_e32 v9, v21, v19, vcc_lo
	v_cndmask_b32_e32 v11, v13, v15, vcc_lo
	v_cmp_ne_u32_e32 vcc_lo, 0, v7
	v_xor_b32_e32 v7, s20, v17
	s_delay_alu instid0(VALU_DEP_3) | instskip(SKIP_2) | instid1(VALU_DEP_3)
	v_cndmask_b32_e32 v3, v3, v11, vcc_lo
	v_cndmask_b32_e32 v5, v5, v9, vcc_lo
	v_xor_b32_e32 v9, s21, v17
	v_xor_b32_e32 v3, v3, v7
	s_delay_alu instid0(VALU_DEP_2) | instskip(NEXT) | instid1(VALU_DEP_2)
	v_xor_b32_e32 v5, v5, v9
	v_sub_co_u32 v22, vcc_lo, v3, v7
	s_delay_alu instid0(VALU_DEP_2)
	v_sub_co_ci_u32_e32 v23, vcc_lo, v5, v9, vcc_lo
.LBB64_54:                              ;   in Loop: Header=BB64_24 Depth=2
	s_and_not1_saveexec_b32 s0, s54
	s_cbranch_execz .LBB64_56
; %bb.55:                               ;   in Loop: Header=BB64_24 Depth=2
	v_cvt_f32_u32_e32 v3, s53
	s_sub_i32 s20, 0, s53
	v_mov_b32_e32 v23, v2
	s_delay_alu instid0(VALU_DEP_2) | instskip(SKIP_2) | instid1(VALU_DEP_1)
	v_rcp_iflag_f32_e32 v3, v3
	s_waitcnt_depctr 0xfff
	v_mul_f32_e32 v3, 0x4f7ffffe, v3
	v_cvt_u32_f32_e32 v3, v3
	s_delay_alu instid0(VALU_DEP_1) | instskip(NEXT) | instid1(VALU_DEP_1)
	v_mul_lo_u32 v5, s20, v3
	v_mul_hi_u32 v5, v3, v5
	s_delay_alu instid0(VALU_DEP_1) | instskip(NEXT) | instid1(VALU_DEP_1)
	v_add_nc_u32_e32 v3, v3, v5
	v_mul_hi_u32 v3, v20, v3
	s_delay_alu instid0(VALU_DEP_1) | instskip(SKIP_1) | instid1(VALU_DEP_2)
	v_mul_lo_u32 v5, v3, s53
	v_add_nc_u32_e32 v7, 1, v3
	v_sub_nc_u32_e32 v5, v20, v5
	s_delay_alu instid0(VALU_DEP_1) | instskip(SKIP_1) | instid1(VALU_DEP_4)
	v_cmp_le_u32_e32 vcc_lo, s53, v5
	v_subrev_nc_u32_e32 v9, s53, v5
	v_cndmask_b32_e32 v3, v3, v7, vcc_lo
	s_delay_alu instid0(VALU_DEP_1) | instskip(NEXT) | instid1(VALU_DEP_3)
	v_add_nc_u32_e32 v7, 1, v3
	v_cndmask_b32_e32 v5, v5, v9, vcc_lo
	s_delay_alu instid0(VALU_DEP_1) | instskip(NEXT) | instid1(VALU_DEP_3)
	v_cmp_le_u32_e32 vcc_lo, s53, v5
	v_cndmask_b32_e32 v22, v3, v7, vcc_lo
.LBB64_56:                              ;   in Loop: Header=BB64_24 Depth=2
	s_or_b32 exec_lo, exec_lo, s0
	v_mul_lo_u32 v3, v8, s41
	v_mul_lo_u32 v5, v10, s43
	;; [unrolled: 1-line block ×4, first 2 shown]
	s_add_u32 s18, s30, s18
	s_addc_u32 s19, s1, s19
	v_mul_lo_u32 v11, v16, s49
	s_load_b32 s0, s[18:19], 0x0
	v_sub_nc_u32_e32 v3, v6, v3
	v_sub_nc_u32_e32 v5, v8, v5
	v_mul_lo_u32 v6, v18, s51
	v_sub_nc_u32_e32 v7, v10, v7
	v_sub_nc_u32_e32 v9, v12, v9
	v_mul_lo_u32 v3, s42, v3
	v_mul_lo_u32 v5, s44, v5
	;; [unrolled: 1-line block ×4, first 2 shown]
	v_sub_nc_u32_e32 v11, v14, v11
	v_sub_nc_u32_e32 v6, v16, v6
	v_mul_lo_u32 v7, s46, v7
	v_mul_lo_u32 v9, s48, v9
	s_add_i32 s16, s16, -8
	v_add3_u32 v3, v3, v4, v5
	v_mul_lo_u32 v4, s50, v11
	v_sub_nc_u32_e32 v5, v18, v8
	v_sub_nc_u32_e32 v8, v20, v10
	v_mul_lo_u32 v6, s14, v6
	s_cmp_eq_u32 s16, -8
	v_add3_u32 v3, v7, v3, v9
	v_mul_lo_u32 v5, s17, v5
	s_waitcnt lgkmcnt(0)
	v_mul_lo_u32 v7, s0, v8
	s_delay_alu instid0(VALU_DEP_3) | instskip(NEXT) | instid1(VALU_DEP_1)
	v_add3_u32 v3, v4, v3, v6
	v_add3_u32 v4, v5, v3, v7
	s_cbranch_scc1 .LBB64_58
; %bb.57:                               ;   in Loop: Header=BB64_24 Depth=2
	v_dual_mov_b32 v6, v22 :: v_dual_mov_b32 v7, v23
	s_branch .LBB64_24
.LBB64_58:                              ;   in Loop: Header=BB64_3 Depth=1
	s_load_b32 s0, s[12:13], 0x0
	s_waitcnt lgkmcnt(0)
	v_cmp_gt_i32_e32 vcc_lo, s0, v26
	s_and_b32 exec_lo, exec_lo, vcc_lo
	s_cbranch_execz .LBB64_2
; %bb.59:                               ;   in Loop: Header=BB64_3 Depth=1
	s_delay_alu instid0(VALU_DEP_2) | instskip(SKIP_1) | instid1(VALU_DEP_2)
	v_ashrrev_i32_e32 v5, 31, v4
	v_mov_b32_e32 v3, v2
	v_lshlrev_b64 v[6:7], 3, v[4:5]
	v_add_nc_u32_e32 v5, 1, v26
	s_delay_alu instid0(VALU_DEP_2) | instskip(NEXT) | instid1(VALU_DEP_3)
	v_add_co_u32 v6, vcc_lo, s2, v6
	v_add_co_ci_u32_e32 v7, vcc_lo, s3, v7, vcc_lo
	s_delay_alu instid0(VALU_DEP_3)
	v_cmp_gt_i32_e32 vcc_lo, s0, v5
	global_store_b64 v[6:7], v[2:3], off
	s_and_b32 exec_lo, exec_lo, vcc_lo
	s_cbranch_execz .LBB64_2
; %bb.60:                               ;   in Loop: Header=BB64_3 Depth=1
	v_sub_nc_u32_e32 v5, v5, v25
	s_delay_alu instid0(VALU_DEP_1) | instskip(NEXT) | instid1(VALU_DEP_1)
	v_ashrrev_i32_e32 v6, 31, v5
	v_cmp_gt_i64_e32 vcc_lo, s[4:5], v[5:6]
	s_and_b32 exec_lo, exec_lo, vcc_lo
	s_cbranch_execz .LBB64_2
; %bb.61:                               ;   in Loop: Header=BB64_3 Depth=1
	v_add_nc_u32_e32 v3, s40, v4
	s_delay_alu instid0(VALU_DEP_1) | instskip(NEXT) | instid1(VALU_DEP_1)
	v_ashrrev_i32_e32 v4, 31, v3
	v_lshlrev_b64 v[3:4], 3, v[3:4]
	s_delay_alu instid0(VALU_DEP_1) | instskip(NEXT) | instid1(VALU_DEP_2)
	v_add_co_u32 v5, vcc_lo, s2, v3
	v_add_co_ci_u32_e32 v6, vcc_lo, s3, v4, vcc_lo
	v_mov_b32_e32 v3, v2
	global_store_b64 v[5:6], v[2:3], off
	s_branch .LBB64_2
.LBB64_62:
	s_nop 0
	s_sendmsg sendmsg(MSG_DEALLOC_VGPRS)
	s_endpgm
	.section	.rodata,"a",@progbits
	.p2align	6, 0x0
	.amdhsa_kernel _ZN2at6native16triu_tril_kernelIliLb1ELi2ELb1EEEvNS_4cuda6detail10TensorInfoIT_T0_EENS4_IKS5_S6_EEllS6_
		.amdhsa_group_segment_fixed_size 0
		.amdhsa_private_segment_fixed_size 0
		.amdhsa_kernarg_size 712
		.amdhsa_user_sgpr_count 15
		.amdhsa_user_sgpr_dispatch_ptr 0
		.amdhsa_user_sgpr_queue_ptr 0
		.amdhsa_user_sgpr_kernarg_segment_ptr 1
		.amdhsa_user_sgpr_dispatch_id 0
		.amdhsa_user_sgpr_private_segment_size 0
		.amdhsa_wavefront_size32 1
		.amdhsa_uses_dynamic_stack 0
		.amdhsa_enable_private_segment 0
		.amdhsa_system_sgpr_workgroup_id_x 1
		.amdhsa_system_sgpr_workgroup_id_y 0
		.amdhsa_system_sgpr_workgroup_id_z 0
		.amdhsa_system_sgpr_workgroup_info 0
		.amdhsa_system_vgpr_workitem_id 0
		.amdhsa_next_free_vgpr 31
		.amdhsa_next_free_sgpr 56
		.amdhsa_reserve_vcc 1
		.amdhsa_float_round_mode_32 0
		.amdhsa_float_round_mode_16_64 0
		.amdhsa_float_denorm_mode_32 3
		.amdhsa_float_denorm_mode_16_64 3
		.amdhsa_dx10_clamp 1
		.amdhsa_ieee_mode 1
		.amdhsa_fp16_overflow 0
		.amdhsa_workgroup_processor_mode 1
		.amdhsa_memory_ordered 1
		.amdhsa_forward_progress 0
		.amdhsa_shared_vgpr_count 0
		.amdhsa_exception_fp_ieee_invalid_op 0
		.amdhsa_exception_fp_denorm_src 0
		.amdhsa_exception_fp_ieee_div_zero 0
		.amdhsa_exception_fp_ieee_overflow 0
		.amdhsa_exception_fp_ieee_underflow 0
		.amdhsa_exception_fp_ieee_inexact 0
		.amdhsa_exception_int_div_zero 0
	.end_amdhsa_kernel
	.section	.text._ZN2at6native16triu_tril_kernelIliLb1ELi2ELb1EEEvNS_4cuda6detail10TensorInfoIT_T0_EENS4_IKS5_S6_EEllS6_,"axG",@progbits,_ZN2at6native16triu_tril_kernelIliLb1ELi2ELb1EEEvNS_4cuda6detail10TensorInfoIT_T0_EENS4_IKS5_S6_EEllS6_,comdat
.Lfunc_end64:
	.size	_ZN2at6native16triu_tril_kernelIliLb1ELi2ELb1EEEvNS_4cuda6detail10TensorInfoIT_T0_EENS4_IKS5_S6_EEllS6_, .Lfunc_end64-_ZN2at6native16triu_tril_kernelIliLb1ELi2ELb1EEEvNS_4cuda6detail10TensorInfoIT_T0_EENS4_IKS5_S6_EEllS6_
                                        ; -- End function
	.section	.AMDGPU.csdata,"",@progbits
; Kernel info:
; codeLenInByte = 12388
; NumSgprs: 58
; NumVgprs: 31
; ScratchSize: 0
; MemoryBound: 0
; FloatMode: 240
; IeeeMode: 1
; LDSByteSize: 0 bytes/workgroup (compile time only)
; SGPRBlocks: 7
; VGPRBlocks: 3
; NumSGPRsForWavesPerEU: 58
; NumVGPRsForWavesPerEU: 31
; Occupancy: 16
; WaveLimiterHint : 0
; COMPUTE_PGM_RSRC2:SCRATCH_EN: 0
; COMPUTE_PGM_RSRC2:USER_SGPR: 15
; COMPUTE_PGM_RSRC2:TRAP_HANDLER: 0
; COMPUTE_PGM_RSRC2:TGID_X_EN: 1
; COMPUTE_PGM_RSRC2:TGID_Y_EN: 0
; COMPUTE_PGM_RSRC2:TGID_Z_EN: 0
; COMPUTE_PGM_RSRC2:TIDIG_COMP_CNT: 0
	.section	.text._ZN2at6native16triu_tril_kernelIliLb1ELi2ELb0EEEvNS_4cuda6detail10TensorInfoIT_T0_EENS4_IKS5_S6_EEllS6_,"axG",@progbits,_ZN2at6native16triu_tril_kernelIliLb1ELi2ELb0EEEvNS_4cuda6detail10TensorInfoIT_T0_EENS4_IKS5_S6_EEllS6_,comdat
	.protected	_ZN2at6native16triu_tril_kernelIliLb1ELi2ELb0EEEvNS_4cuda6detail10TensorInfoIT_T0_EENS4_IKS5_S6_EEllS6_ ; -- Begin function _ZN2at6native16triu_tril_kernelIliLb1ELi2ELb0EEEvNS_4cuda6detail10TensorInfoIT_T0_EENS4_IKS5_S6_EEllS6_
	.globl	_ZN2at6native16triu_tril_kernelIliLb1ELi2ELb0EEEvNS_4cuda6detail10TensorInfoIT_T0_EENS4_IKS5_S6_EEllS6_
	.p2align	8
	.type	_ZN2at6native16triu_tril_kernelIliLb1ELi2ELb0EEEvNS_4cuda6detail10TensorInfoIT_T0_EENS4_IKS5_S6_EEllS6_,@function
_ZN2at6native16triu_tril_kernelIliLb1ELi2ELb0EEEvNS_4cuda6detail10TensorInfoIT_T0_EENS4_IKS5_S6_EEllS6_: ; @_ZN2at6native16triu_tril_kernelIliLb1ELi2ELb0EEEvNS_4cuda6detail10TensorInfoIT_T0_EENS4_IKS5_S6_EEllS6_
; %bb.0:
	s_clause 0x1
	s_load_b32 s2, s[0:1], 0x1d4
	s_load_b128 s[4:7], s[0:1], 0x1b0
	v_mov_b32_e32 v2, 0
	s_add_u32 s8, s0, 0x1c8
	s_addc_u32 s9, s1, 0
	s_delay_alu instid0(VALU_DEP_1) | instskip(SKIP_3) | instid1(VALU_DEP_1)
	v_mov_b32_e32 v1, v2
	s_waitcnt lgkmcnt(0)
	s_and_b32 s10, s2, 0xffff
	s_mov_b32 s2, exec_lo
	v_mad_u64_u32 v[3:4], null, s10, s15, v[0:1]
	s_delay_alu instid0(VALU_DEP_1) | instskip(NEXT) | instid1(VALU_DEP_1)
	v_lshlrev_b64 v[0:1], 1, v[3:4]
	v_cmpx_gt_i64_e64 s[6:7], v[0:1]
	s_cbranch_execz .LBB65_49
; %bb.1:
	s_clause 0x1
	s_load_b32 s16, s[0:1], 0x1a8
	s_load_b32 s30, s[0:1], 0x1c0
	s_add_u32 s31, s0, 0xd8
	s_addc_u32 s33, s1, 0
	s_load_b32 s11, s[8:9], 0x0
	s_load_b64 s[2:3], s[0:1], 0xd8
	s_waitcnt lgkmcnt(0)
	s_ashr_i32 s17, s16, 31
	s_ashr_i32 s34, s30, 31
	s_lshl_b64 s[8:9], s[16:17], 2
	v_cvt_f32_u32_e32 v3, s30
	s_add_u32 s14, s8, -8
	s_addc_u32 s15, s9, -1
	s_add_u32 s12, s31, s14
	s_addc_u32 s13, s33, s15
	v_rcp_iflag_f32_e32 v3, v3
	s_load_b64 s[8:9], s[12:13], 0x8
	s_mul_i32 s18, s11, s10
	s_load_b64 s[10:11], s[12:13], 0x6c
	s_waitcnt_depctr 0xfff
	v_mul_f32_e32 v3, 0x4f7ffffe, v3
	s_delay_alu instid0(VALU_DEP_1)
	v_cvt_u32_f32_e32 v3, v3
	s_waitcnt lgkmcnt(0)
	s_ashr_i32 s35, s8, 31
	s_add_u32 s36, s0, 0x6c
	s_addc_u32 s37, s1, 0
	s_add_u32 s12, s36, s14
	s_addc_u32 s13, s37, s15
	s_and_b32 s39, s16, 3
	s_add_i32 s38, s16, -3
	s_lshl_b32 s40, s18, 1
	s_cmp_lg_u32 s39, 2
	s_load_b64 s[12:13], s[12:13], 0x0
	s_cselect_b32 s41, -1, 0
	s_cmp_gt_u32 s38, 2
	s_mov_b32 s18, s11
	s_cselect_b32 s42, -1, 0
	s_sub_i32 s14, 0, s30
	s_ashr_i32 s19, s11, 31
	v_mul_lo_u32 v4, s14, v3
	s_load_b64 s[14:15], s[0:1], 0x0
	v_cmp_gt_i64_e64 s1, s[16:17], 2
	s_mov_b32 s17, 0
	s_mov_b32 s11, 0
	s_delay_alu instid0(VALU_DEP_2) | instskip(SKIP_3) | instid1(VALU_DEP_1)
	v_mul_hi_u32 v4, v3, v4
	s_waitcnt lgkmcnt(0)
	s_ashr_i32 s21, s13, 31
	s_mov_b32 s20, s13
	v_add_nc_u32_e32 v18, v3, v4
	s_branch .LBB65_3
.LBB65_2:                               ;   in Loop: Header=BB65_3 Depth=1
	s_or_b32 exec_lo, exec_lo, s0
	v_add_co_u32 v0, vcc_lo, v0, s40
	v_add_co_ci_u32_e32 v1, vcc_lo, 0, v1, vcc_lo
	s_delay_alu instid0(VALU_DEP_1) | instskip(SKIP_1) | instid1(SALU_CYCLE_1)
	v_cmp_le_i64_e32 vcc_lo, s[6:7], v[0:1]
	s_or_b32 s11, vcc_lo, s11
	s_and_not1_b32 exec_lo, exec_lo, s11
	s_cbranch_execz .LBB65_49
.LBB65_3:                               ; =>This Loop Header: Depth=1
                                        ;     Child Loop BB65_14 Depth 2
                                        ;     Child Loop BB65_22 Depth 2
	v_or_b32_e32 v3, s34, v1
                                        ; implicit-def: $vgpr4_vgpr5
	s_mov_b32 s0, exec_lo
	s_delay_alu instid0(VALU_DEP_1)
	v_cmpx_ne_u64_e32 0, v[2:3]
	s_xor_b32 s13, exec_lo, s0
	s_cbranch_execz .LBB65_5
; %bb.4:                                ;   in Loop: Header=BB65_3 Depth=1
	s_add_u32 s24, s30, s34
	s_mov_b32 s22, s34
	s_mov_b32 s23, s34
	s_addc_u32 s25, s34, s34
	s_delay_alu instid0(SALU_CYCLE_1) | instskip(NEXT) | instid1(SALU_CYCLE_1)
	s_xor_b64 s[24:25], s[24:25], s[22:23]
	v_cvt_f32_u32_e32 v3, s24
	v_cvt_f32_u32_e32 v4, s25
	s_sub_u32 s0, 0, s24
	s_subb_u32 s16, 0, s25
	s_delay_alu instid0(VALU_DEP_1) | instskip(NEXT) | instid1(VALU_DEP_1)
	v_fmac_f32_e32 v3, 0x4f800000, v4
	v_rcp_f32_e32 v3, v3
	s_waitcnt_depctr 0xfff
	v_mul_f32_e32 v3, 0x5f7ffffc, v3
	s_delay_alu instid0(VALU_DEP_1) | instskip(NEXT) | instid1(VALU_DEP_1)
	v_mul_f32_e32 v4, 0x2f800000, v3
	v_trunc_f32_e32 v4, v4
	s_delay_alu instid0(VALU_DEP_1) | instskip(SKIP_1) | instid1(VALU_DEP_2)
	v_fmac_f32_e32 v3, 0xcf800000, v4
	v_cvt_u32_f32_e32 v4, v4
	v_cvt_u32_f32_e32 v3, v3
	s_delay_alu instid0(VALU_DEP_2) | instskip(NEXT) | instid1(VALU_DEP_2)
	v_mul_lo_u32 v5, s0, v4
	v_mul_hi_u32 v6, s0, v3
	v_mul_lo_u32 v7, s16, v3
	s_delay_alu instid0(VALU_DEP_2) | instskip(SKIP_1) | instid1(VALU_DEP_2)
	v_add_nc_u32_e32 v5, v6, v5
	v_mul_lo_u32 v6, s0, v3
	v_add_nc_u32_e32 v5, v5, v7
	s_delay_alu instid0(VALU_DEP_2) | instskip(NEXT) | instid1(VALU_DEP_2)
	v_mul_hi_u32 v7, v3, v6
	v_mul_lo_u32 v8, v3, v5
	v_mul_hi_u32 v9, v3, v5
	v_mul_hi_u32 v10, v4, v6
	v_mul_lo_u32 v6, v4, v6
	v_mul_hi_u32 v11, v4, v5
	v_mul_lo_u32 v5, v4, v5
	v_add_co_u32 v7, vcc_lo, v7, v8
	v_add_co_ci_u32_e32 v8, vcc_lo, 0, v9, vcc_lo
	s_delay_alu instid0(VALU_DEP_2) | instskip(NEXT) | instid1(VALU_DEP_2)
	v_add_co_u32 v6, vcc_lo, v7, v6
	v_add_co_ci_u32_e32 v6, vcc_lo, v8, v10, vcc_lo
	v_add_co_ci_u32_e32 v7, vcc_lo, 0, v11, vcc_lo
	v_ashrrev_i32_e32 v10, 31, v1
	s_delay_alu instid0(VALU_DEP_3) | instskip(NEXT) | instid1(VALU_DEP_3)
	v_add_co_u32 v5, vcc_lo, v6, v5
	v_add_co_ci_u32_e32 v6, vcc_lo, 0, v7, vcc_lo
	s_delay_alu instid0(VALU_DEP_2) | instskip(NEXT) | instid1(VALU_DEP_2)
	v_add_co_u32 v3, vcc_lo, v3, v5
	v_add_co_ci_u32_e32 v4, vcc_lo, v4, v6, vcc_lo
	s_delay_alu instid0(VALU_DEP_2) | instskip(SKIP_1) | instid1(VALU_DEP_3)
	v_mul_hi_u32 v5, s0, v3
	v_mul_lo_u32 v7, s16, v3
	v_mul_lo_u32 v6, s0, v4
	s_delay_alu instid0(VALU_DEP_1) | instskip(SKIP_1) | instid1(VALU_DEP_2)
	v_add_nc_u32_e32 v5, v5, v6
	v_mul_lo_u32 v6, s0, v3
	v_add_nc_u32_e32 v5, v5, v7
	s_delay_alu instid0(VALU_DEP_2) | instskip(NEXT) | instid1(VALU_DEP_2)
	v_mul_hi_u32 v7, v3, v6
	v_mul_lo_u32 v8, v3, v5
	v_mul_hi_u32 v9, v3, v5
	v_mul_hi_u32 v11, v4, v6
	v_mul_lo_u32 v6, v4, v6
	v_mul_hi_u32 v12, v4, v5
	v_mul_lo_u32 v5, v4, v5
	v_add_co_u32 v7, vcc_lo, v7, v8
	v_add_co_ci_u32_e32 v8, vcc_lo, 0, v9, vcc_lo
	s_delay_alu instid0(VALU_DEP_2) | instskip(NEXT) | instid1(VALU_DEP_2)
	v_add_co_u32 v6, vcc_lo, v7, v6
	v_add_co_ci_u32_e32 v6, vcc_lo, v8, v11, vcc_lo
	v_add_co_ci_u32_e32 v7, vcc_lo, 0, v12, vcc_lo
	v_add_co_u32 v8, vcc_lo, v0, v10
	v_add_co_ci_u32_e32 v9, vcc_lo, v1, v10, vcc_lo
	s_delay_alu instid0(VALU_DEP_4) | instskip(NEXT) | instid1(VALU_DEP_4)
	v_add_co_u32 v5, vcc_lo, v6, v5
	v_add_co_ci_u32_e32 v6, vcc_lo, 0, v7, vcc_lo
	s_delay_alu instid0(VALU_DEP_4) | instskip(NEXT) | instid1(VALU_DEP_3)
	v_xor_b32_e32 v11, v8, v10
	v_add_co_u32 v7, vcc_lo, v3, v5
	s_delay_alu instid0(VALU_DEP_3) | instskip(SKIP_1) | instid1(VALU_DEP_3)
	v_add_co_ci_u32_e32 v12, vcc_lo, v4, v6, vcc_lo
	v_xor_b32_e32 v9, v9, v10
	v_mul_hi_u32 v13, v11, v7
	s_delay_alu instid0(VALU_DEP_3) | instskip(NEXT) | instid1(VALU_DEP_3)
	v_mad_u64_u32 v[3:4], null, v11, v12, 0
	v_mad_u64_u32 v[5:6], null, v9, v7, 0
	;; [unrolled: 1-line block ×3, first 2 shown]
	s_delay_alu instid0(VALU_DEP_3) | instskip(NEXT) | instid1(VALU_DEP_4)
	v_add_co_u32 v3, vcc_lo, v13, v3
	v_add_co_ci_u32_e32 v4, vcc_lo, 0, v4, vcc_lo
	s_delay_alu instid0(VALU_DEP_2) | instskip(NEXT) | instid1(VALU_DEP_2)
	v_add_co_u32 v3, vcc_lo, v3, v5
	v_add_co_ci_u32_e32 v3, vcc_lo, v4, v6, vcc_lo
	v_add_co_ci_u32_e32 v4, vcc_lo, 0, v8, vcc_lo
	s_delay_alu instid0(VALU_DEP_2) | instskip(NEXT) | instid1(VALU_DEP_2)
	v_add_co_u32 v5, vcc_lo, v3, v7
	v_add_co_ci_u32_e32 v6, vcc_lo, 0, v4, vcc_lo
	s_delay_alu instid0(VALU_DEP_2) | instskip(SKIP_1) | instid1(VALU_DEP_3)
	v_mul_lo_u32 v7, s25, v5
	v_mad_u64_u32 v[3:4], null, s24, v5, 0
	v_mul_lo_u32 v8, s24, v6
	s_delay_alu instid0(VALU_DEP_2) | instskip(NEXT) | instid1(VALU_DEP_2)
	v_sub_co_u32 v3, vcc_lo, v11, v3
	v_add3_u32 v4, v4, v8, v7
	s_delay_alu instid0(VALU_DEP_1) | instskip(NEXT) | instid1(VALU_DEP_1)
	v_sub_nc_u32_e32 v7, v9, v4
	v_subrev_co_ci_u32_e64 v7, s0, s25, v7, vcc_lo
	v_add_co_u32 v8, s0, v5, 2
	s_delay_alu instid0(VALU_DEP_1) | instskip(SKIP_3) | instid1(VALU_DEP_3)
	v_add_co_ci_u32_e64 v11, s0, 0, v6, s0
	v_sub_co_u32 v12, s0, v3, s24
	v_sub_co_ci_u32_e32 v4, vcc_lo, v9, v4, vcc_lo
	v_subrev_co_ci_u32_e64 v7, s0, 0, v7, s0
	v_cmp_le_u32_e32 vcc_lo, s24, v12
	s_delay_alu instid0(VALU_DEP_3) | instskip(SKIP_1) | instid1(VALU_DEP_4)
	v_cmp_eq_u32_e64 s0, s25, v4
	v_cndmask_b32_e64 v9, 0, -1, vcc_lo
	v_cmp_le_u32_e32 vcc_lo, s25, v7
	v_cndmask_b32_e64 v12, 0, -1, vcc_lo
	v_cmp_le_u32_e32 vcc_lo, s24, v3
	;; [unrolled: 2-line block ×3, first 2 shown]
	v_cndmask_b32_e64 v13, 0, -1, vcc_lo
	v_cmp_eq_u32_e32 vcc_lo, s25, v7
	s_delay_alu instid0(VALU_DEP_2) | instskip(SKIP_3) | instid1(VALU_DEP_3)
	v_cndmask_b32_e64 v3, v13, v3, s0
	v_cndmask_b32_e32 v7, v12, v9, vcc_lo
	v_add_co_u32 v9, vcc_lo, v5, 1
	v_add_co_ci_u32_e32 v12, vcc_lo, 0, v6, vcc_lo
	v_cmp_ne_u32_e32 vcc_lo, 0, v7
	s_delay_alu instid0(VALU_DEP_2) | instskip(SKIP_2) | instid1(VALU_DEP_3)
	v_dual_cndmask_b32 v4, v12, v11 :: v_dual_cndmask_b32 v7, v9, v8
	v_cmp_ne_u32_e32 vcc_lo, 0, v3
	v_xor_b32_e32 v3, s22, v10
	v_dual_cndmask_b32 v5, v5, v7 :: v_dual_cndmask_b32 v4, v6, v4
	v_xor_b32_e32 v6, s23, v10
	s_delay_alu instid0(VALU_DEP_2) | instskip(NEXT) | instid1(VALU_DEP_2)
	v_xor_b32_e32 v5, v5, v3
	v_xor_b32_e32 v7, v4, v6
	s_delay_alu instid0(VALU_DEP_2) | instskip(NEXT) | instid1(VALU_DEP_2)
	v_sub_co_u32 v4, vcc_lo, v5, v3
	v_sub_co_ci_u32_e32 v5, vcc_lo, v7, v6, vcc_lo
.LBB65_5:                               ;   in Loop: Header=BB65_3 Depth=1
	s_and_not1_saveexec_b32 s0, s13
; %bb.6:                                ;   in Loop: Header=BB65_3 Depth=1
	v_mul_hi_u32 v3, v0, v18
	s_delay_alu instid0(VALU_DEP_1) | instskip(NEXT) | instid1(VALU_DEP_1)
	v_mul_lo_u32 v4, v3, s30
	v_sub_nc_u32_e32 v4, v0, v4
	s_delay_alu instid0(VALU_DEP_1) | instskip(SKIP_1) | instid1(VALU_DEP_2)
	v_subrev_nc_u32_e32 v6, s30, v4
	v_cmp_le_u32_e32 vcc_lo, s30, v4
	v_dual_cndmask_b32 v4, v4, v6 :: v_dual_add_nc_u32 v5, 1, v3
	s_delay_alu instid0(VALU_DEP_1) | instskip(NEXT) | instid1(VALU_DEP_2)
	v_cndmask_b32_e32 v3, v3, v5, vcc_lo
	v_cmp_le_u32_e32 vcc_lo, s30, v4
	s_delay_alu instid0(VALU_DEP_2) | instskip(NEXT) | instid1(VALU_DEP_1)
	v_add_nc_u32_e32 v5, 1, v3
	v_dual_cndmask_b32 v4, v3, v5 :: v_dual_mov_b32 v5, v2
; %bb.7:                                ;   in Loop: Header=BB65_3 Depth=1
	s_or_b32 exec_lo, exec_lo, s0
	s_delay_alu instid0(VALU_DEP_1) | instskip(SKIP_1) | instid1(VALU_DEP_1)
	v_or_b32_e32 v3, s35, v5
                                        ; implicit-def: $vgpr8_vgpr9
	s_mov_b32 s0, exec_lo
	v_cmpx_ne_u64_e32 0, v[2:3]
	s_xor_b32 s13, exec_lo, s0
	s_cbranch_execz .LBB65_9
; %bb.8:                                ;   in Loop: Header=BB65_3 Depth=1
	s_add_u32 s24, s8, s35
	s_mov_b32 s22, s35
	s_mov_b32 s23, s35
	s_addc_u32 s25, s35, s35
	s_delay_alu instid0(SALU_CYCLE_1) | instskip(NEXT) | instid1(SALU_CYCLE_1)
	s_xor_b64 s[24:25], s[24:25], s[22:23]
	v_cvt_f32_u32_e32 v3, s24
	v_cvt_f32_u32_e32 v6, s25
	s_sub_u32 s0, 0, s24
	s_subb_u32 s16, 0, s25
	s_delay_alu instid0(VALU_DEP_1) | instskip(NEXT) | instid1(VALU_DEP_1)
	v_fmac_f32_e32 v3, 0x4f800000, v6
	v_rcp_f32_e32 v3, v3
	s_waitcnt_depctr 0xfff
	v_mul_f32_e32 v3, 0x5f7ffffc, v3
	s_delay_alu instid0(VALU_DEP_1) | instskip(NEXT) | instid1(VALU_DEP_1)
	v_mul_f32_e32 v6, 0x2f800000, v3
	v_trunc_f32_e32 v6, v6
	s_delay_alu instid0(VALU_DEP_1) | instskip(SKIP_1) | instid1(VALU_DEP_2)
	v_fmac_f32_e32 v3, 0xcf800000, v6
	v_cvt_u32_f32_e32 v6, v6
	v_cvt_u32_f32_e32 v3, v3
	s_delay_alu instid0(VALU_DEP_2) | instskip(NEXT) | instid1(VALU_DEP_2)
	v_mul_lo_u32 v7, s0, v6
	v_mul_hi_u32 v8, s0, v3
	v_mul_lo_u32 v9, s16, v3
	s_delay_alu instid0(VALU_DEP_2) | instskip(SKIP_1) | instid1(VALU_DEP_2)
	v_add_nc_u32_e32 v7, v8, v7
	v_mul_lo_u32 v8, s0, v3
	v_add_nc_u32_e32 v7, v7, v9
	s_delay_alu instid0(VALU_DEP_2) | instskip(NEXT) | instid1(VALU_DEP_2)
	v_mul_hi_u32 v9, v3, v8
	v_mul_lo_u32 v10, v3, v7
	v_mul_hi_u32 v11, v3, v7
	v_mul_hi_u32 v12, v6, v8
	v_mul_lo_u32 v8, v6, v8
	v_mul_hi_u32 v13, v6, v7
	v_mul_lo_u32 v7, v6, v7
	v_add_co_u32 v9, vcc_lo, v9, v10
	v_add_co_ci_u32_e32 v10, vcc_lo, 0, v11, vcc_lo
	s_delay_alu instid0(VALU_DEP_2) | instskip(NEXT) | instid1(VALU_DEP_2)
	v_add_co_u32 v8, vcc_lo, v9, v8
	v_add_co_ci_u32_e32 v8, vcc_lo, v10, v12, vcc_lo
	v_add_co_ci_u32_e32 v9, vcc_lo, 0, v13, vcc_lo
	v_ashrrev_i32_e32 v12, 31, v5
	s_delay_alu instid0(VALU_DEP_3) | instskip(NEXT) | instid1(VALU_DEP_3)
	v_add_co_u32 v7, vcc_lo, v8, v7
	v_add_co_ci_u32_e32 v8, vcc_lo, 0, v9, vcc_lo
	s_delay_alu instid0(VALU_DEP_2) | instskip(NEXT) | instid1(VALU_DEP_2)
	v_add_co_u32 v3, vcc_lo, v3, v7
	v_add_co_ci_u32_e32 v6, vcc_lo, v6, v8, vcc_lo
	s_delay_alu instid0(VALU_DEP_2) | instskip(SKIP_1) | instid1(VALU_DEP_3)
	v_mul_hi_u32 v7, s0, v3
	v_mul_lo_u32 v9, s16, v3
	v_mul_lo_u32 v8, s0, v6
	s_delay_alu instid0(VALU_DEP_1) | instskip(SKIP_1) | instid1(VALU_DEP_2)
	v_add_nc_u32_e32 v7, v7, v8
	v_mul_lo_u32 v8, s0, v3
	v_add_nc_u32_e32 v7, v7, v9
	s_delay_alu instid0(VALU_DEP_2) | instskip(NEXT) | instid1(VALU_DEP_2)
	v_mul_hi_u32 v9, v3, v8
	v_mul_lo_u32 v10, v3, v7
	v_mul_hi_u32 v11, v3, v7
	v_mul_hi_u32 v13, v6, v8
	v_mul_lo_u32 v8, v6, v8
	v_mul_hi_u32 v14, v6, v7
	v_mul_lo_u32 v7, v6, v7
	v_add_co_u32 v9, vcc_lo, v9, v10
	v_add_co_ci_u32_e32 v10, vcc_lo, 0, v11, vcc_lo
	s_delay_alu instid0(VALU_DEP_2) | instskip(NEXT) | instid1(VALU_DEP_2)
	v_add_co_u32 v8, vcc_lo, v9, v8
	v_add_co_ci_u32_e32 v8, vcc_lo, v10, v13, vcc_lo
	v_add_co_ci_u32_e32 v9, vcc_lo, 0, v14, vcc_lo
	v_add_co_u32 v10, vcc_lo, v4, v12
	v_add_co_ci_u32_e32 v5, vcc_lo, v5, v12, vcc_lo
	s_delay_alu instid0(VALU_DEP_4) | instskip(NEXT) | instid1(VALU_DEP_4)
	v_add_co_u32 v7, vcc_lo, v8, v7
	v_add_co_ci_u32_e32 v8, vcc_lo, 0, v9, vcc_lo
	s_delay_alu instid0(VALU_DEP_4) | instskip(NEXT) | instid1(VALU_DEP_3)
	v_xor_b32_e32 v11, v10, v12
	v_add_co_u32 v3, vcc_lo, v3, v7
	s_delay_alu instid0(VALU_DEP_3) | instskip(SKIP_1) | instid1(VALU_DEP_3)
	v_add_co_ci_u32_e32 v13, vcc_lo, v6, v8, vcc_lo
	v_xor_b32_e32 v14, v5, v12
	v_mul_hi_u32 v15, v11, v3
	s_delay_alu instid0(VALU_DEP_3) | instskip(NEXT) | instid1(VALU_DEP_3)
	v_mad_u64_u32 v[5:6], null, v11, v13, 0
	v_mad_u64_u32 v[7:8], null, v14, v3, 0
	v_mad_u64_u32 v[9:10], null, v14, v13, 0
	s_delay_alu instid0(VALU_DEP_3) | instskip(NEXT) | instid1(VALU_DEP_4)
	v_add_co_u32 v3, vcc_lo, v15, v5
	v_add_co_ci_u32_e32 v5, vcc_lo, 0, v6, vcc_lo
	s_delay_alu instid0(VALU_DEP_2) | instskip(NEXT) | instid1(VALU_DEP_2)
	v_add_co_u32 v3, vcc_lo, v3, v7
	v_add_co_ci_u32_e32 v3, vcc_lo, v5, v8, vcc_lo
	v_add_co_ci_u32_e32 v5, vcc_lo, 0, v10, vcc_lo
	s_delay_alu instid0(VALU_DEP_2) | instskip(NEXT) | instid1(VALU_DEP_2)
	v_add_co_u32 v3, vcc_lo, v3, v9
	v_add_co_ci_u32_e32 v7, vcc_lo, 0, v5, vcc_lo
	s_delay_alu instid0(VALU_DEP_2) | instskip(SKIP_1) | instid1(VALU_DEP_3)
	v_mul_lo_u32 v8, s25, v3
	v_mad_u64_u32 v[5:6], null, s24, v3, 0
	v_mul_lo_u32 v9, s24, v7
	s_delay_alu instid0(VALU_DEP_2) | instskip(NEXT) | instid1(VALU_DEP_2)
	v_sub_co_u32 v5, vcc_lo, v11, v5
	v_add3_u32 v6, v6, v9, v8
	s_delay_alu instid0(VALU_DEP_1) | instskip(NEXT) | instid1(VALU_DEP_1)
	v_sub_nc_u32_e32 v8, v14, v6
	v_subrev_co_ci_u32_e64 v8, s0, s25, v8, vcc_lo
	v_add_co_u32 v9, s0, v3, 2
	s_delay_alu instid0(VALU_DEP_1) | instskip(SKIP_3) | instid1(VALU_DEP_3)
	v_add_co_ci_u32_e64 v10, s0, 0, v7, s0
	v_sub_co_u32 v11, s0, v5, s24
	v_sub_co_ci_u32_e32 v6, vcc_lo, v14, v6, vcc_lo
	v_subrev_co_ci_u32_e64 v8, s0, 0, v8, s0
	v_cmp_le_u32_e32 vcc_lo, s24, v11
	s_delay_alu instid0(VALU_DEP_3) | instskip(SKIP_1) | instid1(VALU_DEP_4)
	v_cmp_eq_u32_e64 s0, s25, v6
	v_cndmask_b32_e64 v11, 0, -1, vcc_lo
	v_cmp_le_u32_e32 vcc_lo, s25, v8
	v_cndmask_b32_e64 v13, 0, -1, vcc_lo
	v_cmp_le_u32_e32 vcc_lo, s24, v5
	;; [unrolled: 2-line block ×3, first 2 shown]
	v_cndmask_b32_e64 v14, 0, -1, vcc_lo
	v_cmp_eq_u32_e32 vcc_lo, s25, v8
	s_delay_alu instid0(VALU_DEP_2) | instskip(SKIP_3) | instid1(VALU_DEP_3)
	v_cndmask_b32_e64 v5, v14, v5, s0
	v_cndmask_b32_e32 v8, v13, v11, vcc_lo
	v_add_co_u32 v11, vcc_lo, v3, 1
	v_add_co_ci_u32_e32 v13, vcc_lo, 0, v7, vcc_lo
	v_cmp_ne_u32_e32 vcc_lo, 0, v8
	s_delay_alu instid0(VALU_DEP_3) | instskip(NEXT) | instid1(VALU_DEP_3)
	v_cndmask_b32_e32 v8, v11, v9, vcc_lo
	v_cndmask_b32_e32 v6, v13, v10, vcc_lo
	v_cmp_ne_u32_e32 vcc_lo, 0, v5
	v_xor_b32_e32 v5, s22, v12
	s_delay_alu instid0(VALU_DEP_4) | instskip(NEXT) | instid1(VALU_DEP_4)
	v_cndmask_b32_e32 v3, v3, v8, vcc_lo
	v_cndmask_b32_e32 v6, v7, v6, vcc_lo
	v_xor_b32_e32 v7, s23, v12
	s_delay_alu instid0(VALU_DEP_3) | instskip(NEXT) | instid1(VALU_DEP_2)
	v_xor_b32_e32 v3, v3, v5
	v_xor_b32_e32 v6, v6, v7
	s_delay_alu instid0(VALU_DEP_2) | instskip(NEXT) | instid1(VALU_DEP_2)
	v_sub_co_u32 v8, vcc_lo, v3, v5
	v_sub_co_ci_u32_e32 v9, vcc_lo, v6, v7, vcc_lo
.LBB65_9:                               ;   in Loop: Header=BB65_3 Depth=1
	s_and_not1_saveexec_b32 s0, s13
	s_cbranch_execz .LBB65_11
; %bb.10:                               ;   in Loop: Header=BB65_3 Depth=1
	v_cvt_f32_u32_e32 v3, s8
	s_sub_i32 s13, 0, s8
	v_mov_b32_e32 v9, v2
	s_delay_alu instid0(VALU_DEP_2) | instskip(SKIP_2) | instid1(VALU_DEP_1)
	v_rcp_iflag_f32_e32 v3, v3
	s_waitcnt_depctr 0xfff
	v_mul_f32_e32 v3, 0x4f7ffffe, v3
	v_cvt_u32_f32_e32 v3, v3
	s_delay_alu instid0(VALU_DEP_1) | instskip(NEXT) | instid1(VALU_DEP_1)
	v_mul_lo_u32 v5, s13, v3
	v_mul_hi_u32 v5, v3, v5
	s_delay_alu instid0(VALU_DEP_1) | instskip(NEXT) | instid1(VALU_DEP_1)
	v_add_nc_u32_e32 v3, v3, v5
	v_mul_hi_u32 v3, v4, v3
	s_delay_alu instid0(VALU_DEP_1) | instskip(SKIP_1) | instid1(VALU_DEP_2)
	v_mul_lo_u32 v5, v3, s8
	v_add_nc_u32_e32 v6, 1, v3
	v_sub_nc_u32_e32 v5, v4, v5
	s_delay_alu instid0(VALU_DEP_1) | instskip(SKIP_1) | instid1(VALU_DEP_4)
	v_cmp_le_u32_e32 vcc_lo, s8, v5
	v_subrev_nc_u32_e32 v7, s8, v5
	v_cndmask_b32_e32 v3, v3, v6, vcc_lo
	s_delay_alu instid0(VALU_DEP_1) | instskip(NEXT) | instid1(VALU_DEP_3)
	v_add_nc_u32_e32 v6, 1, v3
	v_cndmask_b32_e32 v5, v5, v7, vcc_lo
	s_delay_alu instid0(VALU_DEP_1) | instskip(NEXT) | instid1(VALU_DEP_3)
	v_cmp_le_u32_e32 vcc_lo, s8, v5
	v_cndmask_b32_e32 v8, v3, v6, vcc_lo
.LBB65_11:                              ;   in Loop: Header=BB65_3 Depth=1
	s_or_b32 exec_lo, exec_lo, s0
	v_mad_u64_u32 v[5:6], null, v4, s30, 0
	s_delay_alu instid0(VALU_DEP_2) | instskip(SKIP_1) | instid1(VALU_DEP_2)
	v_mad_u64_u32 v[6:7], null, v8, s8, 0
	s_and_not1_b32 vcc_lo, exec_lo, s1
	v_sub_co_u32 v19, null, v0, v5
	s_delay_alu instid0(VALU_DEP_2) | instskip(NEXT) | instid1(VALU_DEP_2)
	v_sub_co_u32 v20, null, v4, v6
	v_mul_lo_u32 v3, s18, v19
	v_mul_lo_u32 v10, s20, v19
	s_delay_alu instid0(VALU_DEP_2) | instskip(NEXT) | instid1(VALU_DEP_2)
	v_mad_u64_u32 v[6:7], null, s10, v20, v[3:4]
	v_mad_u64_u32 v[4:5], null, s12, v20, v[10:11]
	s_cbranch_vccnz .LBB65_40
; %bb.12:                               ;   in Loop: Header=BB65_3 Depth=1
	s_and_not1_b32 vcc_lo, exec_lo, s41
	s_mov_b32 s13, 1
	s_cbranch_vccnz .LBB65_20
; %bb.13:                               ;   in Loop: Header=BB65_3 Depth=1
	v_dual_mov_b32 v11, v9 :: v_dual_mov_b32 v10, v8
	s_mov_b32 s16, s38
.LBB65_14:                              ;   Parent Loop BB65_3 Depth=1
                                        ; =>  This Inner Loop Header: Depth=2
	s_delay_alu instid0(SALU_CYCLE_1)
	s_lshl_b64 s[24:25], s[16:17], 2
                                        ; implicit-def: $vgpr8_vgpr9
	s_mov_b32 s26, exec_lo
	s_add_u32 s22, s31, s24
	s_addc_u32 s23, s33, s25
	s_load_b32 s43, s[22:23], 0x8
	s_waitcnt lgkmcnt(0)
	s_ashr_i32 s0, s43, 31
	s_delay_alu instid0(SALU_CYCLE_1) | instskip(NEXT) | instid1(VALU_DEP_1)
	v_or_b32_e32 v3, s0, v11
	v_cmpx_ne_u64_e32 0, v[2:3]
	s_xor_b32 s44, exec_lo, s26
	s_cbranch_execz .LBB65_16
; %bb.15:                               ;   in Loop: Header=BB65_14 Depth=2
	s_add_u32 s28, s43, s0
	s_mov_b32 s26, s0
	s_mov_b32 s27, s0
	s_addc_u32 s29, s0, s0
	s_delay_alu instid0(SALU_CYCLE_1) | instskip(NEXT) | instid1(SALU_CYCLE_1)
	s_xor_b64 s[28:29], s[28:29], s[26:27]
	v_cvt_f32_u32_e32 v3, s28
	v_cvt_f32_u32_e32 v5, s29
	s_sub_u32 s0, 0, s28
	s_subb_u32 s45, 0, s29
	s_delay_alu instid0(VALU_DEP_1) | instskip(NEXT) | instid1(VALU_DEP_1)
	v_fmac_f32_e32 v3, 0x4f800000, v5
	v_rcp_f32_e32 v3, v3
	s_waitcnt_depctr 0xfff
	v_mul_f32_e32 v3, 0x5f7ffffc, v3
	s_delay_alu instid0(VALU_DEP_1) | instskip(NEXT) | instid1(VALU_DEP_1)
	v_mul_f32_e32 v5, 0x2f800000, v3
	v_trunc_f32_e32 v5, v5
	s_delay_alu instid0(VALU_DEP_1) | instskip(SKIP_1) | instid1(VALU_DEP_2)
	v_fmac_f32_e32 v3, 0xcf800000, v5
	v_cvt_u32_f32_e32 v5, v5
	v_cvt_u32_f32_e32 v3, v3
	s_delay_alu instid0(VALU_DEP_2) | instskip(NEXT) | instid1(VALU_DEP_2)
	v_mul_lo_u32 v7, s0, v5
	v_mul_hi_u32 v8, s0, v3
	v_mul_lo_u32 v9, s45, v3
	s_delay_alu instid0(VALU_DEP_2) | instskip(SKIP_1) | instid1(VALU_DEP_2)
	v_add_nc_u32_e32 v7, v8, v7
	v_mul_lo_u32 v8, s0, v3
	v_add_nc_u32_e32 v7, v7, v9
	s_delay_alu instid0(VALU_DEP_2) | instskip(NEXT) | instid1(VALU_DEP_2)
	v_mul_hi_u32 v9, v3, v8
	v_mul_lo_u32 v12, v3, v7
	v_mul_hi_u32 v13, v3, v7
	v_mul_hi_u32 v14, v5, v8
	v_mul_lo_u32 v8, v5, v8
	v_mul_hi_u32 v15, v5, v7
	v_mul_lo_u32 v7, v5, v7
	v_add_co_u32 v9, vcc_lo, v9, v12
	v_add_co_ci_u32_e32 v12, vcc_lo, 0, v13, vcc_lo
	s_delay_alu instid0(VALU_DEP_2) | instskip(NEXT) | instid1(VALU_DEP_2)
	v_add_co_u32 v8, vcc_lo, v9, v8
	v_add_co_ci_u32_e32 v8, vcc_lo, v12, v14, vcc_lo
	v_add_co_ci_u32_e32 v9, vcc_lo, 0, v15, vcc_lo
	v_ashrrev_i32_e32 v15, 31, v11
	s_delay_alu instid0(VALU_DEP_3) | instskip(NEXT) | instid1(VALU_DEP_3)
	v_add_co_u32 v7, vcc_lo, v8, v7
	v_add_co_ci_u32_e32 v8, vcc_lo, 0, v9, vcc_lo
	s_delay_alu instid0(VALU_DEP_2) | instskip(NEXT) | instid1(VALU_DEP_2)
	v_add_co_u32 v3, vcc_lo, v3, v7
	v_add_co_ci_u32_e32 v5, vcc_lo, v5, v8, vcc_lo
	s_delay_alu instid0(VALU_DEP_2) | instskip(SKIP_1) | instid1(VALU_DEP_3)
	v_mul_hi_u32 v7, s0, v3
	v_mul_lo_u32 v9, s45, v3
	v_mul_lo_u32 v8, s0, v5
	s_delay_alu instid0(VALU_DEP_1) | instskip(SKIP_1) | instid1(VALU_DEP_2)
	v_add_nc_u32_e32 v7, v7, v8
	v_mul_lo_u32 v8, s0, v3
	v_add_nc_u32_e32 v7, v7, v9
	s_delay_alu instid0(VALU_DEP_2) | instskip(NEXT) | instid1(VALU_DEP_2)
	v_mul_hi_u32 v9, v3, v8
	v_mul_lo_u32 v12, v3, v7
	v_mul_hi_u32 v13, v3, v7
	v_mul_hi_u32 v14, v5, v8
	v_mul_lo_u32 v8, v5, v8
	v_mul_hi_u32 v16, v5, v7
	v_mul_lo_u32 v7, v5, v7
	v_add_co_u32 v9, vcc_lo, v9, v12
	v_add_co_ci_u32_e32 v12, vcc_lo, 0, v13, vcc_lo
	s_delay_alu instid0(VALU_DEP_2) | instskip(NEXT) | instid1(VALU_DEP_2)
	v_add_co_u32 v8, vcc_lo, v9, v8
	v_add_co_ci_u32_e32 v8, vcc_lo, v12, v14, vcc_lo
	v_add_co_ci_u32_e32 v9, vcc_lo, 0, v16, vcc_lo
	v_add_co_u32 v12, vcc_lo, v10, v15
	v_add_co_ci_u32_e32 v11, vcc_lo, v11, v15, vcc_lo
	s_delay_alu instid0(VALU_DEP_4) | instskip(NEXT) | instid1(VALU_DEP_4)
	v_add_co_u32 v7, vcc_lo, v8, v7
	v_add_co_ci_u32_e32 v8, vcc_lo, 0, v9, vcc_lo
	s_delay_alu instid0(VALU_DEP_4) | instskip(NEXT) | instid1(VALU_DEP_3)
	v_xor_b32_e32 v9, v12, v15
	v_add_co_u32 v3, vcc_lo, v3, v7
	s_delay_alu instid0(VALU_DEP_3) | instskip(SKIP_1) | instid1(VALU_DEP_3)
	v_add_co_ci_u32_e32 v5, vcc_lo, v5, v8, vcc_lo
	v_xor_b32_e32 v16, v11, v15
	v_mul_hi_u32 v17, v9, v3
	s_delay_alu instid0(VALU_DEP_3) | instskip(NEXT) | instid1(VALU_DEP_3)
	v_mad_u64_u32 v[7:8], null, v9, v5, 0
	v_mad_u64_u32 v[11:12], null, v16, v3, 0
	;; [unrolled: 1-line block ×3, first 2 shown]
	s_delay_alu instid0(VALU_DEP_3) | instskip(NEXT) | instid1(VALU_DEP_4)
	v_add_co_u32 v3, vcc_lo, v17, v7
	v_add_co_ci_u32_e32 v5, vcc_lo, 0, v8, vcc_lo
	s_delay_alu instid0(VALU_DEP_2) | instskip(NEXT) | instid1(VALU_DEP_2)
	v_add_co_u32 v3, vcc_lo, v3, v11
	v_add_co_ci_u32_e32 v3, vcc_lo, v5, v12, vcc_lo
	v_add_co_ci_u32_e32 v5, vcc_lo, 0, v14, vcc_lo
	s_delay_alu instid0(VALU_DEP_2) | instskip(NEXT) | instid1(VALU_DEP_2)
	v_add_co_u32 v3, vcc_lo, v3, v13
	v_add_co_ci_u32_e32 v5, vcc_lo, 0, v5, vcc_lo
	s_delay_alu instid0(VALU_DEP_2) | instskip(SKIP_1) | instid1(VALU_DEP_3)
	v_mul_lo_u32 v11, s29, v3
	v_mad_u64_u32 v[7:8], null, s28, v3, 0
	v_mul_lo_u32 v12, s28, v5
	s_delay_alu instid0(VALU_DEP_2) | instskip(NEXT) | instid1(VALU_DEP_2)
	v_sub_co_u32 v7, vcc_lo, v9, v7
	v_add3_u32 v8, v8, v12, v11
	s_delay_alu instid0(VALU_DEP_1) | instskip(NEXT) | instid1(VALU_DEP_1)
	v_sub_nc_u32_e32 v11, v16, v8
	v_subrev_co_ci_u32_e64 v9, s0, s29, v11, vcc_lo
	v_add_co_u32 v11, s0, v3, 2
	s_delay_alu instid0(VALU_DEP_1) | instskip(SKIP_3) | instid1(VALU_DEP_3)
	v_add_co_ci_u32_e64 v12, s0, 0, v5, s0
	v_sub_co_u32 v13, s0, v7, s28
	v_sub_co_ci_u32_e32 v8, vcc_lo, v16, v8, vcc_lo
	v_subrev_co_ci_u32_e64 v9, s0, 0, v9, s0
	v_cmp_le_u32_e32 vcc_lo, s28, v13
	s_delay_alu instid0(VALU_DEP_3) | instskip(SKIP_1) | instid1(VALU_DEP_4)
	v_cmp_eq_u32_e64 s0, s29, v8
	v_cndmask_b32_e64 v13, 0, -1, vcc_lo
	v_cmp_le_u32_e32 vcc_lo, s29, v9
	v_cndmask_b32_e64 v14, 0, -1, vcc_lo
	v_cmp_le_u32_e32 vcc_lo, s28, v7
	;; [unrolled: 2-line block ×3, first 2 shown]
	v_cndmask_b32_e64 v16, 0, -1, vcc_lo
	v_cmp_eq_u32_e32 vcc_lo, s29, v9
	s_delay_alu instid0(VALU_DEP_2) | instskip(SKIP_3) | instid1(VALU_DEP_3)
	v_cndmask_b32_e64 v7, v16, v7, s0
	v_cndmask_b32_e32 v9, v14, v13, vcc_lo
	v_add_co_u32 v13, vcc_lo, v3, 1
	v_add_co_ci_u32_e32 v14, vcc_lo, 0, v5, vcc_lo
	v_cmp_ne_u32_e32 vcc_lo, 0, v9
	s_delay_alu instid0(VALU_DEP_2) | instskip(SKIP_2) | instid1(VALU_DEP_3)
	v_dual_cndmask_b32 v8, v14, v12 :: v_dual_cndmask_b32 v9, v13, v11
	v_cmp_ne_u32_e32 vcc_lo, 0, v7
	v_xor_b32_e32 v7, s26, v15
	v_cndmask_b32_e32 v3, v3, v9, vcc_lo
	s_delay_alu instid0(VALU_DEP_4) | instskip(SKIP_1) | instid1(VALU_DEP_3)
	v_cndmask_b32_e32 v5, v5, v8, vcc_lo
	v_xor_b32_e32 v9, s27, v15
	v_xor_b32_e32 v3, v3, v7
	s_delay_alu instid0(VALU_DEP_2) | instskip(NEXT) | instid1(VALU_DEP_2)
	v_xor_b32_e32 v5, v5, v9
	v_sub_co_u32 v8, vcc_lo, v3, v7
	s_delay_alu instid0(VALU_DEP_2)
	v_sub_co_ci_u32_e32 v9, vcc_lo, v5, v9, vcc_lo
.LBB65_16:                              ;   in Loop: Header=BB65_14 Depth=2
	s_and_not1_saveexec_b32 s0, s44
	s_cbranch_execz .LBB65_18
; %bb.17:                               ;   in Loop: Header=BB65_14 Depth=2
	v_cvt_f32_u32_e32 v3, s43
	s_sub_i32 s26, 0, s43
	v_mov_b32_e32 v9, v2
	s_delay_alu instid0(VALU_DEP_2) | instskip(SKIP_2) | instid1(VALU_DEP_1)
	v_rcp_iflag_f32_e32 v3, v3
	s_waitcnt_depctr 0xfff
	v_mul_f32_e32 v3, 0x4f7ffffe, v3
	v_cvt_u32_f32_e32 v3, v3
	s_delay_alu instid0(VALU_DEP_1) | instskip(NEXT) | instid1(VALU_DEP_1)
	v_mul_lo_u32 v5, s26, v3
	v_mul_hi_u32 v5, v3, v5
	s_delay_alu instid0(VALU_DEP_1) | instskip(NEXT) | instid1(VALU_DEP_1)
	v_add_nc_u32_e32 v3, v3, v5
	v_mul_hi_u32 v3, v10, v3
	s_delay_alu instid0(VALU_DEP_1) | instskip(SKIP_1) | instid1(VALU_DEP_2)
	v_mul_lo_u32 v5, v3, s43
	v_add_nc_u32_e32 v7, 1, v3
	v_sub_nc_u32_e32 v5, v10, v5
	s_delay_alu instid0(VALU_DEP_1) | instskip(SKIP_1) | instid1(VALU_DEP_4)
	v_cmp_le_u32_e32 vcc_lo, s43, v5
	v_subrev_nc_u32_e32 v8, s43, v5
	v_cndmask_b32_e32 v3, v3, v7, vcc_lo
	s_delay_alu instid0(VALU_DEP_1) | instskip(NEXT) | instid1(VALU_DEP_3)
	v_add_nc_u32_e32 v7, 1, v3
	v_cndmask_b32_e32 v5, v5, v8, vcc_lo
	s_delay_alu instid0(VALU_DEP_1) | instskip(NEXT) | instid1(VALU_DEP_3)
	v_cmp_le_u32_e32 vcc_lo, s43, v5
	v_cndmask_b32_e32 v8, v3, v7, vcc_lo
.LBB65_18:                              ;   in Loop: Header=BB65_14 Depth=2
	s_or_b32 exec_lo, exec_lo, s0
	s_add_u32 s24, s36, s24
	s_addc_u32 s25, s37, s25
	s_clause 0x1
	s_load_b32 s0, s[22:23], 0x6c
	s_load_b32 s22, s[24:25], 0x0
	v_mul_lo_u32 v3, v8, s43
	s_add_i32 s16, s16, -1
	s_delay_alu instid0(VALU_DEP_1) | instskip(SKIP_1) | instid1(VALU_DEP_1)
	v_sub_nc_u32_e32 v3, v10, v3
	s_waitcnt lgkmcnt(0)
	v_mad_u64_u32 v[10:11], null, s0, v3, v[6:7]
	v_mad_u64_u32 v[5:6], null, s22, v3, v[4:5]
	s_xor_b32 s0, s39, s13
	s_add_i32 s13, s13, 1
	s_cmp_lg_u32 s0, 2
	s_delay_alu instid0(VALU_DEP_2) | instskip(NEXT) | instid1(VALU_DEP_2)
	v_mov_b32_e32 v6, v10
	v_mov_b32_e32 v4, v5
	s_cbranch_scc0 .LBB65_21
; %bb.19:                               ;   in Loop: Header=BB65_14 Depth=2
	v_dual_mov_b32 v11, v9 :: v_dual_mov_b32 v10, v8
	s_branch .LBB65_14
.LBB65_20:                              ;   in Loop: Header=BB65_3 Depth=1
	s_mov_b32 s16, s38
.LBB65_21:                              ;   in Loop: Header=BB65_3 Depth=1
	s_and_b32 vcc_lo, exec_lo, s42
	s_cbranch_vccz .LBB65_40
.LBB65_22:                              ;   Parent Loop BB65_3 Depth=1
                                        ; =>  This Inner Loop Header: Depth=2
	s_lshl_b64 s[22:23], s[16:17], 2
                                        ; implicit-def: $vgpr10_vgpr11
	s_mov_b32 s26, exec_lo
	s_add_u32 s24, s31, s22
	s_addc_u32 s25, s33, s23
	s_load_b32 s13, s[24:25], 0x8
	s_waitcnt lgkmcnt(0)
	s_ashr_i32 s0, s13, 31
	s_delay_alu instid0(SALU_CYCLE_1) | instskip(NEXT) | instid1(VALU_DEP_1)
	v_or_b32_e32 v3, s0, v9
	v_cmpx_ne_u64_e32 0, v[2:3]
	s_xor_b32 s43, exec_lo, s26
	s_cbranch_execz .LBB65_24
; %bb.23:                               ;   in Loop: Header=BB65_22 Depth=2
	s_add_u32 s28, s13, s0
	s_mov_b32 s26, s0
	s_mov_b32 s27, s0
	s_addc_u32 s29, s0, s0
	s_delay_alu instid0(SALU_CYCLE_1) | instskip(NEXT) | instid1(SALU_CYCLE_1)
	s_xor_b64 s[28:29], s[28:29], s[26:27]
	v_cvt_f32_u32_e32 v3, s28
	v_cvt_f32_u32_e32 v5, s29
	s_sub_u32 s0, 0, s28
	s_subb_u32 s44, 0, s29
	s_delay_alu instid0(VALU_DEP_1) | instskip(NEXT) | instid1(VALU_DEP_1)
	v_fmac_f32_e32 v3, 0x4f800000, v5
	v_rcp_f32_e32 v3, v3
	s_waitcnt_depctr 0xfff
	v_mul_f32_e32 v3, 0x5f7ffffc, v3
	s_delay_alu instid0(VALU_DEP_1) | instskip(NEXT) | instid1(VALU_DEP_1)
	v_mul_f32_e32 v5, 0x2f800000, v3
	v_trunc_f32_e32 v5, v5
	s_delay_alu instid0(VALU_DEP_1) | instskip(SKIP_1) | instid1(VALU_DEP_2)
	v_fmac_f32_e32 v3, 0xcf800000, v5
	v_cvt_u32_f32_e32 v5, v5
	v_cvt_u32_f32_e32 v3, v3
	s_delay_alu instid0(VALU_DEP_2) | instskip(NEXT) | instid1(VALU_DEP_2)
	v_mul_lo_u32 v7, s0, v5
	v_mul_hi_u32 v10, s0, v3
	v_mul_lo_u32 v11, s44, v3
	s_delay_alu instid0(VALU_DEP_2) | instskip(SKIP_1) | instid1(VALU_DEP_2)
	v_add_nc_u32_e32 v7, v10, v7
	v_mul_lo_u32 v10, s0, v3
	v_add_nc_u32_e32 v7, v7, v11
	s_delay_alu instid0(VALU_DEP_2) | instskip(NEXT) | instid1(VALU_DEP_2)
	v_mul_hi_u32 v11, v3, v10
	v_mul_lo_u32 v12, v3, v7
	v_mul_hi_u32 v13, v3, v7
	v_mul_hi_u32 v14, v5, v10
	v_mul_lo_u32 v10, v5, v10
	v_mul_hi_u32 v15, v5, v7
	v_mul_lo_u32 v7, v5, v7
	v_add_co_u32 v11, vcc_lo, v11, v12
	v_add_co_ci_u32_e32 v12, vcc_lo, 0, v13, vcc_lo
	s_delay_alu instid0(VALU_DEP_2) | instskip(NEXT) | instid1(VALU_DEP_2)
	v_add_co_u32 v10, vcc_lo, v11, v10
	v_add_co_ci_u32_e32 v10, vcc_lo, v12, v14, vcc_lo
	v_add_co_ci_u32_e32 v11, vcc_lo, 0, v15, vcc_lo
	v_ashrrev_i32_e32 v15, 31, v9
	s_delay_alu instid0(VALU_DEP_3) | instskip(NEXT) | instid1(VALU_DEP_3)
	v_add_co_u32 v7, vcc_lo, v10, v7
	v_add_co_ci_u32_e32 v10, vcc_lo, 0, v11, vcc_lo
	s_delay_alu instid0(VALU_DEP_2) | instskip(NEXT) | instid1(VALU_DEP_2)
	v_add_co_u32 v3, vcc_lo, v3, v7
	v_add_co_ci_u32_e32 v5, vcc_lo, v5, v10, vcc_lo
	s_delay_alu instid0(VALU_DEP_2) | instskip(SKIP_1) | instid1(VALU_DEP_3)
	v_mul_hi_u32 v7, s0, v3
	v_mul_lo_u32 v11, s44, v3
	v_mul_lo_u32 v10, s0, v5
	s_delay_alu instid0(VALU_DEP_1) | instskip(SKIP_1) | instid1(VALU_DEP_2)
	v_add_nc_u32_e32 v7, v7, v10
	v_mul_lo_u32 v10, s0, v3
	v_add_nc_u32_e32 v7, v7, v11
	s_delay_alu instid0(VALU_DEP_2) | instskip(NEXT) | instid1(VALU_DEP_2)
	v_mul_hi_u32 v11, v3, v10
	v_mul_lo_u32 v12, v3, v7
	v_mul_hi_u32 v13, v3, v7
	v_mul_hi_u32 v14, v5, v10
	v_mul_lo_u32 v10, v5, v10
	v_mul_hi_u32 v16, v5, v7
	v_mul_lo_u32 v7, v5, v7
	v_add_co_u32 v11, vcc_lo, v11, v12
	v_add_co_ci_u32_e32 v12, vcc_lo, 0, v13, vcc_lo
	s_delay_alu instid0(VALU_DEP_2) | instskip(NEXT) | instid1(VALU_DEP_2)
	v_add_co_u32 v10, vcc_lo, v11, v10
	v_add_co_ci_u32_e32 v10, vcc_lo, v12, v14, vcc_lo
	v_add_co_ci_u32_e32 v11, vcc_lo, 0, v16, vcc_lo
	v_add_co_u32 v12, vcc_lo, v8, v15
	v_add_co_ci_u32_e32 v9, vcc_lo, v9, v15, vcc_lo
	s_delay_alu instid0(VALU_DEP_4) | instskip(NEXT) | instid1(VALU_DEP_4)
	v_add_co_u32 v7, vcc_lo, v10, v7
	v_add_co_ci_u32_e32 v10, vcc_lo, 0, v11, vcc_lo
	s_delay_alu instid0(VALU_DEP_4) | instskip(NEXT) | instid1(VALU_DEP_3)
	v_xor_b32_e32 v16, v12, v15
	v_add_co_u32 v3, vcc_lo, v3, v7
	s_delay_alu instid0(VALU_DEP_3) | instskip(SKIP_1) | instid1(VALU_DEP_3)
	v_add_co_ci_u32_e32 v5, vcc_lo, v5, v10, vcc_lo
	v_xor_b32_e32 v7, v9, v15
	v_mul_hi_u32 v17, v16, v3
	s_delay_alu instid0(VALU_DEP_3) | instskip(NEXT) | instid1(VALU_DEP_3)
	v_mad_u64_u32 v[9:10], null, v16, v5, 0
	v_mad_u64_u32 v[11:12], null, v7, v3, 0
	;; [unrolled: 1-line block ×3, first 2 shown]
	s_delay_alu instid0(VALU_DEP_3) | instskip(NEXT) | instid1(VALU_DEP_4)
	v_add_co_u32 v3, vcc_lo, v17, v9
	v_add_co_ci_u32_e32 v5, vcc_lo, 0, v10, vcc_lo
	s_delay_alu instid0(VALU_DEP_2) | instskip(NEXT) | instid1(VALU_DEP_2)
	v_add_co_u32 v3, vcc_lo, v3, v11
	v_add_co_ci_u32_e32 v3, vcc_lo, v5, v12, vcc_lo
	v_add_co_ci_u32_e32 v5, vcc_lo, 0, v14, vcc_lo
	s_delay_alu instid0(VALU_DEP_2) | instskip(NEXT) | instid1(VALU_DEP_2)
	v_add_co_u32 v3, vcc_lo, v3, v13
	v_add_co_ci_u32_e32 v5, vcc_lo, 0, v5, vcc_lo
	s_delay_alu instid0(VALU_DEP_2) | instskip(SKIP_1) | instid1(VALU_DEP_3)
	v_mul_lo_u32 v11, s29, v3
	v_mad_u64_u32 v[9:10], null, s28, v3, 0
	v_mul_lo_u32 v12, s28, v5
	s_delay_alu instid0(VALU_DEP_2) | instskip(NEXT) | instid1(VALU_DEP_2)
	v_sub_co_u32 v9, vcc_lo, v16, v9
	v_add3_u32 v10, v10, v12, v11
	s_delay_alu instid0(VALU_DEP_1) | instskip(NEXT) | instid1(VALU_DEP_1)
	v_sub_nc_u32_e32 v11, v7, v10
	v_subrev_co_ci_u32_e64 v11, s0, s29, v11, vcc_lo
	v_add_co_u32 v12, s0, v3, 2
	s_delay_alu instid0(VALU_DEP_1) | instskip(SKIP_3) | instid1(VALU_DEP_3)
	v_add_co_ci_u32_e64 v13, s0, 0, v5, s0
	v_sub_co_u32 v14, s0, v9, s28
	v_sub_co_ci_u32_e32 v7, vcc_lo, v7, v10, vcc_lo
	v_subrev_co_ci_u32_e64 v11, s0, 0, v11, s0
	v_cmp_le_u32_e32 vcc_lo, s28, v14
	s_delay_alu instid0(VALU_DEP_3) | instskip(SKIP_1) | instid1(VALU_DEP_4)
	v_cmp_eq_u32_e64 s0, s29, v7
	v_cndmask_b32_e64 v10, 0, -1, vcc_lo
	v_cmp_le_u32_e32 vcc_lo, s29, v11
	v_cndmask_b32_e64 v14, 0, -1, vcc_lo
	v_cmp_le_u32_e32 vcc_lo, s28, v9
	v_cndmask_b32_e64 v9, 0, -1, vcc_lo
	v_cmp_le_u32_e32 vcc_lo, s29, v7
	v_cndmask_b32_e64 v16, 0, -1, vcc_lo
	v_cmp_eq_u32_e32 vcc_lo, s29, v11
	s_delay_alu instid0(VALU_DEP_2) | instskip(SKIP_3) | instid1(VALU_DEP_3)
	v_cndmask_b32_e64 v7, v16, v9, s0
	v_cndmask_b32_e32 v10, v14, v10, vcc_lo
	v_add_co_u32 v11, vcc_lo, v3, 1
	v_add_co_ci_u32_e32 v14, vcc_lo, 0, v5, vcc_lo
	v_cmp_ne_u32_e32 vcc_lo, 0, v10
	s_delay_alu instid0(VALU_DEP_2) | instskip(SKIP_2) | instid1(VALU_DEP_3)
	v_dual_cndmask_b32 v10, v11, v12 :: v_dual_cndmask_b32 v9, v14, v13
	v_cmp_ne_u32_e32 vcc_lo, 0, v7
	v_xor_b32_e32 v7, s26, v15
	v_cndmask_b32_e32 v3, v3, v10, vcc_lo
	s_delay_alu instid0(VALU_DEP_4) | instskip(SKIP_1) | instid1(VALU_DEP_3)
	v_cndmask_b32_e32 v5, v5, v9, vcc_lo
	v_xor_b32_e32 v9, s27, v15
	v_xor_b32_e32 v3, v3, v7
	s_delay_alu instid0(VALU_DEP_2) | instskip(NEXT) | instid1(VALU_DEP_2)
	v_xor_b32_e32 v5, v5, v9
	v_sub_co_u32 v10, vcc_lo, v3, v7
	s_delay_alu instid0(VALU_DEP_2)
	v_sub_co_ci_u32_e32 v11, vcc_lo, v5, v9, vcc_lo
.LBB65_24:                              ;   in Loop: Header=BB65_22 Depth=2
	s_and_not1_saveexec_b32 s0, s43
	s_cbranch_execz .LBB65_26
; %bb.25:                               ;   in Loop: Header=BB65_22 Depth=2
	v_cvt_f32_u32_e32 v3, s13
	s_sub_i32 s26, 0, s13
	v_mov_b32_e32 v11, v2
	s_delay_alu instid0(VALU_DEP_2) | instskip(SKIP_2) | instid1(VALU_DEP_1)
	v_rcp_iflag_f32_e32 v3, v3
	s_waitcnt_depctr 0xfff
	v_mul_f32_e32 v3, 0x4f7ffffe, v3
	v_cvt_u32_f32_e32 v3, v3
	s_delay_alu instid0(VALU_DEP_1) | instskip(NEXT) | instid1(VALU_DEP_1)
	v_mul_lo_u32 v5, s26, v3
	v_mul_hi_u32 v5, v3, v5
	s_delay_alu instid0(VALU_DEP_1) | instskip(NEXT) | instid1(VALU_DEP_1)
	v_add_nc_u32_e32 v3, v3, v5
	v_mul_hi_u32 v3, v8, v3
	s_delay_alu instid0(VALU_DEP_1) | instskip(SKIP_1) | instid1(VALU_DEP_2)
	v_mul_lo_u32 v5, v3, s13
	v_add_nc_u32_e32 v7, 1, v3
	v_sub_nc_u32_e32 v5, v8, v5
	s_delay_alu instid0(VALU_DEP_1) | instskip(SKIP_1) | instid1(VALU_DEP_4)
	v_cmp_le_u32_e32 vcc_lo, s13, v5
	v_subrev_nc_u32_e32 v9, s13, v5
	v_cndmask_b32_e32 v3, v3, v7, vcc_lo
	s_delay_alu instid0(VALU_DEP_1) | instskip(NEXT) | instid1(VALU_DEP_3)
	v_add_nc_u32_e32 v7, 1, v3
	v_cndmask_b32_e32 v5, v5, v9, vcc_lo
	s_delay_alu instid0(VALU_DEP_1) | instskip(NEXT) | instid1(VALU_DEP_3)
	v_cmp_le_u32_e32 vcc_lo, s13, v5
	v_cndmask_b32_e32 v10, v3, v7, vcc_lo
.LBB65_26:                              ;   in Loop: Header=BB65_22 Depth=2
	s_or_b32 exec_lo, exec_lo, s0
	s_add_u32 s28, s36, s22
	s_addc_u32 s29, s37, s23
	s_add_i32 s22, s16, -1
	s_mov_b32 s23, s17
                                        ; implicit-def: $vgpr12_vgpr13
	s_delay_alu instid0(SALU_CYCLE_1) | instskip(NEXT) | instid1(SALU_CYCLE_1)
	s_lshl_b64 s[26:27], s[22:23], 2
	s_add_u32 s22, s31, s26
	s_addc_u32 s23, s33, s27
	s_clause 0x2
	s_load_b32 s45, s[22:23], 0x8
	s_load_b32 s43, s[24:25], 0x6c
	;; [unrolled: 1-line block ×3, first 2 shown]
	s_mov_b32 s24, exec_lo
	s_waitcnt lgkmcnt(0)
	s_ashr_i32 s0, s45, 31
	s_delay_alu instid0(SALU_CYCLE_1) | instskip(NEXT) | instid1(VALU_DEP_1)
	v_or_b32_e32 v3, s0, v11
	v_cmpx_ne_u64_e32 0, v[2:3]
	s_xor_b32 s46, exec_lo, s24
	s_cbranch_execz .LBB65_28
; %bb.27:                               ;   in Loop: Header=BB65_22 Depth=2
	s_add_u32 s28, s45, s0
	s_mov_b32 s24, s0
	s_mov_b32 s25, s0
	s_addc_u32 s29, s0, s0
	v_ashrrev_i32_e32 v17, 31, v11
	s_xor_b64 s[28:29], s[28:29], s[24:25]
	s_delay_alu instid0(SALU_CYCLE_1) | instskip(SKIP_3) | instid1(VALU_DEP_1)
	v_cvt_f32_u32_e32 v3, s28
	v_cvt_f32_u32_e32 v5, s29
	s_sub_u32 s0, 0, s28
	s_subb_u32 s47, 0, s29
	v_fmac_f32_e32 v3, 0x4f800000, v5
	s_delay_alu instid0(VALU_DEP_1) | instskip(SKIP_2) | instid1(VALU_DEP_1)
	v_rcp_f32_e32 v3, v3
	s_waitcnt_depctr 0xfff
	v_mul_f32_e32 v3, 0x5f7ffffc, v3
	v_mul_f32_e32 v5, 0x2f800000, v3
	s_delay_alu instid0(VALU_DEP_1) | instskip(NEXT) | instid1(VALU_DEP_1)
	v_trunc_f32_e32 v5, v5
	v_fmac_f32_e32 v3, 0xcf800000, v5
	v_cvt_u32_f32_e32 v5, v5
	s_delay_alu instid0(VALU_DEP_2) | instskip(NEXT) | instid1(VALU_DEP_2)
	v_cvt_u32_f32_e32 v3, v3
	v_mul_lo_u32 v7, s0, v5
	s_delay_alu instid0(VALU_DEP_2) | instskip(SKIP_1) | instid1(VALU_DEP_2)
	v_mul_hi_u32 v9, s0, v3
	v_mul_lo_u32 v12, s47, v3
	v_add_nc_u32_e32 v7, v9, v7
	v_mul_lo_u32 v9, s0, v3
	s_delay_alu instid0(VALU_DEP_2) | instskip(NEXT) | instid1(VALU_DEP_2)
	v_add_nc_u32_e32 v7, v7, v12
	v_mul_hi_u32 v12, v3, v9
	s_delay_alu instid0(VALU_DEP_2)
	v_mul_lo_u32 v13, v3, v7
	v_mul_hi_u32 v14, v3, v7
	v_mul_hi_u32 v15, v5, v9
	v_mul_lo_u32 v9, v5, v9
	v_mul_hi_u32 v16, v5, v7
	v_mul_lo_u32 v7, v5, v7
	v_add_co_u32 v12, vcc_lo, v12, v13
	v_add_co_ci_u32_e32 v13, vcc_lo, 0, v14, vcc_lo
	s_delay_alu instid0(VALU_DEP_2) | instskip(NEXT) | instid1(VALU_DEP_2)
	v_add_co_u32 v9, vcc_lo, v12, v9
	v_add_co_ci_u32_e32 v9, vcc_lo, v13, v15, vcc_lo
	v_add_co_ci_u32_e32 v12, vcc_lo, 0, v16, vcc_lo
	s_delay_alu instid0(VALU_DEP_2) | instskip(NEXT) | instid1(VALU_DEP_2)
	v_add_co_u32 v7, vcc_lo, v9, v7
	v_add_co_ci_u32_e32 v9, vcc_lo, 0, v12, vcc_lo
	s_delay_alu instid0(VALU_DEP_2) | instskip(NEXT) | instid1(VALU_DEP_2)
	v_add_co_u32 v3, vcc_lo, v3, v7
	v_add_co_ci_u32_e32 v5, vcc_lo, v5, v9, vcc_lo
	s_delay_alu instid0(VALU_DEP_2) | instskip(SKIP_1) | instid1(VALU_DEP_3)
	v_mul_hi_u32 v7, s0, v3
	v_mul_lo_u32 v12, s47, v3
	v_mul_lo_u32 v9, s0, v5
	s_delay_alu instid0(VALU_DEP_1) | instskip(SKIP_1) | instid1(VALU_DEP_2)
	v_add_nc_u32_e32 v7, v7, v9
	v_mul_lo_u32 v9, s0, v3
	v_add_nc_u32_e32 v7, v7, v12
	s_delay_alu instid0(VALU_DEP_2) | instskip(NEXT) | instid1(VALU_DEP_2)
	v_mul_hi_u32 v12, v3, v9
	v_mul_lo_u32 v13, v3, v7
	v_mul_hi_u32 v14, v3, v7
	v_mul_hi_u32 v15, v5, v9
	v_mul_lo_u32 v9, v5, v9
	v_mul_hi_u32 v16, v5, v7
	v_mul_lo_u32 v7, v5, v7
	v_add_co_u32 v12, vcc_lo, v12, v13
	v_add_co_ci_u32_e32 v13, vcc_lo, 0, v14, vcc_lo
	s_delay_alu instid0(VALU_DEP_2) | instskip(NEXT) | instid1(VALU_DEP_2)
	v_add_co_u32 v9, vcc_lo, v12, v9
	v_add_co_ci_u32_e32 v9, vcc_lo, v13, v15, vcc_lo
	v_add_co_ci_u32_e32 v12, vcc_lo, 0, v16, vcc_lo
	v_add_co_u32 v13, vcc_lo, v10, v17
	v_add_co_ci_u32_e32 v11, vcc_lo, v11, v17, vcc_lo
	s_delay_alu instid0(VALU_DEP_4) | instskip(NEXT) | instid1(VALU_DEP_4)
	v_add_co_u32 v7, vcc_lo, v9, v7
	v_add_co_ci_u32_e32 v9, vcc_lo, 0, v12, vcc_lo
	s_delay_alu instid0(VALU_DEP_4) | instskip(NEXT) | instid1(VALU_DEP_3)
	v_xor_b32_e32 v21, v13, v17
	v_add_co_u32 v3, vcc_lo, v3, v7
	s_delay_alu instid0(VALU_DEP_3) | instskip(SKIP_1) | instid1(VALU_DEP_3)
	v_add_co_ci_u32_e32 v5, vcc_lo, v5, v9, vcc_lo
	v_xor_b32_e32 v7, v11, v17
	v_mul_hi_u32 v9, v21, v3
	s_delay_alu instid0(VALU_DEP_3) | instskip(NEXT) | instid1(VALU_DEP_3)
	v_mad_u64_u32 v[11:12], null, v21, v5, 0
	v_mad_u64_u32 v[13:14], null, v7, v3, 0
	;; [unrolled: 1-line block ×3, first 2 shown]
	s_delay_alu instid0(VALU_DEP_3) | instskip(NEXT) | instid1(VALU_DEP_4)
	v_add_co_u32 v3, vcc_lo, v9, v11
	v_add_co_ci_u32_e32 v5, vcc_lo, 0, v12, vcc_lo
	s_delay_alu instid0(VALU_DEP_2) | instskip(NEXT) | instid1(VALU_DEP_2)
	v_add_co_u32 v3, vcc_lo, v3, v13
	v_add_co_ci_u32_e32 v3, vcc_lo, v5, v14, vcc_lo
	v_add_co_ci_u32_e32 v5, vcc_lo, 0, v16, vcc_lo
	s_delay_alu instid0(VALU_DEP_2) | instskip(NEXT) | instid1(VALU_DEP_2)
	v_add_co_u32 v3, vcc_lo, v3, v15
	v_add_co_ci_u32_e32 v5, vcc_lo, 0, v5, vcc_lo
	s_delay_alu instid0(VALU_DEP_2) | instskip(SKIP_1) | instid1(VALU_DEP_3)
	v_mul_lo_u32 v9, s29, v3
	v_mad_u64_u32 v[11:12], null, s28, v3, 0
	v_mul_lo_u32 v13, s28, v5
	s_delay_alu instid0(VALU_DEP_2) | instskip(NEXT) | instid1(VALU_DEP_2)
	v_sub_co_u32 v11, vcc_lo, v21, v11
	v_add3_u32 v9, v12, v13, v9
	s_delay_alu instid0(VALU_DEP_1) | instskip(NEXT) | instid1(VALU_DEP_1)
	v_sub_nc_u32_e32 v12, v7, v9
	v_subrev_co_ci_u32_e64 v12, s0, s29, v12, vcc_lo
	v_add_co_u32 v13, s0, v3, 2
	s_delay_alu instid0(VALU_DEP_1) | instskip(SKIP_3) | instid1(VALU_DEP_3)
	v_add_co_ci_u32_e64 v14, s0, 0, v5, s0
	v_sub_co_u32 v15, s0, v11, s28
	v_sub_co_ci_u32_e32 v7, vcc_lo, v7, v9, vcc_lo
	v_subrev_co_ci_u32_e64 v12, s0, 0, v12, s0
	v_cmp_le_u32_e32 vcc_lo, s28, v15
	s_delay_alu instid0(VALU_DEP_3) | instskip(SKIP_1) | instid1(VALU_DEP_4)
	v_cmp_eq_u32_e64 s0, s29, v7
	v_cndmask_b32_e64 v9, 0, -1, vcc_lo
	v_cmp_le_u32_e32 vcc_lo, s29, v12
	v_cndmask_b32_e64 v15, 0, -1, vcc_lo
	v_cmp_le_u32_e32 vcc_lo, s28, v11
	;; [unrolled: 2-line block ×3, first 2 shown]
	v_cndmask_b32_e64 v16, 0, -1, vcc_lo
	v_cmp_eq_u32_e32 vcc_lo, s29, v12
	s_delay_alu instid0(VALU_DEP_2) | instskip(SKIP_3) | instid1(VALU_DEP_3)
	v_cndmask_b32_e64 v7, v16, v11, s0
	v_cndmask_b32_e32 v9, v15, v9, vcc_lo
	v_add_co_u32 v12, vcc_lo, v3, 1
	v_add_co_ci_u32_e32 v15, vcc_lo, 0, v5, vcc_lo
	v_cmp_ne_u32_e32 vcc_lo, 0, v9
	s_delay_alu instid0(VALU_DEP_2) | instskip(NEXT) | instid1(VALU_DEP_4)
	v_cndmask_b32_e32 v9, v15, v14, vcc_lo
	v_cndmask_b32_e32 v11, v12, v13, vcc_lo
	v_cmp_ne_u32_e32 vcc_lo, 0, v7
	v_xor_b32_e32 v7, s24, v17
	s_delay_alu instid0(VALU_DEP_3) | instskip(SKIP_2) | instid1(VALU_DEP_3)
	v_cndmask_b32_e32 v3, v3, v11, vcc_lo
	v_cndmask_b32_e32 v5, v5, v9, vcc_lo
	v_xor_b32_e32 v9, s25, v17
	v_xor_b32_e32 v3, v3, v7
	s_delay_alu instid0(VALU_DEP_2) | instskip(NEXT) | instid1(VALU_DEP_2)
	v_xor_b32_e32 v5, v5, v9
	v_sub_co_u32 v12, vcc_lo, v3, v7
	s_delay_alu instid0(VALU_DEP_2)
	v_sub_co_ci_u32_e32 v13, vcc_lo, v5, v9, vcc_lo
.LBB65_28:                              ;   in Loop: Header=BB65_22 Depth=2
	s_and_not1_saveexec_b32 s0, s46
	s_cbranch_execz .LBB65_30
; %bb.29:                               ;   in Loop: Header=BB65_22 Depth=2
	v_cvt_f32_u32_e32 v3, s45
	s_sub_i32 s24, 0, s45
	v_mov_b32_e32 v13, v2
	s_delay_alu instid0(VALU_DEP_2) | instskip(SKIP_2) | instid1(VALU_DEP_1)
	v_rcp_iflag_f32_e32 v3, v3
	s_waitcnt_depctr 0xfff
	v_mul_f32_e32 v3, 0x4f7ffffe, v3
	v_cvt_u32_f32_e32 v3, v3
	s_delay_alu instid0(VALU_DEP_1) | instskip(NEXT) | instid1(VALU_DEP_1)
	v_mul_lo_u32 v5, s24, v3
	v_mul_hi_u32 v5, v3, v5
	s_delay_alu instid0(VALU_DEP_1) | instskip(NEXT) | instid1(VALU_DEP_1)
	v_add_nc_u32_e32 v3, v3, v5
	v_mul_hi_u32 v3, v10, v3
	s_delay_alu instid0(VALU_DEP_1) | instskip(SKIP_1) | instid1(VALU_DEP_2)
	v_mul_lo_u32 v5, v3, s45
	v_add_nc_u32_e32 v7, 1, v3
	v_sub_nc_u32_e32 v5, v10, v5
	s_delay_alu instid0(VALU_DEP_1) | instskip(SKIP_1) | instid1(VALU_DEP_4)
	v_cmp_le_u32_e32 vcc_lo, s45, v5
	v_subrev_nc_u32_e32 v9, s45, v5
	v_cndmask_b32_e32 v3, v3, v7, vcc_lo
	s_delay_alu instid0(VALU_DEP_1) | instskip(NEXT) | instid1(VALU_DEP_3)
	v_add_nc_u32_e32 v7, 1, v3
	v_cndmask_b32_e32 v5, v5, v9, vcc_lo
	s_delay_alu instid0(VALU_DEP_1) | instskip(NEXT) | instid1(VALU_DEP_3)
	v_cmp_le_u32_e32 vcc_lo, s45, v5
	v_cndmask_b32_e32 v12, v3, v7, vcc_lo
.LBB65_30:                              ;   in Loop: Header=BB65_22 Depth=2
	s_or_b32 exec_lo, exec_lo, s0
	s_add_u32 s28, s36, s26
	s_addc_u32 s29, s37, s27
	s_add_i32 s24, s16, -2
	s_mov_b32 s25, s17
                                        ; implicit-def: $vgpr14_vgpr15
	s_delay_alu instid0(SALU_CYCLE_1) | instskip(NEXT) | instid1(SALU_CYCLE_1)
	s_lshl_b64 s[24:25], s[24:25], 2
	s_add_u32 s26, s31, s24
	s_addc_u32 s27, s33, s25
	s_clause 0x2
	s_load_b32 s48, s[26:27], 0x8
	s_load_b32 s46, s[22:23], 0x6c
	;; [unrolled: 1-line block ×3, first 2 shown]
	s_mov_b32 s22, exec_lo
	s_waitcnt lgkmcnt(0)
	s_ashr_i32 s0, s48, 31
	s_delay_alu instid0(SALU_CYCLE_1) | instskip(NEXT) | instid1(VALU_DEP_1)
	v_or_b32_e32 v3, s0, v13
	v_cmpx_ne_u64_e32 0, v[2:3]
	s_xor_b32 s49, exec_lo, s22
	s_cbranch_execz .LBB65_32
; %bb.31:                               ;   in Loop: Header=BB65_22 Depth=2
	s_add_u32 s28, s48, s0
	s_mov_b32 s22, s0
	s_mov_b32 s23, s0
	s_addc_u32 s29, s0, s0
	s_delay_alu instid0(SALU_CYCLE_1) | instskip(NEXT) | instid1(SALU_CYCLE_1)
	s_xor_b64 s[28:29], s[28:29], s[22:23]
	v_cvt_f32_u32_e32 v3, s28
	v_cvt_f32_u32_e32 v5, s29
	s_sub_u32 s0, 0, s28
	s_subb_u32 s50, 0, s29
	s_delay_alu instid0(VALU_DEP_1) | instskip(NEXT) | instid1(VALU_DEP_1)
	v_fmac_f32_e32 v3, 0x4f800000, v5
	v_rcp_f32_e32 v3, v3
	s_waitcnt_depctr 0xfff
	v_mul_f32_e32 v3, 0x5f7ffffc, v3
	s_delay_alu instid0(VALU_DEP_1) | instskip(NEXT) | instid1(VALU_DEP_1)
	v_mul_f32_e32 v5, 0x2f800000, v3
	v_trunc_f32_e32 v5, v5
	s_delay_alu instid0(VALU_DEP_1) | instskip(SKIP_1) | instid1(VALU_DEP_2)
	v_fmac_f32_e32 v3, 0xcf800000, v5
	v_cvt_u32_f32_e32 v5, v5
	v_cvt_u32_f32_e32 v3, v3
	s_delay_alu instid0(VALU_DEP_2) | instskip(NEXT) | instid1(VALU_DEP_2)
	v_mul_lo_u32 v7, s0, v5
	v_mul_hi_u32 v9, s0, v3
	v_mul_lo_u32 v11, s50, v3
	s_delay_alu instid0(VALU_DEP_2) | instskip(SKIP_1) | instid1(VALU_DEP_2)
	v_add_nc_u32_e32 v7, v9, v7
	v_mul_lo_u32 v9, s0, v3
	v_add_nc_u32_e32 v7, v7, v11
	s_delay_alu instid0(VALU_DEP_2) | instskip(NEXT) | instid1(VALU_DEP_2)
	v_mul_hi_u32 v11, v3, v9
	v_mul_lo_u32 v14, v3, v7
	v_mul_hi_u32 v15, v3, v7
	v_mul_hi_u32 v16, v5, v9
	v_mul_lo_u32 v9, v5, v9
	v_mul_hi_u32 v17, v5, v7
	v_mul_lo_u32 v7, v5, v7
	v_add_co_u32 v11, vcc_lo, v11, v14
	v_add_co_ci_u32_e32 v14, vcc_lo, 0, v15, vcc_lo
	s_delay_alu instid0(VALU_DEP_2) | instskip(NEXT) | instid1(VALU_DEP_2)
	v_add_co_u32 v9, vcc_lo, v11, v9
	v_add_co_ci_u32_e32 v9, vcc_lo, v14, v16, vcc_lo
	v_add_co_ci_u32_e32 v11, vcc_lo, 0, v17, vcc_lo
	v_ashrrev_i32_e32 v17, 31, v13
	s_delay_alu instid0(VALU_DEP_3) | instskip(NEXT) | instid1(VALU_DEP_3)
	v_add_co_u32 v7, vcc_lo, v9, v7
	v_add_co_ci_u32_e32 v9, vcc_lo, 0, v11, vcc_lo
	s_delay_alu instid0(VALU_DEP_2) | instskip(NEXT) | instid1(VALU_DEP_2)
	v_add_co_u32 v3, vcc_lo, v3, v7
	v_add_co_ci_u32_e32 v5, vcc_lo, v5, v9, vcc_lo
	s_delay_alu instid0(VALU_DEP_2) | instskip(SKIP_1) | instid1(VALU_DEP_3)
	v_mul_hi_u32 v7, s0, v3
	v_mul_lo_u32 v11, s50, v3
	v_mul_lo_u32 v9, s0, v5
	s_delay_alu instid0(VALU_DEP_1) | instskip(SKIP_1) | instid1(VALU_DEP_2)
	v_add_nc_u32_e32 v7, v7, v9
	v_mul_lo_u32 v9, s0, v3
	v_add_nc_u32_e32 v7, v7, v11
	s_delay_alu instid0(VALU_DEP_2) | instskip(NEXT) | instid1(VALU_DEP_2)
	v_mul_hi_u32 v11, v3, v9
	v_mul_lo_u32 v14, v3, v7
	v_mul_hi_u32 v15, v3, v7
	v_mul_hi_u32 v16, v5, v9
	v_mul_lo_u32 v9, v5, v9
	v_mul_hi_u32 v21, v5, v7
	v_mul_lo_u32 v7, v5, v7
	v_add_co_u32 v11, vcc_lo, v11, v14
	v_add_co_ci_u32_e32 v14, vcc_lo, 0, v15, vcc_lo
	s_delay_alu instid0(VALU_DEP_2) | instskip(NEXT) | instid1(VALU_DEP_2)
	v_add_co_u32 v9, vcc_lo, v11, v9
	v_add_co_ci_u32_e32 v9, vcc_lo, v14, v16, vcc_lo
	v_add_co_ci_u32_e32 v11, vcc_lo, 0, v21, vcc_lo
	v_add_co_u32 v14, vcc_lo, v12, v17
	v_add_co_ci_u32_e32 v13, vcc_lo, v13, v17, vcc_lo
	s_delay_alu instid0(VALU_DEP_4) | instskip(NEXT) | instid1(VALU_DEP_4)
	v_add_co_u32 v7, vcc_lo, v9, v7
	v_add_co_ci_u32_e32 v9, vcc_lo, 0, v11, vcc_lo
	s_delay_alu instid0(VALU_DEP_4) | instskip(NEXT) | instid1(VALU_DEP_3)
	v_xor_b32_e32 v11, v14, v17
	v_add_co_u32 v3, vcc_lo, v3, v7
	s_delay_alu instid0(VALU_DEP_3) | instskip(SKIP_1) | instid1(VALU_DEP_3)
	v_add_co_ci_u32_e32 v5, vcc_lo, v5, v9, vcc_lo
	v_xor_b32_e32 v7, v13, v17
	v_mul_hi_u32 v9, v11, v3
	s_delay_alu instid0(VALU_DEP_3) | instskip(NEXT) | instid1(VALU_DEP_3)
	v_mad_u64_u32 v[13:14], null, v11, v5, 0
	v_mad_u64_u32 v[15:16], null, v7, v3, 0
	;; [unrolled: 1-line block ×3, first 2 shown]
	s_delay_alu instid0(VALU_DEP_3) | instskip(NEXT) | instid1(VALU_DEP_4)
	v_add_co_u32 v3, vcc_lo, v9, v13
	v_add_co_ci_u32_e32 v5, vcc_lo, 0, v14, vcc_lo
	s_delay_alu instid0(VALU_DEP_2) | instskip(NEXT) | instid1(VALU_DEP_2)
	v_add_co_u32 v3, vcc_lo, v3, v15
	v_add_co_ci_u32_e32 v3, vcc_lo, v5, v16, vcc_lo
	v_add_co_ci_u32_e32 v5, vcc_lo, 0, v22, vcc_lo
	s_delay_alu instid0(VALU_DEP_2) | instskip(NEXT) | instid1(VALU_DEP_2)
	v_add_co_u32 v3, vcc_lo, v3, v21
	v_add_co_ci_u32_e32 v5, vcc_lo, 0, v5, vcc_lo
	s_delay_alu instid0(VALU_DEP_2) | instskip(SKIP_1) | instid1(VALU_DEP_3)
	v_mul_lo_u32 v9, s29, v3
	v_mad_u64_u32 v[13:14], null, s28, v3, 0
	v_mul_lo_u32 v15, s28, v5
	s_delay_alu instid0(VALU_DEP_2) | instskip(NEXT) | instid1(VALU_DEP_2)
	v_sub_co_u32 v11, vcc_lo, v11, v13
	v_add3_u32 v9, v14, v15, v9
	s_delay_alu instid0(VALU_DEP_1) | instskip(NEXT) | instid1(VALU_DEP_1)
	v_sub_nc_u32_e32 v14, v7, v9
	v_subrev_co_ci_u32_e64 v13, s0, s29, v14, vcc_lo
	v_add_co_u32 v14, s0, v3, 2
	s_delay_alu instid0(VALU_DEP_1) | instskip(SKIP_3) | instid1(VALU_DEP_3)
	v_add_co_ci_u32_e64 v15, s0, 0, v5, s0
	v_sub_co_u32 v16, s0, v11, s28
	v_sub_co_ci_u32_e32 v7, vcc_lo, v7, v9, vcc_lo
	v_subrev_co_ci_u32_e64 v13, s0, 0, v13, s0
	v_cmp_le_u32_e32 vcc_lo, s28, v16
	s_delay_alu instid0(VALU_DEP_3) | instskip(SKIP_1) | instid1(VALU_DEP_4)
	v_cmp_eq_u32_e64 s0, s29, v7
	v_cndmask_b32_e64 v9, 0, -1, vcc_lo
	v_cmp_le_u32_e32 vcc_lo, s29, v13
	v_cndmask_b32_e64 v16, 0, -1, vcc_lo
	v_cmp_le_u32_e32 vcc_lo, s28, v11
	v_cndmask_b32_e64 v11, 0, -1, vcc_lo
	v_cmp_le_u32_e32 vcc_lo, s29, v7
	v_cndmask_b32_e64 v21, 0, -1, vcc_lo
	v_cmp_eq_u32_e32 vcc_lo, s29, v13
	s_delay_alu instid0(VALU_DEP_2) | instskip(SKIP_3) | instid1(VALU_DEP_3)
	v_cndmask_b32_e64 v7, v21, v11, s0
	v_cndmask_b32_e32 v9, v16, v9, vcc_lo
	v_add_co_u32 v13, vcc_lo, v3, 1
	v_add_co_ci_u32_e32 v16, vcc_lo, 0, v5, vcc_lo
	v_cmp_ne_u32_e32 vcc_lo, 0, v9
	s_delay_alu instid0(VALU_DEP_2) | instskip(NEXT) | instid1(VALU_DEP_4)
	v_cndmask_b32_e32 v9, v16, v15, vcc_lo
	v_cndmask_b32_e32 v11, v13, v14, vcc_lo
	v_cmp_ne_u32_e32 vcc_lo, 0, v7
	v_xor_b32_e32 v7, s22, v17
	s_delay_alu instid0(VALU_DEP_3) | instskip(SKIP_2) | instid1(VALU_DEP_3)
	v_cndmask_b32_e32 v3, v3, v11, vcc_lo
	v_cndmask_b32_e32 v5, v5, v9, vcc_lo
	v_xor_b32_e32 v9, s23, v17
	v_xor_b32_e32 v3, v3, v7
	s_delay_alu instid0(VALU_DEP_2) | instskip(NEXT) | instid1(VALU_DEP_2)
	v_xor_b32_e32 v5, v5, v9
	v_sub_co_u32 v14, vcc_lo, v3, v7
	s_delay_alu instid0(VALU_DEP_2)
	v_sub_co_ci_u32_e32 v15, vcc_lo, v5, v9, vcc_lo
.LBB65_32:                              ;   in Loop: Header=BB65_22 Depth=2
	s_and_not1_saveexec_b32 s0, s49
	s_cbranch_execz .LBB65_34
; %bb.33:                               ;   in Loop: Header=BB65_22 Depth=2
	v_cvt_f32_u32_e32 v3, s48
	s_sub_i32 s22, 0, s48
	v_mov_b32_e32 v15, v2
	s_delay_alu instid0(VALU_DEP_2) | instskip(SKIP_2) | instid1(VALU_DEP_1)
	v_rcp_iflag_f32_e32 v3, v3
	s_waitcnt_depctr 0xfff
	v_mul_f32_e32 v3, 0x4f7ffffe, v3
	v_cvt_u32_f32_e32 v3, v3
	s_delay_alu instid0(VALU_DEP_1) | instskip(NEXT) | instid1(VALU_DEP_1)
	v_mul_lo_u32 v5, s22, v3
	v_mul_hi_u32 v5, v3, v5
	s_delay_alu instid0(VALU_DEP_1) | instskip(NEXT) | instid1(VALU_DEP_1)
	v_add_nc_u32_e32 v3, v3, v5
	v_mul_hi_u32 v3, v12, v3
	s_delay_alu instid0(VALU_DEP_1) | instskip(SKIP_1) | instid1(VALU_DEP_2)
	v_mul_lo_u32 v5, v3, s48
	v_add_nc_u32_e32 v7, 1, v3
	v_sub_nc_u32_e32 v5, v12, v5
	s_delay_alu instid0(VALU_DEP_1) | instskip(SKIP_1) | instid1(VALU_DEP_4)
	v_cmp_le_u32_e32 vcc_lo, s48, v5
	v_subrev_nc_u32_e32 v9, s48, v5
	v_cndmask_b32_e32 v3, v3, v7, vcc_lo
	s_delay_alu instid0(VALU_DEP_1) | instskip(NEXT) | instid1(VALU_DEP_3)
	v_add_nc_u32_e32 v7, 1, v3
	v_cndmask_b32_e32 v5, v5, v9, vcc_lo
	s_delay_alu instid0(VALU_DEP_1) | instskip(NEXT) | instid1(VALU_DEP_3)
	v_cmp_le_u32_e32 vcc_lo, s48, v5
	v_cndmask_b32_e32 v14, v3, v7, vcc_lo
.LBB65_34:                              ;   in Loop: Header=BB65_22 Depth=2
	s_or_b32 exec_lo, exec_lo, s0
	s_add_u32 s28, s36, s24
	s_addc_u32 s29, s37, s25
	s_add_i32 s22, s16, -3
	s_mov_b32 s23, s17
                                        ; implicit-def: $vgpr16_vgpr17
	s_delay_alu instid0(SALU_CYCLE_1) | instskip(NEXT) | instid1(SALU_CYCLE_1)
	s_lshl_b64 s[24:25], s[22:23], 2
	s_add_u32 s22, s31, s24
	s_addc_u32 s23, s33, s25
	s_clause 0x2
	s_load_b32 s51, s[22:23], 0x8
	s_load_b32 s49, s[26:27], 0x6c
	;; [unrolled: 1-line block ×3, first 2 shown]
	s_mov_b32 s26, exec_lo
	s_waitcnt lgkmcnt(0)
	s_ashr_i32 s0, s51, 31
	s_delay_alu instid0(SALU_CYCLE_1) | instskip(NEXT) | instid1(VALU_DEP_1)
	v_or_b32_e32 v3, s0, v15
	v_cmpx_ne_u64_e32 0, v[2:3]
	s_xor_b32 s52, exec_lo, s26
	s_cbranch_execz .LBB65_36
; %bb.35:                               ;   in Loop: Header=BB65_22 Depth=2
	s_add_u32 s28, s51, s0
	s_mov_b32 s26, s0
	s_mov_b32 s27, s0
	s_addc_u32 s29, s0, s0
	s_delay_alu instid0(SALU_CYCLE_1) | instskip(NEXT) | instid1(SALU_CYCLE_1)
	s_xor_b64 s[28:29], s[28:29], s[26:27]
	v_cvt_f32_u32_e32 v3, s28
	v_cvt_f32_u32_e32 v5, s29
	s_sub_u32 s0, 0, s28
	s_subb_u32 s53, 0, s29
	s_delay_alu instid0(VALU_DEP_1) | instskip(NEXT) | instid1(VALU_DEP_1)
	v_fmac_f32_e32 v3, 0x4f800000, v5
	v_rcp_f32_e32 v3, v3
	s_waitcnt_depctr 0xfff
	v_mul_f32_e32 v3, 0x5f7ffffc, v3
	s_delay_alu instid0(VALU_DEP_1) | instskip(NEXT) | instid1(VALU_DEP_1)
	v_mul_f32_e32 v5, 0x2f800000, v3
	v_trunc_f32_e32 v5, v5
	s_delay_alu instid0(VALU_DEP_1) | instskip(SKIP_1) | instid1(VALU_DEP_2)
	v_fmac_f32_e32 v3, 0xcf800000, v5
	v_cvt_u32_f32_e32 v5, v5
	v_cvt_u32_f32_e32 v3, v3
	s_delay_alu instid0(VALU_DEP_2) | instskip(NEXT) | instid1(VALU_DEP_2)
	v_mul_lo_u32 v7, s0, v5
	v_mul_hi_u32 v9, s0, v3
	v_mul_lo_u32 v11, s53, v3
	s_delay_alu instid0(VALU_DEP_2) | instskip(SKIP_1) | instid1(VALU_DEP_2)
	v_add_nc_u32_e32 v7, v9, v7
	v_mul_lo_u32 v9, s0, v3
	v_add_nc_u32_e32 v7, v7, v11
	s_delay_alu instid0(VALU_DEP_2) | instskip(NEXT) | instid1(VALU_DEP_2)
	v_mul_hi_u32 v11, v3, v9
	v_mul_lo_u32 v13, v3, v7
	v_mul_hi_u32 v16, v3, v7
	v_mul_hi_u32 v17, v5, v9
	v_mul_lo_u32 v9, v5, v9
	v_mul_hi_u32 v21, v5, v7
	v_mul_lo_u32 v7, v5, v7
	v_add_co_u32 v11, vcc_lo, v11, v13
	v_add_co_ci_u32_e32 v13, vcc_lo, 0, v16, vcc_lo
	s_delay_alu instid0(VALU_DEP_2) | instskip(NEXT) | instid1(VALU_DEP_2)
	v_add_co_u32 v9, vcc_lo, v11, v9
	v_add_co_ci_u32_e32 v9, vcc_lo, v13, v17, vcc_lo
	v_add_co_ci_u32_e32 v11, vcc_lo, 0, v21, vcc_lo
	v_ashrrev_i32_e32 v17, 31, v15
	s_delay_alu instid0(VALU_DEP_3) | instskip(NEXT) | instid1(VALU_DEP_3)
	v_add_co_u32 v7, vcc_lo, v9, v7
	v_add_co_ci_u32_e32 v9, vcc_lo, 0, v11, vcc_lo
	s_delay_alu instid0(VALU_DEP_2) | instskip(NEXT) | instid1(VALU_DEP_2)
	v_add_co_u32 v3, vcc_lo, v3, v7
	v_add_co_ci_u32_e32 v5, vcc_lo, v5, v9, vcc_lo
	s_delay_alu instid0(VALU_DEP_2) | instskip(SKIP_1) | instid1(VALU_DEP_3)
	v_mul_hi_u32 v7, s0, v3
	v_mul_lo_u32 v11, s53, v3
	v_mul_lo_u32 v9, s0, v5
	s_delay_alu instid0(VALU_DEP_1) | instskip(SKIP_1) | instid1(VALU_DEP_2)
	v_add_nc_u32_e32 v7, v7, v9
	v_mul_lo_u32 v9, s0, v3
	v_add_nc_u32_e32 v7, v7, v11
	s_delay_alu instid0(VALU_DEP_2) | instskip(NEXT) | instid1(VALU_DEP_2)
	v_mul_hi_u32 v11, v3, v9
	v_mul_lo_u32 v13, v3, v7
	v_mul_hi_u32 v16, v3, v7
	v_mul_hi_u32 v21, v5, v9
	v_mul_lo_u32 v9, v5, v9
	v_mul_hi_u32 v22, v5, v7
	v_mul_lo_u32 v7, v5, v7
	v_add_co_u32 v11, vcc_lo, v11, v13
	v_add_co_ci_u32_e32 v13, vcc_lo, 0, v16, vcc_lo
	s_delay_alu instid0(VALU_DEP_2) | instskip(NEXT) | instid1(VALU_DEP_2)
	v_add_co_u32 v9, vcc_lo, v11, v9
	v_add_co_ci_u32_e32 v9, vcc_lo, v13, v21, vcc_lo
	v_add_co_ci_u32_e32 v11, vcc_lo, 0, v22, vcc_lo
	v_add_co_u32 v13, vcc_lo, v14, v17
	v_add_co_ci_u32_e32 v15, vcc_lo, v15, v17, vcc_lo
	s_delay_alu instid0(VALU_DEP_4) | instskip(NEXT) | instid1(VALU_DEP_4)
	v_add_co_u32 v7, vcc_lo, v9, v7
	v_add_co_ci_u32_e32 v9, vcc_lo, 0, v11, vcc_lo
	s_delay_alu instid0(VALU_DEP_4) | instskip(NEXT) | instid1(VALU_DEP_3)
	v_xor_b32_e32 v11, v13, v17
	v_add_co_u32 v3, vcc_lo, v3, v7
	s_delay_alu instid0(VALU_DEP_3) | instskip(SKIP_1) | instid1(VALU_DEP_3)
	v_add_co_ci_u32_e32 v5, vcc_lo, v5, v9, vcc_lo
	v_xor_b32_e32 v7, v15, v17
	v_mul_hi_u32 v9, v11, v3
	s_delay_alu instid0(VALU_DEP_3) | instskip(NEXT) | instid1(VALU_DEP_3)
	v_mad_u64_u32 v[15:16], null, v11, v5, 0
	v_mad_u64_u32 v[21:22], null, v7, v3, 0
	;; [unrolled: 1-line block ×3, first 2 shown]
	s_delay_alu instid0(VALU_DEP_3) | instskip(NEXT) | instid1(VALU_DEP_4)
	v_add_co_u32 v3, vcc_lo, v9, v15
	v_add_co_ci_u32_e32 v5, vcc_lo, 0, v16, vcc_lo
	s_delay_alu instid0(VALU_DEP_2) | instskip(NEXT) | instid1(VALU_DEP_2)
	v_add_co_u32 v3, vcc_lo, v3, v21
	v_add_co_ci_u32_e32 v3, vcc_lo, v5, v22, vcc_lo
	v_add_co_ci_u32_e32 v5, vcc_lo, 0, v24, vcc_lo
	s_delay_alu instid0(VALU_DEP_2) | instskip(NEXT) | instid1(VALU_DEP_2)
	v_add_co_u32 v3, vcc_lo, v3, v23
	v_add_co_ci_u32_e32 v5, vcc_lo, 0, v5, vcc_lo
	s_delay_alu instid0(VALU_DEP_2) | instskip(SKIP_1) | instid1(VALU_DEP_3)
	v_mul_lo_u32 v9, s29, v3
	v_mad_u64_u32 v[15:16], null, s28, v3, 0
	v_mul_lo_u32 v13, s28, v5
	s_delay_alu instid0(VALU_DEP_2) | instskip(NEXT) | instid1(VALU_DEP_2)
	v_sub_co_u32 v11, vcc_lo, v11, v15
	v_add3_u32 v9, v16, v13, v9
	s_delay_alu instid0(VALU_DEP_1) | instskip(NEXT) | instid1(VALU_DEP_1)
	v_sub_nc_u32_e32 v13, v7, v9
	v_subrev_co_ci_u32_e64 v13, s0, s29, v13, vcc_lo
	v_add_co_u32 v15, s0, v3, 2
	s_delay_alu instid0(VALU_DEP_1) | instskip(SKIP_3) | instid1(VALU_DEP_3)
	v_add_co_ci_u32_e64 v16, s0, 0, v5, s0
	v_sub_co_u32 v21, s0, v11, s28
	v_sub_co_ci_u32_e32 v7, vcc_lo, v7, v9, vcc_lo
	v_subrev_co_ci_u32_e64 v13, s0, 0, v13, s0
	v_cmp_le_u32_e32 vcc_lo, s28, v21
	s_delay_alu instid0(VALU_DEP_3) | instskip(SKIP_1) | instid1(VALU_DEP_4)
	v_cmp_eq_u32_e64 s0, s29, v7
	v_cndmask_b32_e64 v9, 0, -1, vcc_lo
	v_cmp_le_u32_e32 vcc_lo, s29, v13
	v_cndmask_b32_e64 v21, 0, -1, vcc_lo
	v_cmp_le_u32_e32 vcc_lo, s28, v11
	;; [unrolled: 2-line block ×3, first 2 shown]
	v_cndmask_b32_e64 v22, 0, -1, vcc_lo
	v_cmp_eq_u32_e32 vcc_lo, s29, v13
	s_delay_alu instid0(VALU_DEP_2) | instskip(SKIP_3) | instid1(VALU_DEP_3)
	v_cndmask_b32_e64 v7, v22, v11, s0
	v_cndmask_b32_e32 v9, v21, v9, vcc_lo
	v_add_co_u32 v13, vcc_lo, v3, 1
	v_add_co_ci_u32_e32 v21, vcc_lo, 0, v5, vcc_lo
	v_cmp_ne_u32_e32 vcc_lo, 0, v9
	s_delay_alu instid0(VALU_DEP_2) | instskip(NEXT) | instid1(VALU_DEP_4)
	v_cndmask_b32_e32 v9, v21, v16, vcc_lo
	v_cndmask_b32_e32 v11, v13, v15, vcc_lo
	v_cmp_ne_u32_e32 vcc_lo, 0, v7
	v_xor_b32_e32 v7, s26, v17
	s_delay_alu instid0(VALU_DEP_3) | instskip(SKIP_2) | instid1(VALU_DEP_3)
	v_cndmask_b32_e32 v3, v3, v11, vcc_lo
	v_cndmask_b32_e32 v5, v5, v9, vcc_lo
	v_xor_b32_e32 v9, s27, v17
	v_xor_b32_e32 v3, v3, v7
	s_delay_alu instid0(VALU_DEP_2) | instskip(NEXT) | instid1(VALU_DEP_2)
	v_xor_b32_e32 v5, v5, v9
	v_sub_co_u32 v16, vcc_lo, v3, v7
	s_delay_alu instid0(VALU_DEP_2)
	v_sub_co_ci_u32_e32 v17, vcc_lo, v5, v9, vcc_lo
.LBB65_36:                              ;   in Loop: Header=BB65_22 Depth=2
	s_and_not1_saveexec_b32 s0, s52
	s_cbranch_execz .LBB65_38
; %bb.37:                               ;   in Loop: Header=BB65_22 Depth=2
	v_cvt_f32_u32_e32 v3, s51
	s_sub_i32 s26, 0, s51
	v_mov_b32_e32 v17, v2
	s_delay_alu instid0(VALU_DEP_2) | instskip(SKIP_2) | instid1(VALU_DEP_1)
	v_rcp_iflag_f32_e32 v3, v3
	s_waitcnt_depctr 0xfff
	v_mul_f32_e32 v3, 0x4f7ffffe, v3
	v_cvt_u32_f32_e32 v3, v3
	s_delay_alu instid0(VALU_DEP_1) | instskip(NEXT) | instid1(VALU_DEP_1)
	v_mul_lo_u32 v5, s26, v3
	v_mul_hi_u32 v5, v3, v5
	s_delay_alu instid0(VALU_DEP_1) | instskip(NEXT) | instid1(VALU_DEP_1)
	v_add_nc_u32_e32 v3, v3, v5
	v_mul_hi_u32 v3, v14, v3
	s_delay_alu instid0(VALU_DEP_1) | instskip(SKIP_1) | instid1(VALU_DEP_2)
	v_mul_lo_u32 v5, v3, s51
	v_add_nc_u32_e32 v7, 1, v3
	v_sub_nc_u32_e32 v5, v14, v5
	s_delay_alu instid0(VALU_DEP_1) | instskip(SKIP_1) | instid1(VALU_DEP_4)
	v_cmp_le_u32_e32 vcc_lo, s51, v5
	v_subrev_nc_u32_e32 v9, s51, v5
	v_cndmask_b32_e32 v3, v3, v7, vcc_lo
	s_delay_alu instid0(VALU_DEP_1) | instskip(NEXT) | instid1(VALU_DEP_3)
	v_add_nc_u32_e32 v7, 1, v3
	v_cndmask_b32_e32 v5, v5, v9, vcc_lo
	s_delay_alu instid0(VALU_DEP_1) | instskip(NEXT) | instid1(VALU_DEP_3)
	v_cmp_le_u32_e32 vcc_lo, s51, v5
	v_cndmask_b32_e32 v16, v3, v7, vcc_lo
.LBB65_38:                              ;   in Loop: Header=BB65_22 Depth=2
	s_or_b32 exec_lo, exec_lo, s0
	s_add_u32 s24, s36, s24
	s_addc_u32 s25, s37, s25
	v_mul_lo_u32 v3, v10, s13
	s_clause 0x1
	s_load_b32 s0, s[22:23], 0x6c
	s_load_b32 s13, s[24:25], 0x0
	v_mul_lo_u32 v5, v12, s45
	v_mul_lo_u32 v7, v14, s48
	;; [unrolled: 1-line block ×3, first 2 shown]
	s_add_i32 s16, s16, -4
	s_delay_alu instid0(SALU_CYCLE_1) | instskip(SKIP_1) | instid1(VALU_DEP_4)
	s_cmp_eq_u32 s16, -1
	v_sub_nc_u32_e32 v3, v8, v3
	v_sub_nc_u32_e32 v5, v10, v5
	s_delay_alu instid0(VALU_DEP_4) | instskip(NEXT) | instid1(VALU_DEP_4)
	v_sub_nc_u32_e32 v7, v12, v7
	v_sub_nc_u32_e32 v8, v14, v9
	s_delay_alu instid0(VALU_DEP_4)
	v_mul_lo_u32 v9, s43, v3
	v_mul_lo_u32 v3, s44, v3
	v_mul_lo_u32 v10, s46, v5
	v_mul_lo_u32 v5, s47, v5
	v_mul_lo_u32 v11, s49, v7
	v_mul_lo_u32 v7, s50, v7
	s_waitcnt lgkmcnt(0)
	v_mul_lo_u32 v12, s0, v8
	v_mul_lo_u32 v8, s13, v8
	v_add3_u32 v6, v9, v6, v10
	v_add3_u32 v3, v3, v4, v5
	s_delay_alu instid0(VALU_DEP_2) | instskip(NEXT) | instid1(VALU_DEP_2)
	v_add3_u32 v6, v11, v6, v12
	v_add3_u32 v4, v7, v3, v8
	s_cbranch_scc1 .LBB65_40
; %bb.39:                               ;   in Loop: Header=BB65_22 Depth=2
	v_dual_mov_b32 v8, v16 :: v_dual_mov_b32 v9, v17
	s_branch .LBB65_22
.LBB65_40:                              ;   in Loop: Header=BB65_3 Depth=1
	v_sub_nc_u32_e32 v5, v19, v20
	v_mov_b32_e32 v7, 0
	s_mov_b32 s13, exec_lo
	s_delay_alu instid0(VALU_DEP_2) | instskip(NEXT) | instid1(VALU_DEP_1)
	v_dual_mov_b32 v8, 0 :: v_dual_add_nc_u32 v9, 2, v5
	v_dual_mov_b32 v12, v8 :: v_dual_mov_b32 v11, v7
	s_delay_alu instid0(VALU_DEP_2) | instskip(NEXT) | instid1(VALU_DEP_1)
	v_ashrrev_i32_e32 v10, 31, v9
	v_cmpx_le_i64_e64 s[4:5], v[9:10]
	s_cbranch_execz .LBB65_46
; %bb.41:                               ;   in Loop: Header=BB65_3 Depth=1
	v_mov_b32_e32 v7, 0
	v_mov_b32_e32 v8, 0
	s_mov_b32 s0, exec_lo
	s_delay_alu instid0(VALU_DEP_1)
	v_dual_mov_b32 v10, v8 :: v_dual_mov_b32 v9, v7
	v_cmpx_gt_i32_e64 s9, v19
	s_cbranch_execz .LBB65_45
; %bb.42:                               ;   in Loop: Header=BB65_3 Depth=1
	v_ashrrev_i32_e32 v7, 31, v6
	v_mov_b32_e32 v9, 0
	v_dual_mov_b32 v10, 0 :: v_dual_add_nc_u32 v3, 1, v19
	s_mov_b32 s16, exec_lo
	s_delay_alu instid0(VALU_DEP_3) | instskip(NEXT) | instid1(VALU_DEP_1)
	v_lshlrev_b64 v[6:7], 3, v[6:7]
	v_add_co_u32 v11, vcc_lo, s2, v6
	s_delay_alu instid0(VALU_DEP_2)
	v_add_co_ci_u32_e32 v12, vcc_lo, s3, v7, vcc_lo
	global_load_b64 v[7:8], v[11:12], off
	v_cmpx_gt_i32_e64 s9, v3
	s_xor_b32 s16, exec_lo, s16
	s_cbranch_execz .LBB65_44
; %bb.43:                               ;   in Loop: Header=BB65_3 Depth=1
	s_lshl_b64 s[22:23], s[18:19], 3
	s_delay_alu instid0(SALU_CYCLE_1)
	v_add_co_u32 v9, vcc_lo, v11, s22
	v_add_co_ci_u32_e32 v10, vcc_lo, s23, v12, vcc_lo
	global_load_b64 v[9:10], v[9:10], off
.LBB65_44:                              ;   in Loop: Header=BB65_3 Depth=1
	s_or_b32 exec_lo, exec_lo, s16
.LBB65_45:                              ;   in Loop: Header=BB65_3 Depth=1
	s_delay_alu instid0(SALU_CYCLE_1) | instskip(SKIP_1) | instid1(VALU_DEP_1)
	s_or_b32 exec_lo, exec_lo, s0
	v_ashrrev_i32_e32 v6, 31, v5
	v_cmp_le_i64_e32 vcc_lo, s[4:5], v[5:6]
	v_add_nc_u32_e32 v11, 1, v5
	s_delay_alu instid0(VALU_DEP_1) | instskip(NEXT) | instid1(VALU_DEP_1)
	v_ashrrev_i32_e32 v12, 31, v11
	v_cmp_le_i64_e64 s0, s[4:5], v[11:12]
	s_waitcnt vmcnt(0)
	v_dual_cndmask_b32 v12, 0, v8 :: v_dual_cndmask_b32 v11, 0, v7
	s_delay_alu instid0(VALU_DEP_2)
	v_cndmask_b32_e64 v8, 0, v10, s0
	v_cndmask_b32_e64 v7, 0, v9, s0
.LBB65_46:                              ;   in Loop: Header=BB65_3 Depth=1
	s_or_b32 exec_lo, exec_lo, s13
	s_delay_alu instid0(SALU_CYCLE_1)
	s_mov_b32 s0, exec_lo
	v_cmpx_gt_i32_e64 s9, v19
	s_cbranch_execz .LBB65_2
; %bb.47:                               ;   in Loop: Header=BB65_3 Depth=1
	v_ashrrev_i32_e32 v5, 31, v4
	s_mov_b32 s13, exec_lo
	s_delay_alu instid0(VALU_DEP_1) | instskip(SKIP_1) | instid1(VALU_DEP_2)
	v_lshlrev_b64 v[3:4], 3, v[4:5]
	v_add_nc_u32_e32 v5, 1, v19
	v_add_co_u32 v3, vcc_lo, s14, v3
	s_delay_alu instid0(VALU_DEP_3)
	v_add_co_ci_u32_e32 v4, vcc_lo, s15, v4, vcc_lo
	global_store_b64 v[3:4], v[11:12], off
	v_cmpx_gt_i32_e64 s9, v5
	s_xor_b32 s13, exec_lo, s13
	s_cbranch_execz .LBB65_2
; %bb.48:                               ;   in Loop: Header=BB65_3 Depth=1
	s_lshl_b64 s[22:23], s[20:21], 3
	s_delay_alu instid0(SALU_CYCLE_1)
	v_add_co_u32 v3, vcc_lo, v3, s22
	v_add_co_ci_u32_e32 v4, vcc_lo, s23, v4, vcc_lo
	global_store_b64 v[3:4], v[7:8], off
	s_branch .LBB65_2
.LBB65_49:
	s_nop 0
	s_sendmsg sendmsg(MSG_DEALLOC_VGPRS)
	s_endpgm
	.section	.rodata,"a",@progbits
	.p2align	6, 0x0
	.amdhsa_kernel _ZN2at6native16triu_tril_kernelIliLb1ELi2ELb0EEEvNS_4cuda6detail10TensorInfoIT_T0_EENS4_IKS5_S6_EEllS6_
		.amdhsa_group_segment_fixed_size 0
		.amdhsa_private_segment_fixed_size 0
		.amdhsa_kernarg_size 712
		.amdhsa_user_sgpr_count 15
		.amdhsa_user_sgpr_dispatch_ptr 0
		.amdhsa_user_sgpr_queue_ptr 0
		.amdhsa_user_sgpr_kernarg_segment_ptr 1
		.amdhsa_user_sgpr_dispatch_id 0
		.amdhsa_user_sgpr_private_segment_size 0
		.amdhsa_wavefront_size32 1
		.amdhsa_uses_dynamic_stack 0
		.amdhsa_enable_private_segment 0
		.amdhsa_system_sgpr_workgroup_id_x 1
		.amdhsa_system_sgpr_workgroup_id_y 0
		.amdhsa_system_sgpr_workgroup_id_z 0
		.amdhsa_system_sgpr_workgroup_info 0
		.amdhsa_system_vgpr_workitem_id 0
		.amdhsa_next_free_vgpr 25
		.amdhsa_next_free_sgpr 54
		.amdhsa_reserve_vcc 1
		.amdhsa_float_round_mode_32 0
		.amdhsa_float_round_mode_16_64 0
		.amdhsa_float_denorm_mode_32 3
		.amdhsa_float_denorm_mode_16_64 3
		.amdhsa_dx10_clamp 1
		.amdhsa_ieee_mode 1
		.amdhsa_fp16_overflow 0
		.amdhsa_workgroup_processor_mode 1
		.amdhsa_memory_ordered 1
		.amdhsa_forward_progress 0
		.amdhsa_shared_vgpr_count 0
		.amdhsa_exception_fp_ieee_invalid_op 0
		.amdhsa_exception_fp_denorm_src 0
		.amdhsa_exception_fp_ieee_div_zero 0
		.amdhsa_exception_fp_ieee_overflow 0
		.amdhsa_exception_fp_ieee_underflow 0
		.amdhsa_exception_fp_ieee_inexact 0
		.amdhsa_exception_int_div_zero 0
	.end_amdhsa_kernel
	.section	.text._ZN2at6native16triu_tril_kernelIliLb1ELi2ELb0EEEvNS_4cuda6detail10TensorInfoIT_T0_EENS4_IKS5_S6_EEllS6_,"axG",@progbits,_ZN2at6native16triu_tril_kernelIliLb1ELi2ELb0EEEvNS_4cuda6detail10TensorInfoIT_T0_EENS4_IKS5_S6_EEllS6_,comdat
.Lfunc_end65:
	.size	_ZN2at6native16triu_tril_kernelIliLb1ELi2ELb0EEEvNS_4cuda6detail10TensorInfoIT_T0_EENS4_IKS5_S6_EEllS6_, .Lfunc_end65-_ZN2at6native16triu_tril_kernelIliLb1ELi2ELb0EEEvNS_4cuda6detail10TensorInfoIT_T0_EENS4_IKS5_S6_EEllS6_
                                        ; -- End function
	.section	.AMDGPU.csdata,"",@progbits
; Kernel info:
; codeLenInByte = 8400
; NumSgprs: 56
; NumVgprs: 25
; ScratchSize: 0
; MemoryBound: 0
; FloatMode: 240
; IeeeMode: 1
; LDSByteSize: 0 bytes/workgroup (compile time only)
; SGPRBlocks: 6
; VGPRBlocks: 3
; NumSGPRsForWavesPerEU: 56
; NumVGPRsForWavesPerEU: 25
; Occupancy: 16
; WaveLimiterHint : 0
; COMPUTE_PGM_RSRC2:SCRATCH_EN: 0
; COMPUTE_PGM_RSRC2:USER_SGPR: 15
; COMPUTE_PGM_RSRC2:TRAP_HANDLER: 0
; COMPUTE_PGM_RSRC2:TGID_X_EN: 1
; COMPUTE_PGM_RSRC2:TGID_Y_EN: 0
; COMPUTE_PGM_RSRC2:TGID_Z_EN: 0
; COMPUTE_PGM_RSRC2:TIDIG_COMP_CNT: 0
	.section	.text._ZN2at6native16triu_tril_kernelIllLb1ELi2ELb1EEEvNS_4cuda6detail10TensorInfoIT_T0_EENS4_IKS5_S6_EEllS6_,"axG",@progbits,_ZN2at6native16triu_tril_kernelIllLb1ELi2ELb1EEEvNS_4cuda6detail10TensorInfoIT_T0_EENS4_IKS5_S6_EEllS6_,comdat
	.protected	_ZN2at6native16triu_tril_kernelIllLb1ELi2ELb1EEEvNS_4cuda6detail10TensorInfoIT_T0_EENS4_IKS5_S6_EEllS6_ ; -- Begin function _ZN2at6native16triu_tril_kernelIllLb1ELi2ELb1EEEvNS_4cuda6detail10TensorInfoIT_T0_EENS4_IKS5_S6_EEllS6_
	.globl	_ZN2at6native16triu_tril_kernelIllLb1ELi2ELb1EEEvNS_4cuda6detail10TensorInfoIT_T0_EENS4_IKS5_S6_EEllS6_
	.p2align	8
	.type	_ZN2at6native16triu_tril_kernelIllLb1ELi2ELb1EEEvNS_4cuda6detail10TensorInfoIT_T0_EENS4_IKS5_S6_EEllS6_,@function
_ZN2at6native16triu_tril_kernelIllLb1ELi2ELb1EEEvNS_4cuda6detail10TensorInfoIT_T0_EENS4_IKS5_S6_EEllS6_: ; @_ZN2at6native16triu_tril_kernelIllLb1ELi2ELb1EEEvNS_4cuda6detail10TensorInfoIT_T0_EENS4_IKS5_S6_EEllS6_
; %bb.0:
	s_clause 0x1
	s_load_b32 s2, s[0:1], 0x364
	s_load_b128 s[4:7], s[0:1], 0x340
	v_mov_b32_e32 v2, 0
	s_add_u32 s8, s0, 0x358
	s_addc_u32 s9, s1, 0
	s_delay_alu instid0(VALU_DEP_1) | instskip(SKIP_3) | instid1(VALU_DEP_1)
	v_mov_b32_e32 v1, v2
	s_waitcnt lgkmcnt(0)
	s_and_b32 s10, s2, 0xffff
	s_mov_b32 s2, exec_lo
	v_mad_u64_u32 v[3:4], null, s10, s15, v[0:1]
	s_delay_alu instid0(VALU_DEP_1) | instskip(NEXT) | instid1(VALU_DEP_1)
	v_lshlrev_b64 v[0:1], 1, v[3:4]
	v_cmpx_gt_i64_e64 s[6:7], v[0:1]
	s_cbranch_execz .LBB66_21
; %bb.1:
	s_clause 0x1
	s_load_b32 s24, s[0:1], 0x338
	s_load_b64 s[2:3], s[0:1], 0x350
	s_load_b32 s11, s[8:9], 0x0
	s_load_b64 s[8:9], s[0:1], 0x0
	s_mov_b32 s45, 0
	s_waitcnt lgkmcnt(0)
	s_ashr_i32 s25, s24, 31
	s_add_u32 s20, s0, 0x1a8
	s_addc_u32 s21, s1, 0
	s_lshl_b64 s[12:13], s[24:25], 3
	v_cvt_f32_u32_e32 v3, s2
	s_add_u32 s14, s12, -16
	s_addc_u32 s15, s13, -1
	s_add_u32 s22, s20, s14
	s_addc_u32 s23, s21, s15
	v_rcp_iflag_f32_e32 v3, v3
	s_add_u32 s17, s12, -8
	s_addc_u32 s18, s13, -1
	s_add_u32 s26, s0, 0xd0
	s_addc_u32 s27, s1, 0
	s_mul_i32 s16, s11, s10
	s_add_u32 s10, s26, s17
	s_addc_u32 s11, s27, s18
	s_add_u32 s12, s26, s14
	s_addc_u32 s13, s27, s15
	s_add_i32 s0, s24, -3
	s_waitcnt_depctr 0xfff
	v_mul_f32_e32 v3, 0x4f7ffffe, v3
	s_ashr_i32 s1, s0, 31
	s_add_u32 s14, s20, s17
	s_addc_u32 s15, s21, s18
	s_lshl_b64 s[18:19], s[0:1], 3
	s_lshl_b32 s33, s16, 1
	s_add_u32 s16, s26, s18
	s_addc_u32 s17, s27, s19
	v_cvt_u32_f32_e32 v3, v3
	s_add_u32 s18, s20, s18
	s_addc_u32 s19, s21, s19
	s_add_u32 s20, s0, 1
	s_addc_u32 s21, s1, 0
	s_sub_i32 s0, 0, s2
	s_load_b64 s[22:23], s[22:23], 0x0
	v_mul_lo_u32 v4, s0, v3
	v_cmp_gt_i64_e64 s44, s[24:25], 2
	s_ashr_i32 s24, s3, 31
	s_delay_alu instid0(VALU_DEP_2) | instskip(NEXT) | instid1(VALU_DEP_1)
	v_mul_hi_u32 v4, v3, v4
	v_add_nc_u32_e32 v14, v3, v4
	s_waitcnt lgkmcnt(0)
	s_ashr_i32 s26, s23, 31
	s_branch .LBB66_3
.LBB66_2:                               ;   in Loop: Header=BB66_3 Depth=1
	s_or_b32 exec_lo, exec_lo, s25
	v_add_co_u32 v0, vcc_lo, v0, s33
	v_add_co_ci_u32_e32 v1, vcc_lo, 0, v1, vcc_lo
	s_delay_alu instid0(VALU_DEP_1) | instskip(SKIP_1) | instid1(SALU_CYCLE_1)
	v_cmp_le_i64_e32 vcc_lo, s[6:7], v[0:1]
	s_or_b32 s45, vcc_lo, s45
	s_and_not1_b32 exec_lo, exec_lo, s45
	s_cbranch_execz .LBB66_21
.LBB66_3:                               ; =>This Loop Header: Depth=1
                                        ;     Child Loop BB66_17 Depth 2
	v_or_b32_e32 v3, s3, v1
                                        ; implicit-def: $vgpr8_vgpr9
	s_mov_b32 s0, exec_lo
	s_delay_alu instid0(VALU_DEP_1)
	v_cmpx_ne_u64_e32 0, v[2:3]
	s_xor_b32 s1, exec_lo, s0
	s_cbranch_execz .LBB66_5
; %bb.4:                                ;   in Loop: Header=BB66_3 Depth=1
	s_add_u32 s28, s2, s24
	s_mov_b32 s25, s24
	s_addc_u32 s29, s3, s24
	s_delay_alu instid0(SALU_CYCLE_1) | instskip(NEXT) | instid1(SALU_CYCLE_1)
	s_xor_b64 s[28:29], s[28:29], s[24:25]
	v_cvt_f32_u32_e32 v3, s28
	v_cvt_f32_u32_e32 v4, s29
	s_sub_u32 s0, 0, s28
	s_subb_u32 s25, 0, s29
	s_delay_alu instid0(VALU_DEP_1) | instskip(NEXT) | instid1(VALU_DEP_1)
	v_fmac_f32_e32 v3, 0x4f800000, v4
	v_rcp_f32_e32 v3, v3
	s_waitcnt_depctr 0xfff
	v_mul_f32_e32 v3, 0x5f7ffffc, v3
	s_delay_alu instid0(VALU_DEP_1) | instskip(NEXT) | instid1(VALU_DEP_1)
	v_mul_f32_e32 v4, 0x2f800000, v3
	v_trunc_f32_e32 v4, v4
	s_delay_alu instid0(VALU_DEP_1) | instskip(SKIP_1) | instid1(VALU_DEP_2)
	v_fmac_f32_e32 v3, 0xcf800000, v4
	v_cvt_u32_f32_e32 v4, v4
	v_cvt_u32_f32_e32 v3, v3
	s_delay_alu instid0(VALU_DEP_2) | instskip(NEXT) | instid1(VALU_DEP_2)
	v_mul_lo_u32 v5, s0, v4
	v_mul_hi_u32 v6, s0, v3
	v_mul_lo_u32 v7, s25, v3
	s_delay_alu instid0(VALU_DEP_2) | instskip(SKIP_1) | instid1(VALU_DEP_2)
	v_add_nc_u32_e32 v5, v6, v5
	v_mul_lo_u32 v6, s0, v3
	v_add_nc_u32_e32 v5, v5, v7
	s_delay_alu instid0(VALU_DEP_2) | instskip(NEXT) | instid1(VALU_DEP_2)
	v_mul_hi_u32 v7, v3, v6
	v_mul_lo_u32 v8, v3, v5
	v_mul_hi_u32 v9, v3, v5
	v_mul_hi_u32 v10, v4, v6
	v_mul_lo_u32 v6, v4, v6
	v_mul_hi_u32 v11, v4, v5
	v_mul_lo_u32 v5, v4, v5
	v_add_co_u32 v7, vcc_lo, v7, v8
	v_add_co_ci_u32_e32 v8, vcc_lo, 0, v9, vcc_lo
	s_delay_alu instid0(VALU_DEP_2) | instskip(NEXT) | instid1(VALU_DEP_2)
	v_add_co_u32 v6, vcc_lo, v7, v6
	v_add_co_ci_u32_e32 v6, vcc_lo, v8, v10, vcc_lo
	v_add_co_ci_u32_e32 v7, vcc_lo, 0, v11, vcc_lo
	v_ashrrev_i32_e32 v10, 31, v1
	s_delay_alu instid0(VALU_DEP_3) | instskip(NEXT) | instid1(VALU_DEP_3)
	v_add_co_u32 v5, vcc_lo, v6, v5
	v_add_co_ci_u32_e32 v6, vcc_lo, 0, v7, vcc_lo
	s_delay_alu instid0(VALU_DEP_2) | instskip(NEXT) | instid1(VALU_DEP_2)
	v_add_co_u32 v3, vcc_lo, v3, v5
	v_add_co_ci_u32_e32 v4, vcc_lo, v4, v6, vcc_lo
	s_delay_alu instid0(VALU_DEP_2) | instskip(SKIP_1) | instid1(VALU_DEP_3)
	v_mul_hi_u32 v5, s0, v3
	v_mul_lo_u32 v7, s25, v3
	v_mul_lo_u32 v6, s0, v4
	s_delay_alu instid0(VALU_DEP_1) | instskip(SKIP_1) | instid1(VALU_DEP_2)
	v_add_nc_u32_e32 v5, v5, v6
	v_mul_lo_u32 v6, s0, v3
	v_add_nc_u32_e32 v5, v5, v7
	s_delay_alu instid0(VALU_DEP_2) | instskip(NEXT) | instid1(VALU_DEP_2)
	v_mul_hi_u32 v7, v3, v6
	v_mul_lo_u32 v8, v3, v5
	v_mul_hi_u32 v9, v3, v5
	v_mul_hi_u32 v11, v4, v6
	v_mul_lo_u32 v6, v4, v6
	v_mul_hi_u32 v12, v4, v5
	v_mul_lo_u32 v5, v4, v5
	v_add_co_u32 v7, vcc_lo, v7, v8
	v_add_co_ci_u32_e32 v8, vcc_lo, 0, v9, vcc_lo
	s_delay_alu instid0(VALU_DEP_2) | instskip(NEXT) | instid1(VALU_DEP_2)
	v_add_co_u32 v6, vcc_lo, v7, v6
	v_add_co_ci_u32_e32 v6, vcc_lo, v8, v11, vcc_lo
	v_add_co_ci_u32_e32 v7, vcc_lo, 0, v12, vcc_lo
	v_add_co_u32 v8, vcc_lo, v0, v10
	v_add_co_ci_u32_e32 v9, vcc_lo, v1, v10, vcc_lo
	s_delay_alu instid0(VALU_DEP_4) | instskip(NEXT) | instid1(VALU_DEP_4)
	v_add_co_u32 v5, vcc_lo, v6, v5
	v_add_co_ci_u32_e32 v6, vcc_lo, 0, v7, vcc_lo
	s_delay_alu instid0(VALU_DEP_4) | instskip(NEXT) | instid1(VALU_DEP_3)
	v_xor_b32_e32 v11, v8, v10
	v_add_co_u32 v7, vcc_lo, v3, v5
	s_delay_alu instid0(VALU_DEP_3) | instskip(SKIP_1) | instid1(VALU_DEP_3)
	v_add_co_ci_u32_e32 v12, vcc_lo, v4, v6, vcc_lo
	v_xor_b32_e32 v9, v9, v10
	v_mul_hi_u32 v13, v11, v7
	s_delay_alu instid0(VALU_DEP_3) | instskip(NEXT) | instid1(VALU_DEP_3)
	v_mad_u64_u32 v[3:4], null, v11, v12, 0
	v_mad_u64_u32 v[5:6], null, v9, v7, 0
	;; [unrolled: 1-line block ×3, first 2 shown]
	s_delay_alu instid0(VALU_DEP_3) | instskip(NEXT) | instid1(VALU_DEP_4)
	v_add_co_u32 v3, vcc_lo, v13, v3
	v_add_co_ci_u32_e32 v4, vcc_lo, 0, v4, vcc_lo
	s_delay_alu instid0(VALU_DEP_2) | instskip(NEXT) | instid1(VALU_DEP_2)
	v_add_co_u32 v3, vcc_lo, v3, v5
	v_add_co_ci_u32_e32 v3, vcc_lo, v4, v6, vcc_lo
	v_add_co_ci_u32_e32 v4, vcc_lo, 0, v8, vcc_lo
	s_delay_alu instid0(VALU_DEP_2) | instskip(NEXT) | instid1(VALU_DEP_2)
	v_add_co_u32 v5, vcc_lo, v3, v7
	v_add_co_ci_u32_e32 v6, vcc_lo, 0, v4, vcc_lo
	s_delay_alu instid0(VALU_DEP_2) | instskip(SKIP_1) | instid1(VALU_DEP_3)
	v_mul_lo_u32 v7, s29, v5
	v_mad_u64_u32 v[3:4], null, s28, v5, 0
	v_mul_lo_u32 v8, s28, v6
	s_delay_alu instid0(VALU_DEP_2) | instskip(NEXT) | instid1(VALU_DEP_2)
	v_sub_co_u32 v3, vcc_lo, v11, v3
	v_add3_u32 v4, v4, v8, v7
	s_delay_alu instid0(VALU_DEP_1) | instskip(NEXT) | instid1(VALU_DEP_1)
	v_sub_nc_u32_e32 v7, v9, v4
	v_subrev_co_ci_u32_e64 v7, s0, s29, v7, vcc_lo
	v_add_co_u32 v8, s0, v5, 2
	s_delay_alu instid0(VALU_DEP_1) | instskip(SKIP_3) | instid1(VALU_DEP_3)
	v_add_co_ci_u32_e64 v11, s0, 0, v6, s0
	v_sub_co_u32 v12, s0, v3, s28
	v_sub_co_ci_u32_e32 v4, vcc_lo, v9, v4, vcc_lo
	v_subrev_co_ci_u32_e64 v7, s0, 0, v7, s0
	v_cmp_le_u32_e32 vcc_lo, s28, v12
	s_delay_alu instid0(VALU_DEP_3) | instskip(SKIP_1) | instid1(VALU_DEP_4)
	v_cmp_eq_u32_e64 s0, s29, v4
	v_cndmask_b32_e64 v9, 0, -1, vcc_lo
	v_cmp_le_u32_e32 vcc_lo, s29, v7
	v_cndmask_b32_e64 v12, 0, -1, vcc_lo
	v_cmp_le_u32_e32 vcc_lo, s28, v3
	;; [unrolled: 2-line block ×3, first 2 shown]
	v_cndmask_b32_e64 v13, 0, -1, vcc_lo
	v_cmp_eq_u32_e32 vcc_lo, s29, v7
	s_delay_alu instid0(VALU_DEP_2) | instskip(SKIP_3) | instid1(VALU_DEP_3)
	v_cndmask_b32_e64 v3, v13, v3, s0
	v_cndmask_b32_e32 v7, v12, v9, vcc_lo
	v_add_co_u32 v9, vcc_lo, v5, 1
	v_add_co_ci_u32_e32 v12, vcc_lo, 0, v6, vcc_lo
	v_cmp_ne_u32_e32 vcc_lo, 0, v7
	s_delay_alu instid0(VALU_DEP_2) | instskip(SKIP_2) | instid1(VALU_DEP_3)
	v_dual_cndmask_b32 v4, v12, v11 :: v_dual_cndmask_b32 v7, v9, v8
	v_cmp_ne_u32_e32 vcc_lo, 0, v3
	v_xor_b32_e32 v3, s24, v10
	v_dual_cndmask_b32 v5, v5, v7 :: v_dual_cndmask_b32 v4, v6, v4
	s_delay_alu instid0(VALU_DEP_1) | instskip(NEXT) | instid1(VALU_DEP_2)
	v_xor_b32_e32 v5, v5, v3
	v_xor_b32_e32 v4, v4, v3
	s_delay_alu instid0(VALU_DEP_2) | instskip(NEXT) | instid1(VALU_DEP_2)
	v_sub_co_u32 v8, vcc_lo, v5, v3
	v_sub_co_ci_u32_e32 v9, vcc_lo, v4, v3, vcc_lo
.LBB66_5:                               ;   in Loop: Header=BB66_3 Depth=1
	s_and_not1_saveexec_b32 s0, s1
; %bb.6:                                ;   in Loop: Header=BB66_3 Depth=1
	v_mul_hi_u32 v3, v0, v14
	v_mov_b32_e32 v9, v2
	s_delay_alu instid0(VALU_DEP_2) | instskip(NEXT) | instid1(VALU_DEP_1)
	v_mul_lo_u32 v4, v3, s2
	v_sub_nc_u32_e32 v4, v0, v4
	s_delay_alu instid0(VALU_DEP_1) | instskip(SKIP_1) | instid1(VALU_DEP_2)
	v_subrev_nc_u32_e32 v6, s2, v4
	v_cmp_le_u32_e32 vcc_lo, s2, v4
	v_dual_cndmask_b32 v4, v4, v6 :: v_dual_add_nc_u32 v5, 1, v3
	s_delay_alu instid0(VALU_DEP_1) | instskip(NEXT) | instid1(VALU_DEP_2)
	v_cndmask_b32_e32 v3, v3, v5, vcc_lo
	v_cmp_le_u32_e32 vcc_lo, s2, v4
	s_delay_alu instid0(VALU_DEP_2) | instskip(NEXT) | instid1(VALU_DEP_1)
	v_add_nc_u32_e32 v5, 1, v3
	v_cndmask_b32_e32 v8, v3, v5, vcc_lo
; %bb.7:                                ;   in Loop: Header=BB66_3 Depth=1
	s_or_b32 exec_lo, exec_lo, s0
	v_or_b32_e32 v3, s23, v9
                                        ; implicit-def: $vgpr6_vgpr7
	s_mov_b32 s0, exec_lo
	s_delay_alu instid0(VALU_DEP_1)
	v_cmpx_ne_u64_e32 0, v[2:3]
	s_xor_b32 s1, exec_lo, s0
	s_cbranch_execz .LBB66_9
; %bb.8:                                ;   in Loop: Header=BB66_3 Depth=1
	s_add_u32 s28, s22, s26
	s_mov_b32 s27, s26
	s_addc_u32 s29, s23, s26
	s_delay_alu instid0(SALU_CYCLE_1) | instskip(NEXT) | instid1(SALU_CYCLE_1)
	s_xor_b64 s[28:29], s[28:29], s[26:27]
	v_cvt_f32_u32_e32 v3, s28
	v_cvt_f32_u32_e32 v4, s29
	s_sub_u32 s0, 0, s28
	s_subb_u32 s25, 0, s29
	s_delay_alu instid0(VALU_DEP_1) | instskip(NEXT) | instid1(VALU_DEP_1)
	v_fmac_f32_e32 v3, 0x4f800000, v4
	v_rcp_f32_e32 v3, v3
	s_waitcnt_depctr 0xfff
	v_mul_f32_e32 v3, 0x5f7ffffc, v3
	s_delay_alu instid0(VALU_DEP_1) | instskip(NEXT) | instid1(VALU_DEP_1)
	v_mul_f32_e32 v4, 0x2f800000, v3
	v_trunc_f32_e32 v4, v4
	s_delay_alu instid0(VALU_DEP_1) | instskip(SKIP_1) | instid1(VALU_DEP_2)
	v_fmac_f32_e32 v3, 0xcf800000, v4
	v_cvt_u32_f32_e32 v4, v4
	v_cvt_u32_f32_e32 v3, v3
	s_delay_alu instid0(VALU_DEP_2) | instskip(NEXT) | instid1(VALU_DEP_2)
	v_mul_lo_u32 v5, s0, v4
	v_mul_hi_u32 v6, s0, v3
	v_mul_lo_u32 v7, s25, v3
	s_delay_alu instid0(VALU_DEP_2) | instskip(SKIP_1) | instid1(VALU_DEP_2)
	v_add_nc_u32_e32 v5, v6, v5
	v_mul_lo_u32 v6, s0, v3
	v_add_nc_u32_e32 v5, v5, v7
	s_delay_alu instid0(VALU_DEP_2) | instskip(NEXT) | instid1(VALU_DEP_2)
	v_mul_hi_u32 v7, v3, v6
	v_mul_lo_u32 v10, v3, v5
	v_mul_hi_u32 v11, v3, v5
	v_mul_hi_u32 v12, v4, v6
	v_mul_lo_u32 v6, v4, v6
	v_mul_hi_u32 v13, v4, v5
	v_mul_lo_u32 v5, v4, v5
	v_add_co_u32 v7, vcc_lo, v7, v10
	v_add_co_ci_u32_e32 v10, vcc_lo, 0, v11, vcc_lo
	s_delay_alu instid0(VALU_DEP_2) | instskip(NEXT) | instid1(VALU_DEP_2)
	v_add_co_u32 v6, vcc_lo, v7, v6
	v_add_co_ci_u32_e32 v6, vcc_lo, v10, v12, vcc_lo
	v_add_co_ci_u32_e32 v7, vcc_lo, 0, v13, vcc_lo
	v_ashrrev_i32_e32 v12, 31, v9
	s_delay_alu instid0(VALU_DEP_3) | instskip(NEXT) | instid1(VALU_DEP_3)
	v_add_co_u32 v5, vcc_lo, v6, v5
	v_add_co_ci_u32_e32 v6, vcc_lo, 0, v7, vcc_lo
	s_delay_alu instid0(VALU_DEP_2) | instskip(NEXT) | instid1(VALU_DEP_2)
	v_add_co_u32 v3, vcc_lo, v3, v5
	v_add_co_ci_u32_e32 v4, vcc_lo, v4, v6, vcc_lo
	s_delay_alu instid0(VALU_DEP_2) | instskip(SKIP_1) | instid1(VALU_DEP_3)
	v_mul_hi_u32 v5, s0, v3
	v_mul_lo_u32 v7, s25, v3
	v_mul_lo_u32 v6, s0, v4
	s_delay_alu instid0(VALU_DEP_1) | instskip(SKIP_1) | instid1(VALU_DEP_2)
	v_add_nc_u32_e32 v5, v5, v6
	v_mul_lo_u32 v6, s0, v3
	v_add_nc_u32_e32 v5, v5, v7
	s_delay_alu instid0(VALU_DEP_2) | instskip(NEXT) | instid1(VALU_DEP_2)
	v_mul_hi_u32 v7, v3, v6
	v_mul_lo_u32 v10, v3, v5
	v_mul_hi_u32 v11, v3, v5
	v_mul_hi_u32 v13, v4, v6
	v_mul_lo_u32 v6, v4, v6
	v_mul_hi_u32 v15, v4, v5
	v_mul_lo_u32 v5, v4, v5
	v_add_co_u32 v7, vcc_lo, v7, v10
	v_add_co_ci_u32_e32 v10, vcc_lo, 0, v11, vcc_lo
	s_delay_alu instid0(VALU_DEP_2) | instskip(NEXT) | instid1(VALU_DEP_2)
	v_add_co_u32 v6, vcc_lo, v7, v6
	v_add_co_ci_u32_e32 v6, vcc_lo, v10, v13, vcc_lo
	v_add_co_ci_u32_e32 v7, vcc_lo, 0, v15, vcc_lo
	v_add_co_u32 v10, vcc_lo, v8, v12
	v_add_co_ci_u32_e32 v11, vcc_lo, v9, v12, vcc_lo
	s_delay_alu instid0(VALU_DEP_4) | instskip(NEXT) | instid1(VALU_DEP_4)
	v_add_co_u32 v5, vcc_lo, v6, v5
	v_add_co_ci_u32_e32 v6, vcc_lo, 0, v7, vcc_lo
	s_delay_alu instid0(VALU_DEP_4) | instskip(NEXT) | instid1(VALU_DEP_3)
	v_xor_b32_e32 v7, v10, v12
	v_add_co_u32 v10, vcc_lo, v3, v5
	s_delay_alu instid0(VALU_DEP_3) | instskip(SKIP_1) | instid1(VALU_DEP_3)
	v_add_co_ci_u32_e32 v13, vcc_lo, v4, v6, vcc_lo
	v_xor_b32_e32 v15, v11, v12
	v_mul_hi_u32 v16, v7, v10
	s_delay_alu instid0(VALU_DEP_3) | instskip(NEXT) | instid1(VALU_DEP_3)
	v_mad_u64_u32 v[3:4], null, v7, v13, 0
	v_mad_u64_u32 v[5:6], null, v15, v10, 0
	;; [unrolled: 1-line block ×3, first 2 shown]
	s_delay_alu instid0(VALU_DEP_3) | instskip(NEXT) | instid1(VALU_DEP_4)
	v_add_co_u32 v3, vcc_lo, v16, v3
	v_add_co_ci_u32_e32 v4, vcc_lo, 0, v4, vcc_lo
	s_delay_alu instid0(VALU_DEP_2) | instskip(NEXT) | instid1(VALU_DEP_2)
	v_add_co_u32 v3, vcc_lo, v3, v5
	v_add_co_ci_u32_e32 v3, vcc_lo, v4, v6, vcc_lo
	v_add_co_ci_u32_e32 v4, vcc_lo, 0, v11, vcc_lo
	s_delay_alu instid0(VALU_DEP_2) | instskip(NEXT) | instid1(VALU_DEP_2)
	v_add_co_u32 v5, vcc_lo, v3, v10
	v_add_co_ci_u32_e32 v6, vcc_lo, 0, v4, vcc_lo
	s_delay_alu instid0(VALU_DEP_2) | instskip(SKIP_1) | instid1(VALU_DEP_3)
	v_mul_lo_u32 v10, s29, v5
	v_mad_u64_u32 v[3:4], null, s28, v5, 0
	v_mul_lo_u32 v11, s28, v6
	s_delay_alu instid0(VALU_DEP_2) | instskip(NEXT) | instid1(VALU_DEP_2)
	v_sub_co_u32 v3, vcc_lo, v7, v3
	v_add3_u32 v4, v4, v11, v10
	s_delay_alu instid0(VALU_DEP_1) | instskip(NEXT) | instid1(VALU_DEP_1)
	v_sub_nc_u32_e32 v10, v15, v4
	v_subrev_co_ci_u32_e64 v7, s0, s29, v10, vcc_lo
	v_add_co_u32 v10, s0, v5, 2
	s_delay_alu instid0(VALU_DEP_1) | instskip(SKIP_3) | instid1(VALU_DEP_3)
	v_add_co_ci_u32_e64 v11, s0, 0, v6, s0
	v_sub_co_u32 v13, s0, v3, s28
	v_sub_co_ci_u32_e32 v4, vcc_lo, v15, v4, vcc_lo
	v_subrev_co_ci_u32_e64 v7, s0, 0, v7, s0
	v_cmp_le_u32_e32 vcc_lo, s28, v13
	s_delay_alu instid0(VALU_DEP_3) | instskip(SKIP_1) | instid1(VALU_DEP_4)
	v_cmp_eq_u32_e64 s0, s29, v4
	v_cndmask_b32_e64 v13, 0, -1, vcc_lo
	v_cmp_le_u32_e32 vcc_lo, s29, v7
	v_cndmask_b32_e64 v15, 0, -1, vcc_lo
	v_cmp_le_u32_e32 vcc_lo, s28, v3
	;; [unrolled: 2-line block ×3, first 2 shown]
	v_cndmask_b32_e64 v16, 0, -1, vcc_lo
	v_cmp_eq_u32_e32 vcc_lo, s29, v7
	s_delay_alu instid0(VALU_DEP_2) | instskip(SKIP_3) | instid1(VALU_DEP_3)
	v_cndmask_b32_e64 v3, v16, v3, s0
	v_cndmask_b32_e32 v7, v15, v13, vcc_lo
	v_add_co_u32 v13, vcc_lo, v5, 1
	v_add_co_ci_u32_e32 v15, vcc_lo, 0, v6, vcc_lo
	v_cmp_ne_u32_e32 vcc_lo, 0, v7
	s_delay_alu instid0(VALU_DEP_2) | instskip(SKIP_2) | instid1(VALU_DEP_3)
	v_dual_cndmask_b32 v4, v15, v11 :: v_dual_cndmask_b32 v7, v13, v10
	v_cmp_ne_u32_e32 vcc_lo, 0, v3
	v_xor_b32_e32 v3, s26, v12
	v_dual_cndmask_b32 v5, v5, v7 :: v_dual_cndmask_b32 v4, v6, v4
	s_delay_alu instid0(VALU_DEP_1) | instskip(NEXT) | instid1(VALU_DEP_2)
	v_xor_b32_e32 v5, v5, v3
	v_xor_b32_e32 v4, v4, v3
	s_delay_alu instid0(VALU_DEP_2) | instskip(NEXT) | instid1(VALU_DEP_2)
	v_sub_co_u32 v6, vcc_lo, v5, v3
	v_sub_co_ci_u32_e32 v7, vcc_lo, v4, v3, vcc_lo
.LBB66_9:                               ;   in Loop: Header=BB66_3 Depth=1
	s_and_not1_saveexec_b32 s0, s1
	s_cbranch_execz .LBB66_11
; %bb.10:                               ;   in Loop: Header=BB66_3 Depth=1
	v_cvt_f32_u32_e32 v3, s22
	s_sub_i32 s1, 0, s22
	v_mov_b32_e32 v7, v2
	s_delay_alu instid0(VALU_DEP_2) | instskip(SKIP_2) | instid1(VALU_DEP_1)
	v_rcp_iflag_f32_e32 v3, v3
	s_waitcnt_depctr 0xfff
	v_mul_f32_e32 v3, 0x4f7ffffe, v3
	v_cvt_u32_f32_e32 v3, v3
	s_delay_alu instid0(VALU_DEP_1) | instskip(NEXT) | instid1(VALU_DEP_1)
	v_mul_lo_u32 v4, s1, v3
	v_mul_hi_u32 v4, v3, v4
	s_delay_alu instid0(VALU_DEP_1) | instskip(NEXT) | instid1(VALU_DEP_1)
	v_add_nc_u32_e32 v3, v3, v4
	v_mul_hi_u32 v3, v8, v3
	s_delay_alu instid0(VALU_DEP_1) | instskip(SKIP_1) | instid1(VALU_DEP_2)
	v_mul_lo_u32 v4, v3, s22
	v_add_nc_u32_e32 v5, 1, v3
	v_sub_nc_u32_e32 v4, v8, v4
	s_delay_alu instid0(VALU_DEP_1) | instskip(SKIP_1) | instid1(VALU_DEP_2)
	v_subrev_nc_u32_e32 v6, s22, v4
	v_cmp_le_u32_e32 vcc_lo, s22, v4
	v_dual_cndmask_b32 v4, v4, v6 :: v_dual_cndmask_b32 v3, v3, v5
	s_delay_alu instid0(VALU_DEP_1) | instskip(NEXT) | instid1(VALU_DEP_2)
	v_cmp_le_u32_e32 vcc_lo, s22, v4
	v_add_nc_u32_e32 v5, 1, v3
	s_delay_alu instid0(VALU_DEP_1)
	v_cndmask_b32_e32 v6, v3, v5, vcc_lo
.LBB66_11:                              ;   in Loop: Header=BB66_3 Depth=1
	s_or_b32 exec_lo, exec_lo, s0
	v_mul_lo_u32 v5, v9, s2
	v_mul_lo_u32 v12, v8, s3
	v_mad_u64_u32 v[3:4], null, v8, s2, 0
	v_mul_lo_u32 v13, v7, s22
	v_mul_lo_u32 v15, v6, s23
	v_mad_u64_u32 v[10:11], null, v6, s22, 0
	s_mov_b32 s25, exec_lo
	s_delay_alu instid0(VALU_DEP_4) | instskip(SKIP_1) | instid1(VALU_DEP_3)
	v_add3_u32 v5, v4, v12, v5
	v_sub_co_u32 v4, vcc_lo, v0, v3
	v_add3_u32 v11, v11, v15, v13
	s_delay_alu instid0(VALU_DEP_3) | instskip(SKIP_1) | instid1(VALU_DEP_3)
	v_sub_co_ci_u32_e32 v5, vcc_lo, v1, v5, vcc_lo
	v_sub_co_u32 v15, vcc_lo, v8, v10
	v_sub_co_ci_u32_e32 v16, vcc_lo, v9, v11, vcc_lo
	s_delay_alu instid0(VALU_DEP_2) | instskip(NEXT) | instid1(VALU_DEP_2)
	v_sub_co_u32 v8, vcc_lo, v4, v15
	v_sub_co_ci_u32_e32 v9, vcc_lo, v5, v16, vcc_lo
	s_delay_alu instid0(VALU_DEP_1)
	v_cmpx_gt_i64_e64 s[4:5], v[8:9]
	s_cbranch_execz .LBB66_2
; %bb.12:                               ;   in Loop: Header=BB66_3 Depth=1
	s_clause 0x1
	s_load_b64 s[28:29], s[10:11], 0x0
	s_load_b64 s[0:1], s[12:13], 0x0
	s_and_b32 vcc_lo, exec_lo, s44
	s_mov_b64 s[30:31], s[20:21]
	s_mov_b64 s[34:35], s[18:19]
	s_mov_b64 s[36:37], s[16:17]
	s_waitcnt lgkmcnt(0)
	v_mul_lo_u32 v3, s29, v4
	v_mul_lo_u32 v10, s28, v5
	v_mad_u64_u32 v[8:9], null, s28, v4, 0
	s_delay_alu instid0(VALU_DEP_1) | instskip(SKIP_1) | instid1(VALU_DEP_2)
	v_add3_u32 v9, v9, v10, v3
	v_mul_lo_u32 v3, s0, v16
	v_mad_u64_u32 v[12:13], null, s0, v15, v[8:9]
	v_mul_lo_u32 v8, s1, v15
	s_delay_alu instid0(VALU_DEP_1) | instskip(NEXT) | instid1(VALU_DEP_1)
	v_add3_u32 v13, v8, v13, v3
	v_dual_mov_b32 v8, v12 :: v_dual_mov_b32 v9, v13
	s_cbranch_vccnz .LBB66_17
.LBB66_13:                              ;   in Loop: Header=BB66_3 Depth=1
	s_load_b64 s[0:1], s[14:15], 0x0
	s_waitcnt lgkmcnt(0)
	v_cmp_gt_i64_e32 vcc_lo, s[0:1], v[4:5]
	s_and_b32 exec_lo, exec_lo, vcc_lo
	s_cbranch_execz .LBB66_2
; %bb.14:                               ;   in Loop: Header=BB66_3 Depth=1
	v_add_co_u32 v3, vcc_lo, v4, 1
	v_add_co_ci_u32_e32 v4, vcc_lo, 0, v5, vcc_lo
	v_lshlrev_b64 v[7:8], 3, v[12:13]
	s_delay_alu instid0(VALU_DEP_3) | instskip(NEXT) | instid1(VALU_DEP_3)
	v_sub_co_u32 v5, vcc_lo, v3, v15
	v_sub_co_ci_u32_e32 v6, vcc_lo, v4, v16, vcc_lo
	v_cmp_gt_i64_e32 vcc_lo, s[0:1], v[3:4]
	s_delay_alu instid0(VALU_DEP_4) | instskip(NEXT) | instid1(VALU_DEP_3)
	v_add_co_u32 v4, s1, s8, v7
	v_cmp_gt_i64_e64 s0, s[4:5], v[5:6]
	v_add_co_ci_u32_e64 v5, s1, s9, v8, s1
	v_mov_b32_e32 v3, v2
	s_delay_alu instid0(VALU_DEP_3)
	s_and_b32 s0, vcc_lo, s0
	global_store_b64 v[4:5], v[2:3], off
	s_and_b32 exec_lo, exec_lo, s0
	s_cbranch_execz .LBB66_2
; %bb.15:                               ;   in Loop: Header=BB66_3 Depth=1
	s_lshl_b64 s[0:1], s[28:29], 3
	s_delay_alu instid0(SALU_CYCLE_1)
	v_add_co_u32 v4, vcc_lo, v4, s0
	v_add_co_ci_u32_e32 v5, vcc_lo, s1, v5, vcc_lo
	global_store_b64 v[4:5], v[2:3], off
	s_branch .LBB66_2
.LBB66_16:                              ;   in Loop: Header=BB66_17 Depth=2
	s_or_b32 exec_lo, exec_lo, s0
	s_load_b64 s[0:1], s[36:37], 0x0
	s_delay_alu instid0(VALU_DEP_1)
	v_mul_lo_u32 v3, v11, s38
	v_mul_lo_u32 v17, v10, s39
	v_mad_u64_u32 v[12:13], null, v10, s38, 0
	s_add_u32 s36, s36, -8
	s_addc_u32 s37, s37, -1
	s_add_u32 s34, s34, -8
	s_addc_u32 s35, s35, -1
	;; [unrolled: 2-line block ×3, first 2 shown]
	s_delay_alu instid0(VALU_DEP_1) | instskip(SKIP_1) | instid1(VALU_DEP_2)
	v_add3_u32 v3, v13, v17, v3
	v_sub_co_u32 v6, vcc_lo, v6, v12
	v_sub_co_ci_u32_e32 v3, vcc_lo, v7, v3, vcc_lo
	s_waitcnt lgkmcnt(0)
	s_delay_alu instid0(VALU_DEP_2) | instskip(NEXT) | instid1(VALU_DEP_2)
	v_mul_lo_u32 v7, s1, v6
	v_mul_lo_u32 v3, s0, v3
	v_mad_u64_u32 v[12:13], null, s0, v6, v[8:9]
	v_cmp_lt_i64_e64 s0, s[30:31], 1
	s_delay_alu instid0(VALU_DEP_1) | instskip(NEXT) | instid1(VALU_DEP_2)
	s_and_b32 vcc_lo, exec_lo, s0
	v_add3_u32 v13, v7, v13, v3
	s_delay_alu instid0(VALU_DEP_3) | instskip(SKIP_1) | instid1(VALU_DEP_3)
	v_mov_b32_e32 v8, v12
	v_dual_mov_b32 v6, v10 :: v_dual_mov_b32 v7, v11
	v_mov_b32_e32 v9, v13
	s_cbranch_vccnz .LBB66_13
.LBB66_17:                              ;   Parent Loop BB66_3 Depth=1
                                        ; =>  This Inner Loop Header: Depth=2
	s_load_b64 s[38:39], s[34:35], 0x0
                                        ; implicit-def: $vgpr10_vgpr11
	s_mov_b32 s0, exec_lo
	s_waitcnt lgkmcnt(0)
	v_or_b32_e32 v3, s39, v7
	s_delay_alu instid0(VALU_DEP_1)
	v_cmpx_ne_u64_e32 0, v[2:3]
	s_xor_b32 s1, exec_lo, s0
	s_cbranch_execz .LBB66_19
; %bb.18:                               ;   in Loop: Header=BB66_17 Depth=2
	s_ashr_i32 s40, s39, 31
	s_delay_alu instid0(SALU_CYCLE_1) | instskip(SKIP_2) | instid1(SALU_CYCLE_1)
	s_add_u32 s42, s38, s40
	s_mov_b32 s41, s40
	s_addc_u32 s43, s39, s40
	s_xor_b64 s[42:43], s[42:43], s[40:41]
	s_delay_alu instid0(SALU_CYCLE_1) | instskip(SKIP_3) | instid1(VALU_DEP_1)
	v_cvt_f32_u32_e32 v3, s42
	v_cvt_f32_u32_e32 v10, s43
	s_sub_u32 s0, 0, s42
	s_subb_u32 s27, 0, s43
	v_fmac_f32_e32 v3, 0x4f800000, v10
	s_delay_alu instid0(VALU_DEP_1) | instskip(SKIP_2) | instid1(VALU_DEP_1)
	v_rcp_f32_e32 v3, v3
	s_waitcnt_depctr 0xfff
	v_mul_f32_e32 v3, 0x5f7ffffc, v3
	v_mul_f32_e32 v10, 0x2f800000, v3
	s_delay_alu instid0(VALU_DEP_1) | instskip(NEXT) | instid1(VALU_DEP_1)
	v_trunc_f32_e32 v10, v10
	v_fmac_f32_e32 v3, 0xcf800000, v10
	v_cvt_u32_f32_e32 v10, v10
	s_delay_alu instid0(VALU_DEP_2) | instskip(NEXT) | instid1(VALU_DEP_2)
	v_cvt_u32_f32_e32 v3, v3
	v_mul_lo_u32 v11, s0, v10
	s_delay_alu instid0(VALU_DEP_2) | instskip(SKIP_1) | instid1(VALU_DEP_2)
	v_mul_hi_u32 v12, s0, v3
	v_mul_lo_u32 v13, s27, v3
	v_add_nc_u32_e32 v11, v12, v11
	v_mul_lo_u32 v12, s0, v3
	s_delay_alu instid0(VALU_DEP_2) | instskip(NEXT) | instid1(VALU_DEP_2)
	v_add_nc_u32_e32 v11, v11, v13
	v_mul_hi_u32 v13, v3, v12
	s_delay_alu instid0(VALU_DEP_2)
	v_mul_lo_u32 v17, v3, v11
	v_mul_hi_u32 v18, v3, v11
	v_mul_hi_u32 v19, v10, v12
	v_mul_lo_u32 v12, v10, v12
	v_mul_hi_u32 v20, v10, v11
	v_mul_lo_u32 v11, v10, v11
	v_add_co_u32 v13, vcc_lo, v13, v17
	v_add_co_ci_u32_e32 v17, vcc_lo, 0, v18, vcc_lo
	s_delay_alu instid0(VALU_DEP_2) | instskip(NEXT) | instid1(VALU_DEP_2)
	v_add_co_u32 v12, vcc_lo, v13, v12
	v_add_co_ci_u32_e32 v12, vcc_lo, v17, v19, vcc_lo
	v_add_co_ci_u32_e32 v13, vcc_lo, 0, v20, vcc_lo
	v_ashrrev_i32_e32 v19, 31, v7
	s_delay_alu instid0(VALU_DEP_3) | instskip(NEXT) | instid1(VALU_DEP_3)
	v_add_co_u32 v11, vcc_lo, v12, v11
	v_add_co_ci_u32_e32 v12, vcc_lo, 0, v13, vcc_lo
	s_delay_alu instid0(VALU_DEP_2) | instskip(NEXT) | instid1(VALU_DEP_2)
	v_add_co_u32 v3, vcc_lo, v3, v11
	v_add_co_ci_u32_e32 v10, vcc_lo, v10, v12, vcc_lo
	s_delay_alu instid0(VALU_DEP_2) | instskip(SKIP_1) | instid1(VALU_DEP_3)
	v_mul_hi_u32 v11, s0, v3
	v_mul_lo_u32 v13, s27, v3
	v_mul_lo_u32 v12, s0, v10
	s_delay_alu instid0(VALU_DEP_1) | instskip(SKIP_1) | instid1(VALU_DEP_2)
	v_add_nc_u32_e32 v11, v11, v12
	v_mul_lo_u32 v12, s0, v3
	v_add_nc_u32_e32 v11, v11, v13
	s_delay_alu instid0(VALU_DEP_2) | instskip(NEXT) | instid1(VALU_DEP_2)
	v_mul_hi_u32 v13, v3, v12
	v_mul_lo_u32 v17, v3, v11
	v_mul_hi_u32 v18, v3, v11
	v_mul_hi_u32 v20, v10, v12
	v_mul_lo_u32 v12, v10, v12
	v_mul_hi_u32 v21, v10, v11
	v_mul_lo_u32 v11, v10, v11
	v_add_co_u32 v13, vcc_lo, v13, v17
	v_add_co_ci_u32_e32 v17, vcc_lo, 0, v18, vcc_lo
	s_delay_alu instid0(VALU_DEP_2) | instskip(NEXT) | instid1(VALU_DEP_2)
	v_add_co_u32 v12, vcc_lo, v13, v12
	v_add_co_ci_u32_e32 v12, vcc_lo, v17, v20, vcc_lo
	v_add_co_ci_u32_e32 v13, vcc_lo, 0, v21, vcc_lo
	v_add_co_u32 v17, vcc_lo, v6, v19
	v_add_co_ci_u32_e32 v18, vcc_lo, v7, v19, vcc_lo
	s_delay_alu instid0(VALU_DEP_4) | instskip(NEXT) | instid1(VALU_DEP_4)
	v_add_co_u32 v11, vcc_lo, v12, v11
	v_add_co_ci_u32_e32 v12, vcc_lo, 0, v13, vcc_lo
	s_delay_alu instid0(VALU_DEP_4) | instskip(NEXT) | instid1(VALU_DEP_3)
	v_xor_b32_e32 v20, v17, v19
	v_add_co_u32 v3, vcc_lo, v3, v11
	s_delay_alu instid0(VALU_DEP_3) | instskip(SKIP_1) | instid1(VALU_DEP_3)
	v_add_co_ci_u32_e32 v21, vcc_lo, v10, v12, vcc_lo
	v_xor_b32_e32 v22, v18, v19
	v_mul_hi_u32 v23, v20, v3
	s_delay_alu instid0(VALU_DEP_3) | instskip(NEXT) | instid1(VALU_DEP_3)
	v_mad_u64_u32 v[10:11], null, v20, v21, 0
	v_mad_u64_u32 v[12:13], null, v22, v3, 0
	;; [unrolled: 1-line block ×3, first 2 shown]
	s_delay_alu instid0(VALU_DEP_3) | instskip(NEXT) | instid1(VALU_DEP_4)
	v_add_co_u32 v3, vcc_lo, v23, v10
	v_add_co_ci_u32_e32 v10, vcc_lo, 0, v11, vcc_lo
	s_delay_alu instid0(VALU_DEP_2) | instskip(NEXT) | instid1(VALU_DEP_2)
	v_add_co_u32 v3, vcc_lo, v3, v12
	v_add_co_ci_u32_e32 v3, vcc_lo, v10, v13, vcc_lo
	v_add_co_ci_u32_e32 v10, vcc_lo, 0, v18, vcc_lo
	s_delay_alu instid0(VALU_DEP_2) | instskip(NEXT) | instid1(VALU_DEP_2)
	v_add_co_u32 v3, vcc_lo, v3, v17
	v_add_co_ci_u32_e32 v12, vcc_lo, 0, v10, vcc_lo
	s_delay_alu instid0(VALU_DEP_2) | instskip(SKIP_1) | instid1(VALU_DEP_3)
	v_mul_lo_u32 v13, s43, v3
	v_mad_u64_u32 v[10:11], null, s42, v3, 0
	v_mul_lo_u32 v17, s42, v12
	s_delay_alu instid0(VALU_DEP_2) | instskip(NEXT) | instid1(VALU_DEP_2)
	v_sub_co_u32 v10, vcc_lo, v20, v10
	v_add3_u32 v11, v11, v17, v13
	s_delay_alu instid0(VALU_DEP_1) | instskip(NEXT) | instid1(VALU_DEP_1)
	v_sub_nc_u32_e32 v13, v22, v11
	v_subrev_co_ci_u32_e64 v13, s0, s43, v13, vcc_lo
	v_add_co_u32 v17, s0, v3, 2
	s_delay_alu instid0(VALU_DEP_1) | instskip(SKIP_3) | instid1(VALU_DEP_3)
	v_add_co_ci_u32_e64 v18, s0, 0, v12, s0
	v_sub_co_u32 v20, s0, v10, s42
	v_sub_co_ci_u32_e32 v11, vcc_lo, v22, v11, vcc_lo
	v_subrev_co_ci_u32_e64 v13, s0, 0, v13, s0
	v_cmp_le_u32_e32 vcc_lo, s42, v20
	s_delay_alu instid0(VALU_DEP_3) | instskip(SKIP_1) | instid1(VALU_DEP_4)
	v_cmp_eq_u32_e64 s0, s43, v11
	v_cndmask_b32_e64 v20, 0, -1, vcc_lo
	v_cmp_le_u32_e32 vcc_lo, s43, v13
	v_cndmask_b32_e64 v21, 0, -1, vcc_lo
	v_cmp_le_u32_e32 vcc_lo, s42, v10
	;; [unrolled: 2-line block ×3, first 2 shown]
	v_cndmask_b32_e64 v22, 0, -1, vcc_lo
	v_cmp_eq_u32_e32 vcc_lo, s43, v13
	s_delay_alu instid0(VALU_DEP_2) | instskip(SKIP_3) | instid1(VALU_DEP_3)
	v_cndmask_b32_e64 v10, v22, v10, s0
	v_cndmask_b32_e32 v13, v21, v20, vcc_lo
	v_add_co_u32 v20, vcc_lo, v3, 1
	v_add_co_ci_u32_e32 v21, vcc_lo, 0, v12, vcc_lo
	v_cmp_ne_u32_e32 vcc_lo, 0, v13
	s_delay_alu instid0(VALU_DEP_2) | instskip(NEXT) | instid1(VALU_DEP_4)
	v_cndmask_b32_e32 v11, v21, v18, vcc_lo
	v_cndmask_b32_e32 v13, v20, v17, vcc_lo
	v_cmp_ne_u32_e32 vcc_lo, 0, v10
	v_xor_b32_e32 v17, s40, v19
	s_delay_alu instid0(VALU_DEP_3) | instskip(NEXT) | instid1(VALU_DEP_1)
	v_dual_cndmask_b32 v3, v3, v13 :: v_dual_cndmask_b32 v10, v12, v11
	v_xor_b32_e32 v3, v3, v17
	s_delay_alu instid0(VALU_DEP_2) | instskip(NEXT) | instid1(VALU_DEP_2)
	v_xor_b32_e32 v11, v10, v17
	v_sub_co_u32 v10, vcc_lo, v3, v17
	s_delay_alu instid0(VALU_DEP_2)
	v_sub_co_ci_u32_e32 v11, vcc_lo, v11, v17, vcc_lo
.LBB66_19:                              ;   in Loop: Header=BB66_17 Depth=2
	s_and_not1_saveexec_b32 s0, s1
	s_cbranch_execz .LBB66_16
; %bb.20:                               ;   in Loop: Header=BB66_17 Depth=2
	v_cvt_f32_u32_e32 v3, s38
	s_sub_i32 s1, 0, s38
	s_delay_alu instid0(VALU_DEP_1) | instskip(SKIP_2) | instid1(VALU_DEP_1)
	v_rcp_iflag_f32_e32 v3, v3
	s_waitcnt_depctr 0xfff
	v_mul_f32_e32 v3, 0x4f7ffffe, v3
	v_cvt_u32_f32_e32 v3, v3
	s_delay_alu instid0(VALU_DEP_1) | instskip(NEXT) | instid1(VALU_DEP_1)
	v_mul_lo_u32 v10, s1, v3
	v_mul_hi_u32 v10, v3, v10
	s_delay_alu instid0(VALU_DEP_1) | instskip(NEXT) | instid1(VALU_DEP_1)
	v_add_nc_u32_e32 v3, v3, v10
	v_mul_hi_u32 v3, v6, v3
	s_delay_alu instid0(VALU_DEP_1) | instskip(SKIP_1) | instid1(VALU_DEP_2)
	v_mul_lo_u32 v10, v3, s38
	v_add_nc_u32_e32 v11, 1, v3
	v_sub_nc_u32_e32 v10, v6, v10
	s_delay_alu instid0(VALU_DEP_1) | instskip(SKIP_1) | instid1(VALU_DEP_2)
	v_subrev_nc_u32_e32 v12, s38, v10
	v_cmp_le_u32_e32 vcc_lo, s38, v10
	v_dual_cndmask_b32 v10, v10, v12 :: v_dual_cndmask_b32 v3, v3, v11
	s_delay_alu instid0(VALU_DEP_1) | instskip(NEXT) | instid1(VALU_DEP_2)
	v_cmp_le_u32_e32 vcc_lo, s38, v10
	v_add_nc_u32_e32 v11, 1, v3
	s_delay_alu instid0(VALU_DEP_1)
	v_dual_cndmask_b32 v10, v3, v11 :: v_dual_mov_b32 v11, v2
	s_branch .LBB66_16
.LBB66_21:
	s_nop 0
	s_sendmsg sendmsg(MSG_DEALLOC_VGPRS)
	s_endpgm
	.section	.rodata,"a",@progbits
	.p2align	6, 0x0
	.amdhsa_kernel _ZN2at6native16triu_tril_kernelIllLb1ELi2ELb1EEEvNS_4cuda6detail10TensorInfoIT_T0_EENS4_IKS5_S6_EEllS6_
		.amdhsa_group_segment_fixed_size 0
		.amdhsa_private_segment_fixed_size 0
		.amdhsa_kernarg_size 1112
		.amdhsa_user_sgpr_count 15
		.amdhsa_user_sgpr_dispatch_ptr 0
		.amdhsa_user_sgpr_queue_ptr 0
		.amdhsa_user_sgpr_kernarg_segment_ptr 1
		.amdhsa_user_sgpr_dispatch_id 0
		.amdhsa_user_sgpr_private_segment_size 0
		.amdhsa_wavefront_size32 1
		.amdhsa_uses_dynamic_stack 0
		.amdhsa_enable_private_segment 0
		.amdhsa_system_sgpr_workgroup_id_x 1
		.amdhsa_system_sgpr_workgroup_id_y 0
		.amdhsa_system_sgpr_workgroup_id_z 0
		.amdhsa_system_sgpr_workgroup_info 0
		.amdhsa_system_vgpr_workitem_id 0
		.amdhsa_next_free_vgpr 24
		.amdhsa_next_free_sgpr 46
		.amdhsa_reserve_vcc 1
		.amdhsa_float_round_mode_32 0
		.amdhsa_float_round_mode_16_64 0
		.amdhsa_float_denorm_mode_32 3
		.amdhsa_float_denorm_mode_16_64 3
		.amdhsa_dx10_clamp 1
		.amdhsa_ieee_mode 1
		.amdhsa_fp16_overflow 0
		.amdhsa_workgroup_processor_mode 1
		.amdhsa_memory_ordered 1
		.amdhsa_forward_progress 0
		.amdhsa_shared_vgpr_count 0
		.amdhsa_exception_fp_ieee_invalid_op 0
		.amdhsa_exception_fp_denorm_src 0
		.amdhsa_exception_fp_ieee_div_zero 0
		.amdhsa_exception_fp_ieee_overflow 0
		.amdhsa_exception_fp_ieee_underflow 0
		.amdhsa_exception_fp_ieee_inexact 0
		.amdhsa_exception_int_div_zero 0
	.end_amdhsa_kernel
	.section	.text._ZN2at6native16triu_tril_kernelIllLb1ELi2ELb1EEEvNS_4cuda6detail10TensorInfoIT_T0_EENS4_IKS5_S6_EEllS6_,"axG",@progbits,_ZN2at6native16triu_tril_kernelIllLb1ELi2ELb1EEEvNS_4cuda6detail10TensorInfoIT_T0_EENS4_IKS5_S6_EEllS6_,comdat
.Lfunc_end66:
	.size	_ZN2at6native16triu_tril_kernelIllLb1ELi2ELb1EEEvNS_4cuda6detail10TensorInfoIT_T0_EENS4_IKS5_S6_EEllS6_, .Lfunc_end66-_ZN2at6native16triu_tril_kernelIllLb1ELi2ELb1EEEvNS_4cuda6detail10TensorInfoIT_T0_EENS4_IKS5_S6_EEllS6_
                                        ; -- End function
	.section	.AMDGPU.csdata,"",@progbits
; Kernel info:
; codeLenInByte = 3880
; NumSgprs: 48
; NumVgprs: 24
; ScratchSize: 0
; MemoryBound: 0
; FloatMode: 240
; IeeeMode: 1
; LDSByteSize: 0 bytes/workgroup (compile time only)
; SGPRBlocks: 5
; VGPRBlocks: 2
; NumSGPRsForWavesPerEU: 48
; NumVGPRsForWavesPerEU: 24
; Occupancy: 16
; WaveLimiterHint : 0
; COMPUTE_PGM_RSRC2:SCRATCH_EN: 0
; COMPUTE_PGM_RSRC2:USER_SGPR: 15
; COMPUTE_PGM_RSRC2:TRAP_HANDLER: 0
; COMPUTE_PGM_RSRC2:TGID_X_EN: 1
; COMPUTE_PGM_RSRC2:TGID_Y_EN: 0
; COMPUTE_PGM_RSRC2:TGID_Z_EN: 0
; COMPUTE_PGM_RSRC2:TIDIG_COMP_CNT: 0
	.section	.text._ZN2at6native16triu_tril_kernelIllLb1ELi2ELb0EEEvNS_4cuda6detail10TensorInfoIT_T0_EENS4_IKS5_S6_EEllS6_,"axG",@progbits,_ZN2at6native16triu_tril_kernelIllLb1ELi2ELb0EEEvNS_4cuda6detail10TensorInfoIT_T0_EENS4_IKS5_S6_EEllS6_,comdat
	.protected	_ZN2at6native16triu_tril_kernelIllLb1ELi2ELb0EEEvNS_4cuda6detail10TensorInfoIT_T0_EENS4_IKS5_S6_EEllS6_ ; -- Begin function _ZN2at6native16triu_tril_kernelIllLb1ELi2ELb0EEEvNS_4cuda6detail10TensorInfoIT_T0_EENS4_IKS5_S6_EEllS6_
	.globl	_ZN2at6native16triu_tril_kernelIllLb1ELi2ELb0EEEvNS_4cuda6detail10TensorInfoIT_T0_EENS4_IKS5_S6_EEllS6_
	.p2align	8
	.type	_ZN2at6native16triu_tril_kernelIllLb1ELi2ELb0EEEvNS_4cuda6detail10TensorInfoIT_T0_EENS4_IKS5_S6_EEllS6_,@function
_ZN2at6native16triu_tril_kernelIllLb1ELi2ELb0EEEvNS_4cuda6detail10TensorInfoIT_T0_EENS4_IKS5_S6_EEllS6_: ; @_ZN2at6native16triu_tril_kernelIllLb1ELi2ELb0EEEvNS_4cuda6detail10TensorInfoIT_T0_EENS4_IKS5_S6_EEllS6_
; %bb.0:
	s_clause 0x1
	s_load_b32 s2, s[0:1], 0x364
	s_load_b128 s[4:7], s[0:1], 0x340
	v_mov_b32_e32 v2, 0
	s_add_u32 s8, s0, 0x358
	s_addc_u32 s9, s1, 0
	s_delay_alu instid0(VALU_DEP_1) | instskip(SKIP_3) | instid1(VALU_DEP_1)
	v_mov_b32_e32 v1, v2
	s_waitcnt lgkmcnt(0)
	s_and_b32 s24, s2, 0xffff
	s_mov_b32 s2, exec_lo
	v_mad_u64_u32 v[3:4], null, s24, s15, v[0:1]
	s_delay_alu instid0(VALU_DEP_1) | instskip(NEXT) | instid1(VALU_DEP_1)
	v_lshlrev_b64 v[0:1], 1, v[3:4]
	v_cmpx_gt_i64_e64 s[6:7], v[0:1]
	s_cbranch_execz .LBB67_26
; %bb.1:
	s_clause 0x1
	s_load_b32 s26, s[0:1], 0x338
	s_load_b64 s[2:3], s[0:1], 0x350
	s_add_u32 s10, s0, 0x1a0
	s_addc_u32 s11, s1, 0
	s_load_b32 s25, s[8:9], 0x0
	s_clause 0x1
	s_load_b64 s[20:21], s[0:1], 0x1a0
	s_load_b64 s[22:23], s[0:1], 0x0
	s_mov_b32 s46, 0
	s_waitcnt lgkmcnt(0)
	s_ashr_i32 s27, s26, 31
	s_add_u32 s30, s0, 0x1a8
	s_addc_u32 s31, s1, 0
	s_lshl_b64 s[8:9], s[26:27], 3
	v_cvt_f32_u32_e32 v3, s2
	s_add_u32 s14, s8, -16
	s_addc_u32 s15, s9, -1
	s_add_u32 s8, s30, s14
	s_addc_u32 s9, s31, s15
	s_add_u32 s12, s10, s14
	s_addc_u32 s13, s11, s15
	;; [unrolled: 2-line block ×4, first 2 shown]
	s_clause 0x2
	s_load_b128 s[8:11], s[8:9], 0x0
	s_load_b128 s[12:15], s[12:13], 0xd0
	;; [unrolled: 1-line block ×3, first 2 shown]
	v_rcp_iflag_f32_e32 v3, v3
	s_add_i32 s28, s26, -3
	s_mul_i32 s25, s25, s24
	s_ashr_i32 s29, s28, 31
	v_cmp_gt_i64_e64 s1, s[26:27], 2
	s_lshl_b64 s[26:27], s[28:29], 3
	s_lshl_b32 s33, s25, 1
	s_add_u32 s24, s34, s26
	s_addc_u32 s25, s35, s27
	s_add_u32 s26, s30, s26
	s_waitcnt_depctr 0xfff
	v_mul_f32_e32 v3, 0x4f7ffffe, v3
	s_addc_u32 s27, s31, s27
	s_add_u32 s28, s28, 1
	s_addc_u32 s29, s29, 0
	s_ashr_i32 s30, s3, 31
	v_cvt_u32_f32_e32 v18, v3
	s_branch .LBB67_3
.LBB67_2:                               ;   in Loop: Header=BB67_3 Depth=1
	s_or_b32 exec_lo, exec_lo, s0
	v_add_co_u32 v0, vcc_lo, v0, s33
	v_add_co_ci_u32_e32 v1, vcc_lo, 0, v1, vcc_lo
	s_delay_alu instid0(VALU_DEP_1) | instskip(SKIP_1) | instid1(SALU_CYCLE_1)
	v_cmp_le_i64_e32 vcc_lo, s[6:7], v[0:1]
	s_or_b32 s46, vcc_lo, s46
	s_and_not1_b32 exec_lo, exec_lo, s46
	s_cbranch_execz .LBB67_26
.LBB67_3:                               ; =>This Loop Header: Depth=1
                                        ;     Child Loop BB67_22 Depth 2
	v_or_b32_e32 v3, s3, v1
                                        ; implicit-def: $vgpr8_vgpr9
	s_mov_b32 s0, exec_lo
	s_delay_alu instid0(VALU_DEP_1)
	v_cmpx_ne_u64_e32 0, v[2:3]
	s_xor_b32 s36, exec_lo, s0
	s_cbranch_execz .LBB67_5
; %bb.4:                                ;   in Loop: Header=BB67_3 Depth=1
	s_add_u32 s34, s2, s30
	s_mov_b32 s31, s30
	s_addc_u32 s35, s3, s30
	s_delay_alu instid0(SALU_CYCLE_1) | instskip(NEXT) | instid1(SALU_CYCLE_1)
	s_xor_b64 s[34:35], s[34:35], s[30:31]
	v_cvt_f32_u32_e32 v3, s34
	v_cvt_f32_u32_e32 v4, s35
	s_sub_u32 s0, 0, s34
	s_subb_u32 s31, 0, s35
	s_delay_alu instid0(VALU_DEP_1) | instskip(NEXT) | instid1(VALU_DEP_1)
	v_fmac_f32_e32 v3, 0x4f800000, v4
	v_rcp_f32_e32 v3, v3
	s_waitcnt_depctr 0xfff
	v_mul_f32_e32 v3, 0x5f7ffffc, v3
	s_delay_alu instid0(VALU_DEP_1) | instskip(NEXT) | instid1(VALU_DEP_1)
	v_mul_f32_e32 v4, 0x2f800000, v3
	v_trunc_f32_e32 v4, v4
	s_delay_alu instid0(VALU_DEP_1) | instskip(SKIP_1) | instid1(VALU_DEP_2)
	v_fmac_f32_e32 v3, 0xcf800000, v4
	v_cvt_u32_f32_e32 v4, v4
	v_cvt_u32_f32_e32 v3, v3
	s_delay_alu instid0(VALU_DEP_2) | instskip(NEXT) | instid1(VALU_DEP_2)
	v_mul_lo_u32 v5, s0, v4
	v_mul_hi_u32 v6, s0, v3
	v_mul_lo_u32 v7, s31, v3
	s_delay_alu instid0(VALU_DEP_2) | instskip(SKIP_1) | instid1(VALU_DEP_2)
	v_add_nc_u32_e32 v5, v6, v5
	v_mul_lo_u32 v6, s0, v3
	v_add_nc_u32_e32 v5, v5, v7
	s_delay_alu instid0(VALU_DEP_2) | instskip(NEXT) | instid1(VALU_DEP_2)
	v_mul_hi_u32 v7, v3, v6
	v_mul_lo_u32 v8, v3, v5
	v_mul_hi_u32 v9, v3, v5
	v_mul_hi_u32 v10, v4, v6
	v_mul_lo_u32 v6, v4, v6
	v_mul_hi_u32 v11, v4, v5
	v_mul_lo_u32 v5, v4, v5
	v_add_co_u32 v7, vcc_lo, v7, v8
	v_add_co_ci_u32_e32 v8, vcc_lo, 0, v9, vcc_lo
	s_delay_alu instid0(VALU_DEP_2) | instskip(NEXT) | instid1(VALU_DEP_2)
	v_add_co_u32 v6, vcc_lo, v7, v6
	v_add_co_ci_u32_e32 v6, vcc_lo, v8, v10, vcc_lo
	v_add_co_ci_u32_e32 v7, vcc_lo, 0, v11, vcc_lo
	v_ashrrev_i32_e32 v10, 31, v1
	s_delay_alu instid0(VALU_DEP_3) | instskip(NEXT) | instid1(VALU_DEP_3)
	v_add_co_u32 v5, vcc_lo, v6, v5
	v_add_co_ci_u32_e32 v6, vcc_lo, 0, v7, vcc_lo
	s_delay_alu instid0(VALU_DEP_2) | instskip(NEXT) | instid1(VALU_DEP_2)
	v_add_co_u32 v3, vcc_lo, v3, v5
	v_add_co_ci_u32_e32 v4, vcc_lo, v4, v6, vcc_lo
	s_delay_alu instid0(VALU_DEP_2) | instskip(SKIP_1) | instid1(VALU_DEP_3)
	v_mul_hi_u32 v5, s0, v3
	v_mul_lo_u32 v7, s31, v3
	v_mul_lo_u32 v6, s0, v4
	s_delay_alu instid0(VALU_DEP_1) | instskip(SKIP_1) | instid1(VALU_DEP_2)
	v_add_nc_u32_e32 v5, v5, v6
	v_mul_lo_u32 v6, s0, v3
	v_add_nc_u32_e32 v5, v5, v7
	s_delay_alu instid0(VALU_DEP_2) | instskip(NEXT) | instid1(VALU_DEP_2)
	v_mul_hi_u32 v7, v3, v6
	v_mul_lo_u32 v8, v3, v5
	v_mul_hi_u32 v9, v3, v5
	v_mul_hi_u32 v11, v4, v6
	v_mul_lo_u32 v6, v4, v6
	v_mul_hi_u32 v12, v4, v5
	v_mul_lo_u32 v5, v4, v5
	v_add_co_u32 v7, vcc_lo, v7, v8
	v_add_co_ci_u32_e32 v8, vcc_lo, 0, v9, vcc_lo
	s_delay_alu instid0(VALU_DEP_2) | instskip(NEXT) | instid1(VALU_DEP_2)
	v_add_co_u32 v6, vcc_lo, v7, v6
	v_add_co_ci_u32_e32 v6, vcc_lo, v8, v11, vcc_lo
	v_add_co_ci_u32_e32 v7, vcc_lo, 0, v12, vcc_lo
	v_add_co_u32 v8, vcc_lo, v0, v10
	v_add_co_ci_u32_e32 v9, vcc_lo, v1, v10, vcc_lo
	s_delay_alu instid0(VALU_DEP_4) | instskip(NEXT) | instid1(VALU_DEP_4)
	v_add_co_u32 v5, vcc_lo, v6, v5
	v_add_co_ci_u32_e32 v6, vcc_lo, 0, v7, vcc_lo
	s_delay_alu instid0(VALU_DEP_4) | instskip(NEXT) | instid1(VALU_DEP_3)
	v_xor_b32_e32 v11, v8, v10
	v_add_co_u32 v7, vcc_lo, v3, v5
	s_delay_alu instid0(VALU_DEP_3) | instskip(SKIP_1) | instid1(VALU_DEP_3)
	v_add_co_ci_u32_e32 v12, vcc_lo, v4, v6, vcc_lo
	v_xor_b32_e32 v9, v9, v10
	v_mul_hi_u32 v13, v11, v7
	s_delay_alu instid0(VALU_DEP_3) | instskip(NEXT) | instid1(VALU_DEP_3)
	v_mad_u64_u32 v[3:4], null, v11, v12, 0
	v_mad_u64_u32 v[5:6], null, v9, v7, 0
	;; [unrolled: 1-line block ×3, first 2 shown]
	s_delay_alu instid0(VALU_DEP_3) | instskip(NEXT) | instid1(VALU_DEP_4)
	v_add_co_u32 v3, vcc_lo, v13, v3
	v_add_co_ci_u32_e32 v4, vcc_lo, 0, v4, vcc_lo
	s_delay_alu instid0(VALU_DEP_2) | instskip(NEXT) | instid1(VALU_DEP_2)
	v_add_co_u32 v3, vcc_lo, v3, v5
	v_add_co_ci_u32_e32 v3, vcc_lo, v4, v6, vcc_lo
	v_add_co_ci_u32_e32 v4, vcc_lo, 0, v8, vcc_lo
	s_delay_alu instid0(VALU_DEP_2) | instskip(NEXT) | instid1(VALU_DEP_2)
	v_add_co_u32 v5, vcc_lo, v3, v7
	v_add_co_ci_u32_e32 v6, vcc_lo, 0, v4, vcc_lo
	s_delay_alu instid0(VALU_DEP_2) | instskip(SKIP_1) | instid1(VALU_DEP_3)
	v_mul_lo_u32 v7, s35, v5
	v_mad_u64_u32 v[3:4], null, s34, v5, 0
	v_mul_lo_u32 v8, s34, v6
	s_delay_alu instid0(VALU_DEP_2) | instskip(NEXT) | instid1(VALU_DEP_2)
	v_sub_co_u32 v3, vcc_lo, v11, v3
	v_add3_u32 v4, v4, v8, v7
	s_delay_alu instid0(VALU_DEP_1) | instskip(NEXT) | instid1(VALU_DEP_1)
	v_sub_nc_u32_e32 v7, v9, v4
	v_subrev_co_ci_u32_e64 v7, s0, s35, v7, vcc_lo
	v_add_co_u32 v8, s0, v5, 2
	s_delay_alu instid0(VALU_DEP_1) | instskip(SKIP_3) | instid1(VALU_DEP_3)
	v_add_co_ci_u32_e64 v11, s0, 0, v6, s0
	v_sub_co_u32 v12, s0, v3, s34
	v_sub_co_ci_u32_e32 v4, vcc_lo, v9, v4, vcc_lo
	v_subrev_co_ci_u32_e64 v7, s0, 0, v7, s0
	v_cmp_le_u32_e32 vcc_lo, s34, v12
	s_delay_alu instid0(VALU_DEP_3) | instskip(SKIP_1) | instid1(VALU_DEP_4)
	v_cmp_eq_u32_e64 s0, s35, v4
	v_cndmask_b32_e64 v9, 0, -1, vcc_lo
	v_cmp_le_u32_e32 vcc_lo, s35, v7
	v_cndmask_b32_e64 v12, 0, -1, vcc_lo
	v_cmp_le_u32_e32 vcc_lo, s34, v3
	;; [unrolled: 2-line block ×3, first 2 shown]
	v_cndmask_b32_e64 v13, 0, -1, vcc_lo
	v_cmp_eq_u32_e32 vcc_lo, s35, v7
	s_delay_alu instid0(VALU_DEP_2) | instskip(SKIP_3) | instid1(VALU_DEP_3)
	v_cndmask_b32_e64 v3, v13, v3, s0
	v_cndmask_b32_e32 v7, v12, v9, vcc_lo
	v_add_co_u32 v9, vcc_lo, v5, 1
	v_add_co_ci_u32_e32 v12, vcc_lo, 0, v6, vcc_lo
	v_cmp_ne_u32_e32 vcc_lo, 0, v7
	s_delay_alu instid0(VALU_DEP_2) | instskip(SKIP_2) | instid1(VALU_DEP_3)
	v_dual_cndmask_b32 v4, v12, v11 :: v_dual_cndmask_b32 v7, v9, v8
	v_cmp_ne_u32_e32 vcc_lo, 0, v3
	v_xor_b32_e32 v3, s30, v10
	v_dual_cndmask_b32 v5, v5, v7 :: v_dual_cndmask_b32 v4, v6, v4
	s_delay_alu instid0(VALU_DEP_1) | instskip(NEXT) | instid1(VALU_DEP_2)
	v_xor_b32_e32 v5, v5, v3
	v_xor_b32_e32 v4, v4, v3
	s_delay_alu instid0(VALU_DEP_2) | instskip(NEXT) | instid1(VALU_DEP_2)
	v_sub_co_u32 v8, vcc_lo, v5, v3
	v_sub_co_ci_u32_e32 v9, vcc_lo, v4, v3, vcc_lo
.LBB67_5:                               ;   in Loop: Header=BB67_3 Depth=1
	s_and_not1_saveexec_b32 s0, s36
	s_cbranch_execz .LBB67_7
; %bb.6:                                ;   in Loop: Header=BB67_3 Depth=1
	s_sub_i32 s31, 0, s2
	v_mov_b32_e32 v9, v2
	v_mul_lo_u32 v3, s31, v18
	s_delay_alu instid0(VALU_DEP_1) | instskip(NEXT) | instid1(VALU_DEP_1)
	v_mul_hi_u32 v3, v18, v3
	v_add_nc_u32_e32 v3, v18, v3
	s_delay_alu instid0(VALU_DEP_1) | instskip(NEXT) | instid1(VALU_DEP_1)
	v_mul_hi_u32 v3, v0, v3
	v_mul_lo_u32 v4, v3, s2
	v_add_nc_u32_e32 v5, 1, v3
	s_delay_alu instid0(VALU_DEP_2) | instskip(NEXT) | instid1(VALU_DEP_1)
	v_sub_nc_u32_e32 v4, v0, v4
	v_subrev_nc_u32_e32 v6, s2, v4
	v_cmp_le_u32_e32 vcc_lo, s2, v4
	s_delay_alu instid0(VALU_DEP_2) | instskip(NEXT) | instid1(VALU_DEP_1)
	v_dual_cndmask_b32 v4, v4, v6 :: v_dual_cndmask_b32 v3, v3, v5
	v_cmp_le_u32_e32 vcc_lo, s2, v4
	s_delay_alu instid0(VALU_DEP_2) | instskip(NEXT) | instid1(VALU_DEP_1)
	v_add_nc_u32_e32 v5, 1, v3
	v_cndmask_b32_e32 v8, v3, v5, vcc_lo
.LBB67_7:                               ;   in Loop: Header=BB67_3 Depth=1
	s_or_b32 exec_lo, exec_lo, s0
	s_waitcnt lgkmcnt(0)
	v_or_b32_e32 v3, s9, v9
                                        ; implicit-def: $vgpr6_vgpr7
	s_mov_b32 s0, exec_lo
	s_delay_alu instid0(VALU_DEP_1)
	v_cmpx_ne_u64_e32 0, v[2:3]
	s_xor_b32 s31, exec_lo, s0
	s_cbranch_execz .LBB67_9
; %bb.8:                                ;   in Loop: Header=BB67_3 Depth=1
	s_ashr_i32 s34, s9, 31
	s_delay_alu instid0(SALU_CYCLE_1) | instskip(SKIP_2) | instid1(SALU_CYCLE_1)
	s_add_u32 s36, s8, s34
	s_mov_b32 s35, s34
	s_addc_u32 s37, s9, s34
	s_xor_b64 s[36:37], s[36:37], s[34:35]
	s_delay_alu instid0(SALU_CYCLE_1) | instskip(SKIP_3) | instid1(VALU_DEP_1)
	v_cvt_f32_u32_e32 v3, s36
	v_cvt_f32_u32_e32 v4, s37
	s_sub_u32 s0, 0, s36
	s_subb_u32 s35, 0, s37
	v_fmac_f32_e32 v3, 0x4f800000, v4
	s_delay_alu instid0(VALU_DEP_1) | instskip(SKIP_2) | instid1(VALU_DEP_1)
	v_rcp_f32_e32 v3, v3
	s_waitcnt_depctr 0xfff
	v_mul_f32_e32 v3, 0x5f7ffffc, v3
	v_mul_f32_e32 v4, 0x2f800000, v3
	s_delay_alu instid0(VALU_DEP_1) | instskip(NEXT) | instid1(VALU_DEP_1)
	v_trunc_f32_e32 v4, v4
	v_fmac_f32_e32 v3, 0xcf800000, v4
	v_cvt_u32_f32_e32 v4, v4
	s_delay_alu instid0(VALU_DEP_2) | instskip(NEXT) | instid1(VALU_DEP_2)
	v_cvt_u32_f32_e32 v3, v3
	v_mul_lo_u32 v5, s0, v4
	s_delay_alu instid0(VALU_DEP_2) | instskip(SKIP_1) | instid1(VALU_DEP_2)
	v_mul_hi_u32 v6, s0, v3
	v_mul_lo_u32 v7, s35, v3
	v_add_nc_u32_e32 v5, v6, v5
	v_mul_lo_u32 v6, s0, v3
	s_delay_alu instid0(VALU_DEP_2) | instskip(NEXT) | instid1(VALU_DEP_2)
	v_add_nc_u32_e32 v5, v5, v7
	v_mul_hi_u32 v7, v3, v6
	s_delay_alu instid0(VALU_DEP_2)
	v_mul_lo_u32 v10, v3, v5
	v_mul_hi_u32 v11, v3, v5
	v_mul_hi_u32 v12, v4, v6
	v_mul_lo_u32 v6, v4, v6
	v_mul_hi_u32 v13, v4, v5
	v_mul_lo_u32 v5, v4, v5
	v_add_co_u32 v7, vcc_lo, v7, v10
	v_add_co_ci_u32_e32 v10, vcc_lo, 0, v11, vcc_lo
	s_delay_alu instid0(VALU_DEP_2) | instskip(NEXT) | instid1(VALU_DEP_2)
	v_add_co_u32 v6, vcc_lo, v7, v6
	v_add_co_ci_u32_e32 v6, vcc_lo, v10, v12, vcc_lo
	v_add_co_ci_u32_e32 v7, vcc_lo, 0, v13, vcc_lo
	v_ashrrev_i32_e32 v12, 31, v9
	s_delay_alu instid0(VALU_DEP_3) | instskip(NEXT) | instid1(VALU_DEP_3)
	v_add_co_u32 v5, vcc_lo, v6, v5
	v_add_co_ci_u32_e32 v6, vcc_lo, 0, v7, vcc_lo
	s_delay_alu instid0(VALU_DEP_2) | instskip(NEXT) | instid1(VALU_DEP_2)
	v_add_co_u32 v3, vcc_lo, v3, v5
	v_add_co_ci_u32_e32 v4, vcc_lo, v4, v6, vcc_lo
	s_delay_alu instid0(VALU_DEP_2) | instskip(SKIP_1) | instid1(VALU_DEP_3)
	v_mul_hi_u32 v5, s0, v3
	v_mul_lo_u32 v7, s35, v3
	v_mul_lo_u32 v6, s0, v4
	s_delay_alu instid0(VALU_DEP_1) | instskip(SKIP_1) | instid1(VALU_DEP_2)
	v_add_nc_u32_e32 v5, v5, v6
	v_mul_lo_u32 v6, s0, v3
	v_add_nc_u32_e32 v5, v5, v7
	s_delay_alu instid0(VALU_DEP_2) | instskip(NEXT) | instid1(VALU_DEP_2)
	v_mul_hi_u32 v7, v3, v6
	v_mul_lo_u32 v10, v3, v5
	v_mul_hi_u32 v11, v3, v5
	v_mul_hi_u32 v13, v4, v6
	v_mul_lo_u32 v6, v4, v6
	v_mul_hi_u32 v14, v4, v5
	v_mul_lo_u32 v5, v4, v5
	v_add_co_u32 v7, vcc_lo, v7, v10
	v_add_co_ci_u32_e32 v10, vcc_lo, 0, v11, vcc_lo
	s_delay_alu instid0(VALU_DEP_2) | instskip(NEXT) | instid1(VALU_DEP_2)
	v_add_co_u32 v6, vcc_lo, v7, v6
	v_add_co_ci_u32_e32 v6, vcc_lo, v10, v13, vcc_lo
	v_add_co_ci_u32_e32 v7, vcc_lo, 0, v14, vcc_lo
	v_add_co_u32 v10, vcc_lo, v8, v12
	v_add_co_ci_u32_e32 v11, vcc_lo, v9, v12, vcc_lo
	s_delay_alu instid0(VALU_DEP_4) | instskip(NEXT) | instid1(VALU_DEP_4)
	v_add_co_u32 v5, vcc_lo, v6, v5
	v_add_co_ci_u32_e32 v6, vcc_lo, 0, v7, vcc_lo
	s_delay_alu instid0(VALU_DEP_4) | instskip(NEXT) | instid1(VALU_DEP_3)
	v_xor_b32_e32 v7, v10, v12
	v_add_co_u32 v10, vcc_lo, v3, v5
	s_delay_alu instid0(VALU_DEP_3) | instskip(SKIP_1) | instid1(VALU_DEP_3)
	v_add_co_ci_u32_e32 v13, vcc_lo, v4, v6, vcc_lo
	v_xor_b32_e32 v14, v11, v12
	v_mul_hi_u32 v15, v7, v10
	s_delay_alu instid0(VALU_DEP_3) | instskip(NEXT) | instid1(VALU_DEP_3)
	v_mad_u64_u32 v[3:4], null, v7, v13, 0
	v_mad_u64_u32 v[5:6], null, v14, v10, 0
	;; [unrolled: 1-line block ×3, first 2 shown]
	s_delay_alu instid0(VALU_DEP_3) | instskip(NEXT) | instid1(VALU_DEP_4)
	v_add_co_u32 v3, vcc_lo, v15, v3
	v_add_co_ci_u32_e32 v4, vcc_lo, 0, v4, vcc_lo
	s_delay_alu instid0(VALU_DEP_2) | instskip(NEXT) | instid1(VALU_DEP_2)
	v_add_co_u32 v3, vcc_lo, v3, v5
	v_add_co_ci_u32_e32 v3, vcc_lo, v4, v6, vcc_lo
	v_add_co_ci_u32_e32 v4, vcc_lo, 0, v11, vcc_lo
	s_delay_alu instid0(VALU_DEP_2) | instskip(NEXT) | instid1(VALU_DEP_2)
	v_add_co_u32 v5, vcc_lo, v3, v10
	v_add_co_ci_u32_e32 v6, vcc_lo, 0, v4, vcc_lo
	s_delay_alu instid0(VALU_DEP_2) | instskip(SKIP_1) | instid1(VALU_DEP_3)
	v_mul_lo_u32 v10, s37, v5
	v_mad_u64_u32 v[3:4], null, s36, v5, 0
	v_mul_lo_u32 v11, s36, v6
	s_delay_alu instid0(VALU_DEP_2) | instskip(NEXT) | instid1(VALU_DEP_2)
	v_sub_co_u32 v3, vcc_lo, v7, v3
	v_add3_u32 v4, v4, v11, v10
	s_delay_alu instid0(VALU_DEP_1) | instskip(NEXT) | instid1(VALU_DEP_1)
	v_sub_nc_u32_e32 v10, v14, v4
	v_subrev_co_ci_u32_e64 v7, s0, s37, v10, vcc_lo
	v_add_co_u32 v10, s0, v5, 2
	s_delay_alu instid0(VALU_DEP_1) | instskip(SKIP_3) | instid1(VALU_DEP_3)
	v_add_co_ci_u32_e64 v11, s0, 0, v6, s0
	v_sub_co_u32 v13, s0, v3, s36
	v_sub_co_ci_u32_e32 v4, vcc_lo, v14, v4, vcc_lo
	v_subrev_co_ci_u32_e64 v7, s0, 0, v7, s0
	v_cmp_le_u32_e32 vcc_lo, s36, v13
	s_delay_alu instid0(VALU_DEP_3) | instskip(SKIP_1) | instid1(VALU_DEP_4)
	v_cmp_eq_u32_e64 s0, s37, v4
	v_cndmask_b32_e64 v13, 0, -1, vcc_lo
	v_cmp_le_u32_e32 vcc_lo, s37, v7
	v_cndmask_b32_e64 v14, 0, -1, vcc_lo
	v_cmp_le_u32_e32 vcc_lo, s36, v3
	;; [unrolled: 2-line block ×3, first 2 shown]
	v_cndmask_b32_e64 v15, 0, -1, vcc_lo
	v_cmp_eq_u32_e32 vcc_lo, s37, v7
	s_delay_alu instid0(VALU_DEP_2) | instskip(SKIP_3) | instid1(VALU_DEP_3)
	v_cndmask_b32_e64 v3, v15, v3, s0
	v_cndmask_b32_e32 v7, v14, v13, vcc_lo
	v_add_co_u32 v13, vcc_lo, v5, 1
	v_add_co_ci_u32_e32 v14, vcc_lo, 0, v6, vcc_lo
	v_cmp_ne_u32_e32 vcc_lo, 0, v7
	s_delay_alu instid0(VALU_DEP_2) | instskip(SKIP_2) | instid1(VALU_DEP_3)
	v_dual_cndmask_b32 v4, v14, v11 :: v_dual_cndmask_b32 v7, v13, v10
	v_cmp_ne_u32_e32 vcc_lo, 0, v3
	v_xor_b32_e32 v3, s34, v12
	v_dual_cndmask_b32 v5, v5, v7 :: v_dual_cndmask_b32 v4, v6, v4
	s_delay_alu instid0(VALU_DEP_1) | instskip(NEXT) | instid1(VALU_DEP_2)
	v_xor_b32_e32 v5, v5, v3
	v_xor_b32_e32 v4, v4, v3
	s_delay_alu instid0(VALU_DEP_2) | instskip(NEXT) | instid1(VALU_DEP_2)
	v_sub_co_u32 v6, vcc_lo, v5, v3
	v_sub_co_ci_u32_e32 v7, vcc_lo, v4, v3, vcc_lo
.LBB67_9:                               ;   in Loop: Header=BB67_3 Depth=1
	s_and_not1_saveexec_b32 s0, s31
	s_cbranch_execz .LBB67_11
; %bb.10:                               ;   in Loop: Header=BB67_3 Depth=1
	v_cvt_f32_u32_e32 v3, s8
	s_sub_i32 s31, 0, s8
	v_mov_b32_e32 v7, v2
	s_delay_alu instid0(VALU_DEP_2) | instskip(SKIP_2) | instid1(VALU_DEP_1)
	v_rcp_iflag_f32_e32 v3, v3
	s_waitcnt_depctr 0xfff
	v_mul_f32_e32 v3, 0x4f7ffffe, v3
	v_cvt_u32_f32_e32 v3, v3
	s_delay_alu instid0(VALU_DEP_1) | instskip(NEXT) | instid1(VALU_DEP_1)
	v_mul_lo_u32 v4, s31, v3
	v_mul_hi_u32 v4, v3, v4
	s_delay_alu instid0(VALU_DEP_1) | instskip(NEXT) | instid1(VALU_DEP_1)
	v_add_nc_u32_e32 v3, v3, v4
	v_mul_hi_u32 v3, v8, v3
	s_delay_alu instid0(VALU_DEP_1) | instskip(SKIP_1) | instid1(VALU_DEP_2)
	v_mul_lo_u32 v4, v3, s8
	v_add_nc_u32_e32 v5, 1, v3
	v_sub_nc_u32_e32 v4, v8, v4
	s_delay_alu instid0(VALU_DEP_1) | instskip(SKIP_1) | instid1(VALU_DEP_2)
	v_subrev_nc_u32_e32 v6, s8, v4
	v_cmp_le_u32_e32 vcc_lo, s8, v4
	v_dual_cndmask_b32 v4, v4, v6 :: v_dual_cndmask_b32 v3, v3, v5
	s_delay_alu instid0(VALU_DEP_1) | instskip(NEXT) | instid1(VALU_DEP_2)
	v_cmp_le_u32_e32 vcc_lo, s8, v4
	v_add_nc_u32_e32 v5, 1, v3
	s_delay_alu instid0(VALU_DEP_1)
	v_cndmask_b32_e32 v6, v3, v5, vcc_lo
.LBB67_11:                              ;   in Loop: Header=BB67_3 Depth=1
	s_or_b32 exec_lo, exec_lo, s0
	v_mul_lo_u32 v5, v9, s2
	v_mul_lo_u32 v12, v8, s3
	v_mad_u64_u32 v[3:4], null, v8, s2, 0
	v_mul_lo_u32 v13, v7, s8
	v_mul_lo_u32 v14, v6, s9
	v_mad_u64_u32 v[10:11], null, v6, s8, 0
	s_mov_b64 s[34:35], s[28:29]
	s_mov_b64 s[36:37], s[26:27]
	s_delay_alu instid0(VALU_DEP_4) | instskip(SKIP_2) | instid1(VALU_DEP_3)
	v_add3_u32 v5, v4, v12, v5
	v_sub_co_u32 v4, vcc_lo, v0, v3
	s_mov_b64 s[38:39], s[24:25]
	v_add3_u32 v3, v11, v14, v13
	s_delay_alu instid0(VALU_DEP_3) | instskip(NEXT) | instid1(VALU_DEP_3)
	v_sub_co_ci_u32_e32 v5, vcc_lo, v1, v5, vcc_lo
	v_mul_lo_u32 v11, s15, v4
	v_mul_lo_u32 v12, s19, v4
	v_mad_u64_u32 v[14:15], null, s18, v4, 0
	s_delay_alu instid0(VALU_DEP_4)
	v_mul_lo_u32 v13, s14, v5
	v_mul_lo_u32 v16, s18, v5
	v_mad_u64_u32 v[21:22], null, s14, v4, 0
	v_sub_co_u32 v19, vcc_lo, v8, v10
	v_sub_co_ci_u32_e32 v20, vcc_lo, v9, v3, vcc_lo
	s_and_b32 vcc_lo, exec_lo, s1
	s_delay_alu instid0(VALU_DEP_4) | instskip(NEXT) | instid1(VALU_DEP_4)
	v_add3_u32 v15, v15, v16, v12
	v_add3_u32 v22, v22, v13, v11
	v_mul_lo_u32 v3, s13, v19
	v_mul_lo_u32 v8, s12, v20
	;; [unrolled: 1-line block ×3, first 2 shown]
	v_mad_u64_u32 v[12:13], null, s16, v19, v[14:15]
	v_mul_lo_u32 v10, s17, v19
	v_mad_u64_u32 v[16:17], null, s12, v19, v[21:22]
	s_delay_alu instid0(VALU_DEP_2) | instskip(NEXT) | instid1(VALU_DEP_2)
	v_add3_u32 v13, v10, v13, v9
	v_add3_u32 v17, v3, v17, v8
	v_mov_b32_e32 v8, v12
	s_delay_alu instid0(VALU_DEP_3) | instskip(NEXT) | instid1(VALU_DEP_3)
	v_dual_mov_b32 v10, v16 :: v_dual_mov_b32 v9, v13
	v_mov_b32_e32 v11, v17
	s_cbranch_vccnz .LBB67_22
.LBB67_12:                              ;   in Loop: Header=BB67_3 Depth=1
	v_sub_co_u32 v6, vcc_lo, v4, v19
	v_mov_b32_e32 v8, 0
	v_sub_co_ci_u32_e32 v7, vcc_lo, v5, v20, vcc_lo
	v_mov_b32_e32 v9, 0
	s_delay_alu instid0(VALU_DEP_4) | instskip(NEXT) | instid1(VALU_DEP_3)
	v_add_co_u32 v10, vcc_lo, v6, 2
	v_add_co_ci_u32_e32 v11, vcc_lo, 0, v7, vcc_lo
	s_delay_alu instid0(VALU_DEP_3) | instskip(SKIP_1) | instid1(VALU_DEP_2)
	v_dual_mov_b32 v15, v9 :: v_dual_mov_b32 v14, v8
	s_mov_b32 s31, exec_lo
	v_cmpx_le_i64_e64 s[4:5], v[10:11]
	s_cbranch_execz .LBB67_18
; %bb.13:                               ;   in Loop: Header=BB67_3 Depth=1
	v_mov_b32_e32 v8, 0
	v_mov_b32_e32 v9, 0
	s_mov_b32 s0, exec_lo
	s_delay_alu instid0(VALU_DEP_1)
	v_dual_mov_b32 v11, v9 :: v_dual_mov_b32 v10, v8
	v_cmpx_gt_i64_e64 s[10:11], v[4:5]
	s_cbranch_execz .LBB67_17
; %bb.14:                               ;   in Loop: Header=BB67_3 Depth=1
	v_lshlrev_b64 v[8:9], 3, v[16:17]
	s_delay_alu instid0(VALU_DEP_1) | instskip(NEXT) | instid1(VALU_DEP_2)
	v_add_co_u32 v14, vcc_lo, s20, v8
	v_add_co_ci_u32_e32 v15, vcc_lo, s21, v9, vcc_lo
	v_add_co_u32 v10, vcc_lo, v4, 1
	v_add_co_ci_u32_e32 v11, vcc_lo, 0, v5, vcc_lo
	global_load_b64 v[8:9], v[14:15], off
	v_cmp_gt_i64_e32 vcc_lo, s[10:11], v[10:11]
	v_mov_b32_e32 v10, 0
	v_mov_b32_e32 v11, 0
	s_and_saveexec_b32 s34, vcc_lo
	s_delay_alu instid0(SALU_CYCLE_1)
	s_xor_b32 s34, exec_lo, s34
	s_cbranch_execz .LBB67_16
; %bb.15:                               ;   in Loop: Header=BB67_3 Depth=1
	s_lshl_b64 s[36:37], s[14:15], 3
	s_delay_alu instid0(SALU_CYCLE_1)
	v_add_co_u32 v10, vcc_lo, v14, s36
	v_add_co_ci_u32_e32 v11, vcc_lo, s37, v15, vcc_lo
	global_load_b64 v[10:11], v[10:11], off
.LBB67_16:                              ;   in Loop: Header=BB67_3 Depth=1
	s_or_b32 exec_lo, exec_lo, s34
.LBB67_17:                              ;   in Loop: Header=BB67_3 Depth=1
	s_delay_alu instid0(SALU_CYCLE_1) | instskip(SKIP_3) | instid1(VALU_DEP_2)
	s_or_b32 exec_lo, exec_lo, s0
	v_add_co_u32 v14, vcc_lo, v6, 1
	v_add_co_ci_u32_e32 v15, vcc_lo, 0, v7, vcc_lo
	v_cmp_le_i64_e32 vcc_lo, s[4:5], v[6:7]
	v_cmp_le_i64_e64 s0, s[4:5], v[14:15]
	s_waitcnt vmcnt(0)
	v_dual_cndmask_b32 v15, 0, v9 :: v_dual_cndmask_b32 v14, 0, v8
	s_delay_alu instid0(VALU_DEP_2)
	v_cndmask_b32_e64 v9, 0, v11, s0
	v_cndmask_b32_e64 v8, 0, v10, s0
.LBB67_18:                              ;   in Loop: Header=BB67_3 Depth=1
	s_or_b32 exec_lo, exec_lo, s31
	s_delay_alu instid0(SALU_CYCLE_1)
	s_mov_b32 s0, exec_lo
	v_cmpx_gt_i64_e64 s[10:11], v[4:5]
	s_cbranch_execz .LBB67_2
; %bb.19:                               ;   in Loop: Header=BB67_3 Depth=1
	v_lshlrev_b64 v[6:7], 3, v[12:13]
	v_add_co_u32 v10, vcc_lo, v4, 1
	v_add_co_ci_u32_e32 v11, vcc_lo, 0, v5, vcc_lo
	s_mov_b32 s31, exec_lo
	s_delay_alu instid0(VALU_DEP_3) | instskip(NEXT) | instid1(VALU_DEP_4)
	v_add_co_u32 v3, vcc_lo, s22, v6
	v_add_co_ci_u32_e32 v4, vcc_lo, s23, v7, vcc_lo
	global_store_b64 v[3:4], v[14:15], off
	v_cmpx_gt_i64_e64 s[10:11], v[10:11]
	s_xor_b32 s31, exec_lo, s31
	s_cbranch_execz .LBB67_2
; %bb.20:                               ;   in Loop: Header=BB67_3 Depth=1
	s_lshl_b64 s[34:35], s[18:19], 3
	s_delay_alu instid0(SALU_CYCLE_1)
	v_add_co_u32 v3, vcc_lo, v3, s34
	v_add_co_ci_u32_e32 v4, vcc_lo, s35, v4, vcc_lo
	global_store_b64 v[3:4], v[8:9], off
	s_branch .LBB67_2
.LBB67_21:                              ;   in Loop: Header=BB67_22 Depth=2
	s_or_b32 exec_lo, exec_lo, s0
	s_delay_alu instid0(VALU_DEP_1) | instskip(NEXT) | instid1(VALU_DEP_2)
	v_mul_lo_u32 v3, v15, s40
	v_mul_lo_u32 v16, v14, s41
	s_load_b64 s[42:43], s[36:37], 0xc8
	v_mad_u64_u32 v[12:13], null, v14, s40, 0
	s_load_b64 s[40:41], s[38:39], 0x0
	s_add_u32 s38, s38, -8
	s_addc_u32 s39, s39, -1
	s_add_u32 s36, s36, -8
	s_addc_u32 s37, s37, -1
	s_add_u32 s34, s34, -1
	s_delay_alu instid0(VALU_DEP_1) | instskip(SKIP_2) | instid1(VALU_DEP_2)
	v_add3_u32 v3, v13, v16, v3
	v_sub_co_u32 v6, vcc_lo, v6, v12
	s_addc_u32 s35, s35, -1
	v_sub_co_ci_u32_e32 v3, vcc_lo, v7, v3, vcc_lo
	v_cmp_lt_i64_e64 s0, s[34:35], 1
	s_waitcnt lgkmcnt(0)
	s_delay_alu instid0(VALU_DEP_2)
	v_mul_lo_u32 v7, s42, v3
	v_mul_lo_u32 v21, s43, v6
	v_mad_u64_u32 v[16:17], null, s42, v6, v[10:11]
	v_mul_lo_u32 v3, s40, v3
	v_mul_lo_u32 v10, s41, v6
	v_mad_u64_u32 v[12:13], null, s40, v6, v[8:9]
	s_and_b32 vcc_lo, exec_lo, s0
	s_delay_alu instid0(VALU_DEP_4) | instskip(SKIP_1) | instid1(VALU_DEP_3)
	v_add3_u32 v17, v21, v17, v7
	v_dual_mov_b32 v6, v14 :: v_dual_mov_b32 v7, v15
	v_add3_u32 v13, v10, v13, v3
	s_delay_alu instid0(VALU_DEP_4) | instskip(NEXT) | instid1(VALU_DEP_4)
	v_mov_b32_e32 v8, v12
	v_dual_mov_b32 v10, v16 :: v_dual_mov_b32 v11, v17
	s_delay_alu instid0(VALU_DEP_3)
	v_mov_b32_e32 v9, v13
	s_cbranch_vccnz .LBB67_12
.LBB67_22:                              ;   Parent Loop BB67_3 Depth=1
                                        ; =>  This Inner Loop Header: Depth=2
	s_load_b64 s[40:41], s[36:37], 0x0
                                        ; implicit-def: $vgpr14_vgpr15
	s_mov_b32 s0, exec_lo
	s_waitcnt lgkmcnt(0)
	v_or_b32_e32 v3, s41, v7
	s_delay_alu instid0(VALU_DEP_1)
	v_cmpx_ne_u64_e32 0, v[2:3]
	s_xor_b32 s31, exec_lo, s0
	s_cbranch_execz .LBB67_24
; %bb.23:                               ;   in Loop: Header=BB67_22 Depth=2
	s_ashr_i32 s42, s41, 31
	s_delay_alu instid0(SALU_CYCLE_1) | instskip(SKIP_2) | instid1(SALU_CYCLE_1)
	s_add_u32 s44, s40, s42
	s_mov_b32 s43, s42
	s_addc_u32 s45, s41, s42
	s_xor_b64 s[44:45], s[44:45], s[42:43]
	s_delay_alu instid0(SALU_CYCLE_1) | instskip(SKIP_3) | instid1(VALU_DEP_1)
	v_cvt_f32_u32_e32 v3, s44
	v_cvt_f32_u32_e32 v12, s45
	s_sub_u32 s0, 0, s44
	s_subb_u32 s43, 0, s45
	v_fmac_f32_e32 v3, 0x4f800000, v12
	s_delay_alu instid0(VALU_DEP_1) | instskip(SKIP_2) | instid1(VALU_DEP_1)
	v_rcp_f32_e32 v3, v3
	s_waitcnt_depctr 0xfff
	v_mul_f32_e32 v3, 0x5f7ffffc, v3
	v_mul_f32_e32 v12, 0x2f800000, v3
	s_delay_alu instid0(VALU_DEP_1) | instskip(NEXT) | instid1(VALU_DEP_1)
	v_trunc_f32_e32 v12, v12
	v_fmac_f32_e32 v3, 0xcf800000, v12
	v_cvt_u32_f32_e32 v12, v12
	s_delay_alu instid0(VALU_DEP_2) | instskip(NEXT) | instid1(VALU_DEP_2)
	v_cvt_u32_f32_e32 v3, v3
	v_mul_lo_u32 v13, s0, v12
	s_delay_alu instid0(VALU_DEP_2) | instskip(SKIP_1) | instid1(VALU_DEP_2)
	v_mul_hi_u32 v14, s0, v3
	v_mul_lo_u32 v15, s43, v3
	v_add_nc_u32_e32 v13, v14, v13
	v_mul_lo_u32 v14, s0, v3
	s_delay_alu instid0(VALU_DEP_2) | instskip(NEXT) | instid1(VALU_DEP_2)
	v_add_nc_u32_e32 v13, v13, v15
	v_mul_hi_u32 v15, v3, v14
	s_delay_alu instid0(VALU_DEP_2)
	v_mul_lo_u32 v16, v3, v13
	v_mul_hi_u32 v17, v3, v13
	v_mul_hi_u32 v21, v12, v14
	v_mul_lo_u32 v14, v12, v14
	v_mul_hi_u32 v22, v12, v13
	v_mul_lo_u32 v13, v12, v13
	v_add_co_u32 v15, vcc_lo, v15, v16
	v_add_co_ci_u32_e32 v16, vcc_lo, 0, v17, vcc_lo
	s_delay_alu instid0(VALU_DEP_2) | instskip(NEXT) | instid1(VALU_DEP_2)
	v_add_co_u32 v14, vcc_lo, v15, v14
	v_add_co_ci_u32_e32 v14, vcc_lo, v16, v21, vcc_lo
	v_add_co_ci_u32_e32 v15, vcc_lo, 0, v22, vcc_lo
	v_ashrrev_i32_e32 v21, 31, v7
	s_delay_alu instid0(VALU_DEP_3) | instskip(NEXT) | instid1(VALU_DEP_3)
	v_add_co_u32 v13, vcc_lo, v14, v13
	v_add_co_ci_u32_e32 v14, vcc_lo, 0, v15, vcc_lo
	s_delay_alu instid0(VALU_DEP_2) | instskip(NEXT) | instid1(VALU_DEP_2)
	v_add_co_u32 v3, vcc_lo, v3, v13
	v_add_co_ci_u32_e32 v12, vcc_lo, v12, v14, vcc_lo
	s_delay_alu instid0(VALU_DEP_2) | instskip(SKIP_1) | instid1(VALU_DEP_3)
	v_mul_hi_u32 v13, s0, v3
	v_mul_lo_u32 v15, s43, v3
	v_mul_lo_u32 v14, s0, v12
	s_delay_alu instid0(VALU_DEP_1) | instskip(SKIP_1) | instid1(VALU_DEP_2)
	v_add_nc_u32_e32 v13, v13, v14
	v_mul_lo_u32 v14, s0, v3
	v_add_nc_u32_e32 v13, v13, v15
	s_delay_alu instid0(VALU_DEP_2) | instskip(NEXT) | instid1(VALU_DEP_2)
	v_mul_hi_u32 v15, v3, v14
	v_mul_lo_u32 v16, v3, v13
	v_mul_hi_u32 v17, v3, v13
	v_mul_hi_u32 v22, v12, v14
	v_mul_lo_u32 v14, v12, v14
	v_mul_hi_u32 v23, v12, v13
	v_mul_lo_u32 v13, v12, v13
	v_add_co_u32 v15, vcc_lo, v15, v16
	v_add_co_ci_u32_e32 v16, vcc_lo, 0, v17, vcc_lo
	s_delay_alu instid0(VALU_DEP_2) | instskip(NEXT) | instid1(VALU_DEP_2)
	v_add_co_u32 v14, vcc_lo, v15, v14
	v_add_co_ci_u32_e32 v14, vcc_lo, v16, v22, vcc_lo
	v_add_co_ci_u32_e32 v15, vcc_lo, 0, v23, vcc_lo
	v_add_co_u32 v16, vcc_lo, v6, v21
	v_add_co_ci_u32_e32 v17, vcc_lo, v7, v21, vcc_lo
	s_delay_alu instid0(VALU_DEP_4) | instskip(NEXT) | instid1(VALU_DEP_4)
	v_add_co_u32 v13, vcc_lo, v14, v13
	v_add_co_ci_u32_e32 v14, vcc_lo, 0, v15, vcc_lo
	s_delay_alu instid0(VALU_DEP_4) | instskip(NEXT) | instid1(VALU_DEP_3)
	v_xor_b32_e32 v22, v16, v21
	v_add_co_u32 v3, vcc_lo, v3, v13
	s_delay_alu instid0(VALU_DEP_3) | instskip(SKIP_1) | instid1(VALU_DEP_3)
	v_add_co_ci_u32_e32 v23, vcc_lo, v12, v14, vcc_lo
	v_xor_b32_e32 v24, v17, v21
	v_mul_hi_u32 v25, v22, v3
	s_delay_alu instid0(VALU_DEP_3) | instskip(NEXT) | instid1(VALU_DEP_3)
	v_mad_u64_u32 v[12:13], null, v22, v23, 0
	v_mad_u64_u32 v[14:15], null, v24, v3, 0
	;; [unrolled: 1-line block ×3, first 2 shown]
	s_delay_alu instid0(VALU_DEP_3) | instskip(NEXT) | instid1(VALU_DEP_4)
	v_add_co_u32 v3, vcc_lo, v25, v12
	v_add_co_ci_u32_e32 v12, vcc_lo, 0, v13, vcc_lo
	s_delay_alu instid0(VALU_DEP_2) | instskip(NEXT) | instid1(VALU_DEP_2)
	v_add_co_u32 v3, vcc_lo, v3, v14
	v_add_co_ci_u32_e32 v3, vcc_lo, v12, v15, vcc_lo
	v_add_co_ci_u32_e32 v12, vcc_lo, 0, v17, vcc_lo
	s_delay_alu instid0(VALU_DEP_2) | instskip(NEXT) | instid1(VALU_DEP_2)
	v_add_co_u32 v3, vcc_lo, v3, v16
	v_add_co_ci_u32_e32 v14, vcc_lo, 0, v12, vcc_lo
	s_delay_alu instid0(VALU_DEP_2) | instskip(SKIP_1) | instid1(VALU_DEP_3)
	v_mul_lo_u32 v15, s45, v3
	v_mad_u64_u32 v[12:13], null, s44, v3, 0
	v_mul_lo_u32 v16, s44, v14
	s_delay_alu instid0(VALU_DEP_2) | instskip(NEXT) | instid1(VALU_DEP_2)
	v_sub_co_u32 v12, vcc_lo, v22, v12
	v_add3_u32 v13, v13, v16, v15
	s_delay_alu instid0(VALU_DEP_1) | instskip(NEXT) | instid1(VALU_DEP_1)
	v_sub_nc_u32_e32 v15, v24, v13
	v_subrev_co_ci_u32_e64 v15, s0, s45, v15, vcc_lo
	v_add_co_u32 v16, s0, v3, 2
	s_delay_alu instid0(VALU_DEP_1) | instskip(SKIP_3) | instid1(VALU_DEP_3)
	v_add_co_ci_u32_e64 v17, s0, 0, v14, s0
	v_sub_co_u32 v22, s0, v12, s44
	v_sub_co_ci_u32_e32 v13, vcc_lo, v24, v13, vcc_lo
	v_subrev_co_ci_u32_e64 v15, s0, 0, v15, s0
	v_cmp_le_u32_e32 vcc_lo, s44, v22
	s_delay_alu instid0(VALU_DEP_3) | instskip(SKIP_1) | instid1(VALU_DEP_4)
	v_cmp_eq_u32_e64 s0, s45, v13
	v_cndmask_b32_e64 v22, 0, -1, vcc_lo
	v_cmp_le_u32_e32 vcc_lo, s45, v15
	v_cndmask_b32_e64 v23, 0, -1, vcc_lo
	v_cmp_le_u32_e32 vcc_lo, s44, v12
	;; [unrolled: 2-line block ×3, first 2 shown]
	v_cndmask_b32_e64 v24, 0, -1, vcc_lo
	v_cmp_eq_u32_e32 vcc_lo, s45, v15
	s_delay_alu instid0(VALU_DEP_2) | instskip(SKIP_3) | instid1(VALU_DEP_3)
	v_cndmask_b32_e64 v12, v24, v12, s0
	v_cndmask_b32_e32 v15, v23, v22, vcc_lo
	v_add_co_u32 v22, vcc_lo, v3, 1
	v_add_co_ci_u32_e32 v23, vcc_lo, 0, v14, vcc_lo
	v_cmp_ne_u32_e32 vcc_lo, 0, v15
	s_delay_alu instid0(VALU_DEP_2) | instskip(NEXT) | instid1(VALU_DEP_4)
	v_cndmask_b32_e32 v13, v23, v17, vcc_lo
	v_cndmask_b32_e32 v15, v22, v16, vcc_lo
	v_cmp_ne_u32_e32 vcc_lo, 0, v12
	v_xor_b32_e32 v12, s42, v21
	s_delay_alu instid0(VALU_DEP_3) | instskip(SKIP_1) | instid1(VALU_DEP_2)
	v_cndmask_b32_e32 v3, v3, v15, vcc_lo
	v_cndmask_b32_e32 v13, v14, v13, vcc_lo
	v_xor_b32_e32 v3, v3, v12
	s_delay_alu instid0(VALU_DEP_2) | instskip(NEXT) | instid1(VALU_DEP_2)
	v_xor_b32_e32 v13, v13, v12
	v_sub_co_u32 v14, vcc_lo, v3, v12
	s_delay_alu instid0(VALU_DEP_2)
	v_sub_co_ci_u32_e32 v15, vcc_lo, v13, v12, vcc_lo
.LBB67_24:                              ;   in Loop: Header=BB67_22 Depth=2
	s_and_not1_saveexec_b32 s0, s31
	s_cbranch_execz .LBB67_21
; %bb.25:                               ;   in Loop: Header=BB67_22 Depth=2
	v_cvt_f32_u32_e32 v3, s40
	s_sub_i32 s31, 0, s40
	v_mov_b32_e32 v15, v2
	s_delay_alu instid0(VALU_DEP_2) | instskip(SKIP_2) | instid1(VALU_DEP_1)
	v_rcp_iflag_f32_e32 v3, v3
	s_waitcnt_depctr 0xfff
	v_mul_f32_e32 v3, 0x4f7ffffe, v3
	v_cvt_u32_f32_e32 v3, v3
	s_delay_alu instid0(VALU_DEP_1) | instskip(NEXT) | instid1(VALU_DEP_1)
	v_mul_lo_u32 v12, s31, v3
	v_mul_hi_u32 v12, v3, v12
	s_delay_alu instid0(VALU_DEP_1) | instskip(NEXT) | instid1(VALU_DEP_1)
	v_add_nc_u32_e32 v3, v3, v12
	v_mul_hi_u32 v3, v6, v3
	s_delay_alu instid0(VALU_DEP_1) | instskip(SKIP_1) | instid1(VALU_DEP_2)
	v_mul_lo_u32 v12, v3, s40
	v_add_nc_u32_e32 v13, 1, v3
	v_sub_nc_u32_e32 v12, v6, v12
	s_delay_alu instid0(VALU_DEP_1) | instskip(SKIP_1) | instid1(VALU_DEP_2)
	v_subrev_nc_u32_e32 v14, s40, v12
	v_cmp_le_u32_e32 vcc_lo, s40, v12
	v_dual_cndmask_b32 v12, v12, v14 :: v_dual_cndmask_b32 v3, v3, v13
	s_delay_alu instid0(VALU_DEP_1) | instskip(NEXT) | instid1(VALU_DEP_2)
	v_cmp_le_u32_e32 vcc_lo, s40, v12
	v_add_nc_u32_e32 v13, 1, v3
	s_delay_alu instid0(VALU_DEP_1)
	v_cndmask_b32_e32 v14, v3, v13, vcc_lo
	s_branch .LBB67_21
.LBB67_26:
	s_nop 0
	s_sendmsg sendmsg(MSG_DEALLOC_VGPRS)
	s_endpgm
	.section	.rodata,"a",@progbits
	.p2align	6, 0x0
	.amdhsa_kernel _ZN2at6native16triu_tril_kernelIllLb1ELi2ELb0EEEvNS_4cuda6detail10TensorInfoIT_T0_EENS4_IKS5_S6_EEllS6_
		.amdhsa_group_segment_fixed_size 0
		.amdhsa_private_segment_fixed_size 0
		.amdhsa_kernarg_size 1112
		.amdhsa_user_sgpr_count 15
		.amdhsa_user_sgpr_dispatch_ptr 0
		.amdhsa_user_sgpr_queue_ptr 0
		.amdhsa_user_sgpr_kernarg_segment_ptr 1
		.amdhsa_user_sgpr_dispatch_id 0
		.amdhsa_user_sgpr_private_segment_size 0
		.amdhsa_wavefront_size32 1
		.amdhsa_uses_dynamic_stack 0
		.amdhsa_enable_private_segment 0
		.amdhsa_system_sgpr_workgroup_id_x 1
		.amdhsa_system_sgpr_workgroup_id_y 0
		.amdhsa_system_sgpr_workgroup_id_z 0
		.amdhsa_system_sgpr_workgroup_info 0
		.amdhsa_system_vgpr_workitem_id 0
		.amdhsa_next_free_vgpr 26
		.amdhsa_next_free_sgpr 47
		.amdhsa_reserve_vcc 1
		.amdhsa_float_round_mode_32 0
		.amdhsa_float_round_mode_16_64 0
		.amdhsa_float_denorm_mode_32 3
		.amdhsa_float_denorm_mode_16_64 3
		.amdhsa_dx10_clamp 1
		.amdhsa_ieee_mode 1
		.amdhsa_fp16_overflow 0
		.amdhsa_workgroup_processor_mode 1
		.amdhsa_memory_ordered 1
		.amdhsa_forward_progress 0
		.amdhsa_shared_vgpr_count 0
		.amdhsa_exception_fp_ieee_invalid_op 0
		.amdhsa_exception_fp_denorm_src 0
		.amdhsa_exception_fp_ieee_div_zero 0
		.amdhsa_exception_fp_ieee_overflow 0
		.amdhsa_exception_fp_ieee_underflow 0
		.amdhsa_exception_fp_ieee_inexact 0
		.amdhsa_exception_int_div_zero 0
	.end_amdhsa_kernel
	.section	.text._ZN2at6native16triu_tril_kernelIllLb1ELi2ELb0EEEvNS_4cuda6detail10TensorInfoIT_T0_EENS4_IKS5_S6_EEllS6_,"axG",@progbits,_ZN2at6native16triu_tril_kernelIllLb1ELi2ELb0EEEvNS_4cuda6detail10TensorInfoIT_T0_EENS4_IKS5_S6_EEllS6_,comdat
.Lfunc_end67:
	.size	_ZN2at6native16triu_tril_kernelIllLb1ELi2ELb0EEEvNS_4cuda6detail10TensorInfoIT_T0_EENS4_IKS5_S6_EEllS6_, .Lfunc_end67-_ZN2at6native16triu_tril_kernelIllLb1ELi2ELb0EEEvNS_4cuda6detail10TensorInfoIT_T0_EENS4_IKS5_S6_EEllS6_
                                        ; -- End function
	.section	.AMDGPU.csdata,"",@progbits
; Kernel info:
; codeLenInByte = 4224
; NumSgprs: 49
; NumVgprs: 26
; ScratchSize: 0
; MemoryBound: 0
; FloatMode: 240
; IeeeMode: 1
; LDSByteSize: 0 bytes/workgroup (compile time only)
; SGPRBlocks: 6
; VGPRBlocks: 3
; NumSGPRsForWavesPerEU: 49
; NumVGPRsForWavesPerEU: 26
; Occupancy: 16
; WaveLimiterHint : 0
; COMPUTE_PGM_RSRC2:SCRATCH_EN: 0
; COMPUTE_PGM_RSRC2:USER_SGPR: 15
; COMPUTE_PGM_RSRC2:TRAP_HANDLER: 0
; COMPUTE_PGM_RSRC2:TGID_X_EN: 1
; COMPUTE_PGM_RSRC2:TGID_Y_EN: 0
; COMPUTE_PGM_RSRC2:TGID_Z_EN: 0
; COMPUTE_PGM_RSRC2:TIDIG_COMP_CNT: 0
	.section	.text._ZN2at6native16triu_tril_kernelIsiLb1ELi4ELb1EEEvNS_4cuda6detail10TensorInfoIT_T0_EENS4_IKS5_S6_EEllS6_,"axG",@progbits,_ZN2at6native16triu_tril_kernelIsiLb1ELi4ELb1EEEvNS_4cuda6detail10TensorInfoIT_T0_EENS4_IKS5_S6_EEllS6_,comdat
	.protected	_ZN2at6native16triu_tril_kernelIsiLb1ELi4ELb1EEEvNS_4cuda6detail10TensorInfoIT_T0_EENS4_IKS5_S6_EEllS6_ ; -- Begin function _ZN2at6native16triu_tril_kernelIsiLb1ELi4ELb1EEEvNS_4cuda6detail10TensorInfoIT_T0_EENS4_IKS5_S6_EEllS6_
	.globl	_ZN2at6native16triu_tril_kernelIsiLb1ELi4ELb1EEEvNS_4cuda6detail10TensorInfoIT_T0_EENS4_IKS5_S6_EEllS6_
	.p2align	8
	.type	_ZN2at6native16triu_tril_kernelIsiLb1ELi4ELb1EEEvNS_4cuda6detail10TensorInfoIT_T0_EENS4_IKS5_S6_EEllS6_,@function
_ZN2at6native16triu_tril_kernelIsiLb1ELi4ELb1EEEvNS_4cuda6detail10TensorInfoIT_T0_EENS4_IKS5_S6_EEllS6_: ; @_ZN2at6native16triu_tril_kernelIsiLb1ELi4ELb1EEEvNS_4cuda6detail10TensorInfoIT_T0_EENS4_IKS5_S6_EEllS6_
; %bb.0:
	s_clause 0x1
	s_load_b32 s2, s[0:1], 0x1d4
	s_load_b128 s[4:7], s[0:1], 0x1b0
	v_mov_b32_e32 v2, 0
	s_add_u32 s8, s0, 0x1c8
	s_addc_u32 s9, s1, 0
	s_delay_alu instid0(VALU_DEP_1) | instskip(SKIP_3) | instid1(VALU_DEP_1)
	v_mov_b32_e32 v1, v2
	s_waitcnt lgkmcnt(0)
	s_and_b32 s14, s2, 0xffff
	s_mov_b32 s2, exec_lo
	v_mad_u64_u32 v[3:4], null, s14, s15, v[0:1]
	s_delay_alu instid0(VALU_DEP_1) | instskip(NEXT) | instid1(VALU_DEP_1)
	v_lshlrev_b64 v[0:1], 2, v[3:4]
	v_cmpx_gt_i64_e64 s[6:7], v[0:1]
	s_cbranch_execz .LBB68_68
; %bb.1:
	s_clause 0x2
	s_load_b32 s24, s[0:1], 0x1c0
	s_load_b32 s16, s[0:1], 0x1a8
	s_load_b64 s[2:3], s[0:1], 0x0
	s_load_b32 s19, s[8:9], 0x0
	s_mov_b32 s38, 0
	s_waitcnt lgkmcnt(0)
	s_ashr_i32 s25, s24, 31
	s_ashr_i32 s17, s16, 31
	s_add_u32 s26, s0, 0xe0
	s_addc_u32 s27, s1, 0
	s_lshl_b64 s[10:11], s[16:17], 2
	v_cvt_f32_u32_e32 v3, s24
	s_add_u32 s15, s10, -8
	s_addc_u32 s18, s11, -1
	s_add_u32 s12, s26, s15
	s_addc_u32 s13, s27, s18
	v_rcp_iflag_f32_e32 v3, v3
	s_load_b32 s28, s[12:13], 0x0
	s_mul_i32 s19, s19, s14
	v_cmp_gt_i64_e64 s37, s[16:17], 2
	s_waitcnt_depctr 0xfff
	v_mul_f32_e32 v3, 0x4f7ffffe, v3
	s_delay_alu instid0(VALU_DEP_1)
	v_cvt_u32_f32_e32 v3, v3
	s_waitcnt lgkmcnt(0)
	s_ashr_i32 s29, s28, 31
	s_add_u32 s12, s10, -4
	s_addc_u32 s13, s11, -1
	s_add_u32 s30, s0, 0x6c
	s_addc_u32 s1, s1, 0
	s_add_u32 s8, s30, s12
	s_addc_u32 s9, s1, s13
	;; [unrolled: 2-line block ×3, first 2 shown]
	s_add_i32 s31, s16, -3
	s_add_u32 s12, s26, s12
	s_addc_u32 s13, s27, s13
	s_add_i32 s0, s16, 6
	s_lshl_b32 s34, s19, 2
	s_and_b32 s33, s0, 7
	s_mov_b32 s15, 0
	s_cmp_lg_u32 s33, 0
	s_cselect_b32 s35, -1, 0
	s_cmp_gt_u32 s31, 6
	s_cselect_b32 s36, -1, 0
	s_sub_i32 s0, 0, s24
	s_delay_alu instid0(SALU_CYCLE_1) | instskip(NEXT) | instid1(VALU_DEP_1)
	v_mul_lo_u32 v4, s0, v3
	v_mul_hi_u32 v4, v3, v4
	s_delay_alu instid0(VALU_DEP_1)
	v_add_nc_u32_e32 v24, v3, v4
	s_branch .LBB68_3
.LBB68_2:                               ;   in Loop: Header=BB68_3 Depth=1
	s_or_b32 exec_lo, exec_lo, s39
	v_add_co_u32 v0, vcc_lo, v0, s34
	v_add_co_ci_u32_e32 v1, vcc_lo, 0, v1, vcc_lo
	s_delay_alu instid0(VALU_DEP_1) | instskip(SKIP_1) | instid1(SALU_CYCLE_1)
	v_cmp_le_i64_e32 vcc_lo, s[6:7], v[0:1]
	s_or_b32 s38, vcc_lo, s38
	s_and_not1_b32 exec_lo, exec_lo, s38
	s_cbranch_execz .LBB68_68
.LBB68_3:                               ; =>This Loop Header: Depth=1
                                        ;     Child Loop BB68_15 Depth 2
                                        ;     Child Loop BB68_24 Depth 2
	v_or_b32_e32 v3, s25, v1
                                        ; implicit-def: $vgpr4_vgpr5
	s_mov_b32 s0, exec_lo
	s_delay_alu instid0(VALU_DEP_1)
	v_cmpx_ne_u64_e32 0, v[2:3]
	s_xor_b32 s14, exec_lo, s0
	s_cbranch_execz .LBB68_5
; %bb.4:                                ;   in Loop: Header=BB68_3 Depth=1
	s_add_u32 s18, s24, s25
	s_mov_b32 s16, s25
	s_mov_b32 s17, s25
	s_addc_u32 s19, s25, s25
	s_delay_alu instid0(SALU_CYCLE_1) | instskip(NEXT) | instid1(SALU_CYCLE_1)
	s_xor_b64 s[18:19], s[18:19], s[16:17]
	v_cvt_f32_u32_e32 v3, s18
	v_cvt_f32_u32_e32 v4, s19
	s_sub_u32 s0, 0, s18
	s_subb_u32 s20, 0, s19
	s_delay_alu instid0(VALU_DEP_1) | instskip(NEXT) | instid1(VALU_DEP_1)
	v_fmac_f32_e32 v3, 0x4f800000, v4
	v_rcp_f32_e32 v3, v3
	s_waitcnt_depctr 0xfff
	v_mul_f32_e32 v3, 0x5f7ffffc, v3
	s_delay_alu instid0(VALU_DEP_1) | instskip(NEXT) | instid1(VALU_DEP_1)
	v_mul_f32_e32 v4, 0x2f800000, v3
	v_trunc_f32_e32 v4, v4
	s_delay_alu instid0(VALU_DEP_1) | instskip(SKIP_1) | instid1(VALU_DEP_2)
	v_fmac_f32_e32 v3, 0xcf800000, v4
	v_cvt_u32_f32_e32 v4, v4
	v_cvt_u32_f32_e32 v3, v3
	s_delay_alu instid0(VALU_DEP_2) | instskip(NEXT) | instid1(VALU_DEP_2)
	v_mul_lo_u32 v5, s0, v4
	v_mul_hi_u32 v6, s0, v3
	v_mul_lo_u32 v7, s20, v3
	s_delay_alu instid0(VALU_DEP_2) | instskip(SKIP_1) | instid1(VALU_DEP_2)
	v_add_nc_u32_e32 v5, v6, v5
	v_mul_lo_u32 v6, s0, v3
	v_add_nc_u32_e32 v5, v5, v7
	s_delay_alu instid0(VALU_DEP_2) | instskip(NEXT) | instid1(VALU_DEP_2)
	v_mul_hi_u32 v7, v3, v6
	v_mul_lo_u32 v8, v3, v5
	v_mul_hi_u32 v9, v3, v5
	v_mul_hi_u32 v10, v4, v6
	v_mul_lo_u32 v6, v4, v6
	v_mul_hi_u32 v11, v4, v5
	v_mul_lo_u32 v5, v4, v5
	v_add_co_u32 v7, vcc_lo, v7, v8
	v_add_co_ci_u32_e32 v8, vcc_lo, 0, v9, vcc_lo
	s_delay_alu instid0(VALU_DEP_2) | instskip(NEXT) | instid1(VALU_DEP_2)
	v_add_co_u32 v6, vcc_lo, v7, v6
	v_add_co_ci_u32_e32 v6, vcc_lo, v8, v10, vcc_lo
	v_add_co_ci_u32_e32 v7, vcc_lo, 0, v11, vcc_lo
	v_ashrrev_i32_e32 v10, 31, v1
	s_delay_alu instid0(VALU_DEP_3) | instskip(NEXT) | instid1(VALU_DEP_3)
	v_add_co_u32 v5, vcc_lo, v6, v5
	v_add_co_ci_u32_e32 v6, vcc_lo, 0, v7, vcc_lo
	s_delay_alu instid0(VALU_DEP_2) | instskip(NEXT) | instid1(VALU_DEP_2)
	v_add_co_u32 v3, vcc_lo, v3, v5
	v_add_co_ci_u32_e32 v4, vcc_lo, v4, v6, vcc_lo
	s_delay_alu instid0(VALU_DEP_2) | instskip(SKIP_1) | instid1(VALU_DEP_3)
	v_mul_hi_u32 v5, s0, v3
	v_mul_lo_u32 v7, s20, v3
	v_mul_lo_u32 v6, s0, v4
	s_delay_alu instid0(VALU_DEP_1) | instskip(SKIP_1) | instid1(VALU_DEP_2)
	v_add_nc_u32_e32 v5, v5, v6
	v_mul_lo_u32 v6, s0, v3
	v_add_nc_u32_e32 v5, v5, v7
	s_delay_alu instid0(VALU_DEP_2) | instskip(NEXT) | instid1(VALU_DEP_2)
	v_mul_hi_u32 v7, v3, v6
	v_mul_lo_u32 v8, v3, v5
	v_mul_hi_u32 v9, v3, v5
	v_mul_hi_u32 v11, v4, v6
	v_mul_lo_u32 v6, v4, v6
	v_mul_hi_u32 v12, v4, v5
	v_mul_lo_u32 v5, v4, v5
	v_add_co_u32 v7, vcc_lo, v7, v8
	v_add_co_ci_u32_e32 v8, vcc_lo, 0, v9, vcc_lo
	s_delay_alu instid0(VALU_DEP_2) | instskip(NEXT) | instid1(VALU_DEP_2)
	v_add_co_u32 v6, vcc_lo, v7, v6
	v_add_co_ci_u32_e32 v6, vcc_lo, v8, v11, vcc_lo
	v_add_co_ci_u32_e32 v7, vcc_lo, 0, v12, vcc_lo
	v_add_co_u32 v8, vcc_lo, v0, v10
	v_add_co_ci_u32_e32 v9, vcc_lo, v1, v10, vcc_lo
	s_delay_alu instid0(VALU_DEP_4) | instskip(NEXT) | instid1(VALU_DEP_4)
	v_add_co_u32 v5, vcc_lo, v6, v5
	v_add_co_ci_u32_e32 v6, vcc_lo, 0, v7, vcc_lo
	s_delay_alu instid0(VALU_DEP_4) | instskip(NEXT) | instid1(VALU_DEP_3)
	v_xor_b32_e32 v11, v8, v10
	v_add_co_u32 v7, vcc_lo, v3, v5
	s_delay_alu instid0(VALU_DEP_3) | instskip(SKIP_1) | instid1(VALU_DEP_3)
	v_add_co_ci_u32_e32 v12, vcc_lo, v4, v6, vcc_lo
	v_xor_b32_e32 v9, v9, v10
	v_mul_hi_u32 v13, v11, v7
	s_delay_alu instid0(VALU_DEP_3) | instskip(NEXT) | instid1(VALU_DEP_3)
	v_mad_u64_u32 v[3:4], null, v11, v12, 0
	v_mad_u64_u32 v[5:6], null, v9, v7, 0
	;; [unrolled: 1-line block ×3, first 2 shown]
	s_delay_alu instid0(VALU_DEP_3) | instskip(NEXT) | instid1(VALU_DEP_4)
	v_add_co_u32 v3, vcc_lo, v13, v3
	v_add_co_ci_u32_e32 v4, vcc_lo, 0, v4, vcc_lo
	s_delay_alu instid0(VALU_DEP_2) | instskip(NEXT) | instid1(VALU_DEP_2)
	v_add_co_u32 v3, vcc_lo, v3, v5
	v_add_co_ci_u32_e32 v3, vcc_lo, v4, v6, vcc_lo
	v_add_co_ci_u32_e32 v4, vcc_lo, 0, v8, vcc_lo
	s_delay_alu instid0(VALU_DEP_2) | instskip(NEXT) | instid1(VALU_DEP_2)
	v_add_co_u32 v5, vcc_lo, v3, v7
	v_add_co_ci_u32_e32 v6, vcc_lo, 0, v4, vcc_lo
	s_delay_alu instid0(VALU_DEP_2) | instskip(SKIP_1) | instid1(VALU_DEP_3)
	v_mul_lo_u32 v7, s19, v5
	v_mad_u64_u32 v[3:4], null, s18, v5, 0
	v_mul_lo_u32 v8, s18, v6
	s_delay_alu instid0(VALU_DEP_2) | instskip(NEXT) | instid1(VALU_DEP_2)
	v_sub_co_u32 v3, vcc_lo, v11, v3
	v_add3_u32 v4, v4, v8, v7
	s_delay_alu instid0(VALU_DEP_1) | instskip(NEXT) | instid1(VALU_DEP_1)
	v_sub_nc_u32_e32 v7, v9, v4
	v_subrev_co_ci_u32_e64 v7, s0, s19, v7, vcc_lo
	v_add_co_u32 v8, s0, v5, 2
	s_delay_alu instid0(VALU_DEP_1) | instskip(SKIP_3) | instid1(VALU_DEP_3)
	v_add_co_ci_u32_e64 v11, s0, 0, v6, s0
	v_sub_co_u32 v12, s0, v3, s18
	v_sub_co_ci_u32_e32 v4, vcc_lo, v9, v4, vcc_lo
	v_subrev_co_ci_u32_e64 v7, s0, 0, v7, s0
	v_cmp_le_u32_e32 vcc_lo, s18, v12
	s_delay_alu instid0(VALU_DEP_3) | instskip(SKIP_1) | instid1(VALU_DEP_4)
	v_cmp_eq_u32_e64 s0, s19, v4
	v_cndmask_b32_e64 v9, 0, -1, vcc_lo
	v_cmp_le_u32_e32 vcc_lo, s19, v7
	v_cndmask_b32_e64 v12, 0, -1, vcc_lo
	v_cmp_le_u32_e32 vcc_lo, s18, v3
	;; [unrolled: 2-line block ×3, first 2 shown]
	v_cndmask_b32_e64 v13, 0, -1, vcc_lo
	v_cmp_eq_u32_e32 vcc_lo, s19, v7
	s_delay_alu instid0(VALU_DEP_2) | instskip(SKIP_3) | instid1(VALU_DEP_3)
	v_cndmask_b32_e64 v3, v13, v3, s0
	v_cndmask_b32_e32 v7, v12, v9, vcc_lo
	v_add_co_u32 v9, vcc_lo, v5, 1
	v_add_co_ci_u32_e32 v12, vcc_lo, 0, v6, vcc_lo
	v_cmp_ne_u32_e32 vcc_lo, 0, v7
	s_delay_alu instid0(VALU_DEP_2) | instskip(SKIP_2) | instid1(VALU_DEP_3)
	v_dual_cndmask_b32 v4, v12, v11 :: v_dual_cndmask_b32 v7, v9, v8
	v_cmp_ne_u32_e32 vcc_lo, 0, v3
	v_xor_b32_e32 v3, s16, v10
	v_dual_cndmask_b32 v5, v5, v7 :: v_dual_cndmask_b32 v4, v6, v4
	v_xor_b32_e32 v6, s17, v10
	s_delay_alu instid0(VALU_DEP_2) | instskip(NEXT) | instid1(VALU_DEP_2)
	v_xor_b32_e32 v5, v5, v3
	v_xor_b32_e32 v7, v4, v6
	s_delay_alu instid0(VALU_DEP_2) | instskip(NEXT) | instid1(VALU_DEP_2)
	v_sub_co_u32 v4, vcc_lo, v5, v3
	v_sub_co_ci_u32_e32 v5, vcc_lo, v7, v6, vcc_lo
.LBB68_5:                               ;   in Loop: Header=BB68_3 Depth=1
	s_and_not1_saveexec_b32 s0, s14
; %bb.6:                                ;   in Loop: Header=BB68_3 Depth=1
	v_mul_hi_u32 v3, v0, v24
	s_delay_alu instid0(VALU_DEP_1) | instskip(NEXT) | instid1(VALU_DEP_1)
	v_mul_lo_u32 v4, v3, s24
	v_sub_nc_u32_e32 v4, v0, v4
	s_delay_alu instid0(VALU_DEP_1) | instskip(SKIP_1) | instid1(VALU_DEP_2)
	v_subrev_nc_u32_e32 v6, s24, v4
	v_cmp_le_u32_e32 vcc_lo, s24, v4
	v_dual_cndmask_b32 v4, v4, v6 :: v_dual_add_nc_u32 v5, 1, v3
	s_delay_alu instid0(VALU_DEP_1) | instskip(NEXT) | instid1(VALU_DEP_2)
	v_cndmask_b32_e32 v3, v3, v5, vcc_lo
	v_cmp_le_u32_e32 vcc_lo, s24, v4
	s_delay_alu instid0(VALU_DEP_2) | instskip(NEXT) | instid1(VALU_DEP_1)
	v_add_nc_u32_e32 v5, 1, v3
	v_dual_cndmask_b32 v4, v3, v5 :: v_dual_mov_b32 v5, v2
; %bb.7:                                ;   in Loop: Header=BB68_3 Depth=1
	s_or_b32 exec_lo, exec_lo, s0
	s_delay_alu instid0(VALU_DEP_1) | instskip(SKIP_1) | instid1(VALU_DEP_1)
	v_or_b32_e32 v3, s29, v5
                                        ; implicit-def: $vgpr6_vgpr7
	s_mov_b32 s0, exec_lo
	v_cmpx_ne_u64_e32 0, v[2:3]
	s_xor_b32 s14, exec_lo, s0
	s_cbranch_execz .LBB68_9
; %bb.8:                                ;   in Loop: Header=BB68_3 Depth=1
	s_add_u32 s18, s28, s29
	s_mov_b32 s16, s29
	s_mov_b32 s17, s29
	s_addc_u32 s19, s29, s29
	s_delay_alu instid0(SALU_CYCLE_1) | instskip(NEXT) | instid1(SALU_CYCLE_1)
	s_xor_b64 s[18:19], s[18:19], s[16:17]
	v_cvt_f32_u32_e32 v3, s18
	v_cvt_f32_u32_e32 v6, s19
	s_sub_u32 s0, 0, s18
	s_subb_u32 s20, 0, s19
	s_delay_alu instid0(VALU_DEP_1) | instskip(NEXT) | instid1(VALU_DEP_1)
	v_fmac_f32_e32 v3, 0x4f800000, v6
	v_rcp_f32_e32 v3, v3
	s_waitcnt_depctr 0xfff
	v_mul_f32_e32 v3, 0x5f7ffffc, v3
	s_delay_alu instid0(VALU_DEP_1) | instskip(NEXT) | instid1(VALU_DEP_1)
	v_mul_f32_e32 v6, 0x2f800000, v3
	v_trunc_f32_e32 v6, v6
	s_delay_alu instid0(VALU_DEP_1) | instskip(SKIP_1) | instid1(VALU_DEP_2)
	v_fmac_f32_e32 v3, 0xcf800000, v6
	v_cvt_u32_f32_e32 v6, v6
	v_cvt_u32_f32_e32 v3, v3
	s_delay_alu instid0(VALU_DEP_2) | instskip(NEXT) | instid1(VALU_DEP_2)
	v_mul_lo_u32 v7, s0, v6
	v_mul_hi_u32 v8, s0, v3
	v_mul_lo_u32 v9, s20, v3
	s_delay_alu instid0(VALU_DEP_2) | instskip(SKIP_1) | instid1(VALU_DEP_2)
	v_add_nc_u32_e32 v7, v8, v7
	v_mul_lo_u32 v8, s0, v3
	v_add_nc_u32_e32 v7, v7, v9
	s_delay_alu instid0(VALU_DEP_2) | instskip(NEXT) | instid1(VALU_DEP_2)
	v_mul_hi_u32 v9, v3, v8
	v_mul_lo_u32 v10, v3, v7
	v_mul_hi_u32 v11, v3, v7
	v_mul_hi_u32 v12, v6, v8
	v_mul_lo_u32 v8, v6, v8
	v_mul_hi_u32 v13, v6, v7
	v_mul_lo_u32 v7, v6, v7
	v_add_co_u32 v9, vcc_lo, v9, v10
	v_add_co_ci_u32_e32 v10, vcc_lo, 0, v11, vcc_lo
	s_delay_alu instid0(VALU_DEP_2) | instskip(NEXT) | instid1(VALU_DEP_2)
	v_add_co_u32 v8, vcc_lo, v9, v8
	v_add_co_ci_u32_e32 v8, vcc_lo, v10, v12, vcc_lo
	v_add_co_ci_u32_e32 v9, vcc_lo, 0, v13, vcc_lo
	v_ashrrev_i32_e32 v12, 31, v5
	s_delay_alu instid0(VALU_DEP_3) | instskip(NEXT) | instid1(VALU_DEP_3)
	v_add_co_u32 v7, vcc_lo, v8, v7
	v_add_co_ci_u32_e32 v8, vcc_lo, 0, v9, vcc_lo
	s_delay_alu instid0(VALU_DEP_2) | instskip(NEXT) | instid1(VALU_DEP_2)
	v_add_co_u32 v3, vcc_lo, v3, v7
	v_add_co_ci_u32_e32 v6, vcc_lo, v6, v8, vcc_lo
	s_delay_alu instid0(VALU_DEP_2) | instskip(SKIP_1) | instid1(VALU_DEP_3)
	v_mul_hi_u32 v7, s0, v3
	v_mul_lo_u32 v9, s20, v3
	v_mul_lo_u32 v8, s0, v6
	s_delay_alu instid0(VALU_DEP_1) | instskip(SKIP_1) | instid1(VALU_DEP_2)
	v_add_nc_u32_e32 v7, v7, v8
	v_mul_lo_u32 v8, s0, v3
	v_add_nc_u32_e32 v7, v7, v9
	s_delay_alu instid0(VALU_DEP_2) | instskip(NEXT) | instid1(VALU_DEP_2)
	v_mul_hi_u32 v9, v3, v8
	v_mul_lo_u32 v10, v3, v7
	v_mul_hi_u32 v11, v3, v7
	v_mul_hi_u32 v13, v6, v8
	v_mul_lo_u32 v8, v6, v8
	v_mul_hi_u32 v14, v6, v7
	v_mul_lo_u32 v7, v6, v7
	v_add_co_u32 v9, vcc_lo, v9, v10
	v_add_co_ci_u32_e32 v10, vcc_lo, 0, v11, vcc_lo
	s_delay_alu instid0(VALU_DEP_2) | instskip(NEXT) | instid1(VALU_DEP_2)
	v_add_co_u32 v8, vcc_lo, v9, v8
	v_add_co_ci_u32_e32 v8, vcc_lo, v10, v13, vcc_lo
	v_add_co_ci_u32_e32 v9, vcc_lo, 0, v14, vcc_lo
	v_add_co_u32 v10, vcc_lo, v4, v12
	v_add_co_ci_u32_e32 v5, vcc_lo, v5, v12, vcc_lo
	s_delay_alu instid0(VALU_DEP_4) | instskip(NEXT) | instid1(VALU_DEP_4)
	v_add_co_u32 v7, vcc_lo, v8, v7
	v_add_co_ci_u32_e32 v8, vcc_lo, 0, v9, vcc_lo
	s_delay_alu instid0(VALU_DEP_4) | instskip(NEXT) | instid1(VALU_DEP_3)
	v_xor_b32_e32 v11, v10, v12
	v_add_co_u32 v3, vcc_lo, v3, v7
	s_delay_alu instid0(VALU_DEP_3) | instskip(SKIP_1) | instid1(VALU_DEP_3)
	v_add_co_ci_u32_e32 v13, vcc_lo, v6, v8, vcc_lo
	v_xor_b32_e32 v14, v5, v12
	v_mul_hi_u32 v15, v11, v3
	s_delay_alu instid0(VALU_DEP_3) | instskip(NEXT) | instid1(VALU_DEP_3)
	v_mad_u64_u32 v[5:6], null, v11, v13, 0
	v_mad_u64_u32 v[7:8], null, v14, v3, 0
	v_mad_u64_u32 v[9:10], null, v14, v13, 0
	s_delay_alu instid0(VALU_DEP_3) | instskip(NEXT) | instid1(VALU_DEP_4)
	v_add_co_u32 v3, vcc_lo, v15, v5
	v_add_co_ci_u32_e32 v5, vcc_lo, 0, v6, vcc_lo
	s_delay_alu instid0(VALU_DEP_2) | instskip(NEXT) | instid1(VALU_DEP_2)
	v_add_co_u32 v3, vcc_lo, v3, v7
	v_add_co_ci_u32_e32 v3, vcc_lo, v5, v8, vcc_lo
	v_add_co_ci_u32_e32 v5, vcc_lo, 0, v10, vcc_lo
	s_delay_alu instid0(VALU_DEP_2) | instskip(NEXT) | instid1(VALU_DEP_2)
	v_add_co_u32 v3, vcc_lo, v3, v9
	v_add_co_ci_u32_e32 v7, vcc_lo, 0, v5, vcc_lo
	s_delay_alu instid0(VALU_DEP_2) | instskip(SKIP_1) | instid1(VALU_DEP_3)
	v_mul_lo_u32 v8, s19, v3
	v_mad_u64_u32 v[5:6], null, s18, v3, 0
	v_mul_lo_u32 v9, s18, v7
	s_delay_alu instid0(VALU_DEP_2) | instskip(NEXT) | instid1(VALU_DEP_2)
	v_sub_co_u32 v5, vcc_lo, v11, v5
	v_add3_u32 v6, v6, v9, v8
	s_delay_alu instid0(VALU_DEP_1) | instskip(NEXT) | instid1(VALU_DEP_1)
	v_sub_nc_u32_e32 v8, v14, v6
	v_subrev_co_ci_u32_e64 v8, s0, s19, v8, vcc_lo
	v_add_co_u32 v9, s0, v3, 2
	s_delay_alu instid0(VALU_DEP_1) | instskip(SKIP_3) | instid1(VALU_DEP_3)
	v_add_co_ci_u32_e64 v10, s0, 0, v7, s0
	v_sub_co_u32 v11, s0, v5, s18
	v_sub_co_ci_u32_e32 v6, vcc_lo, v14, v6, vcc_lo
	v_subrev_co_ci_u32_e64 v8, s0, 0, v8, s0
	v_cmp_le_u32_e32 vcc_lo, s18, v11
	s_delay_alu instid0(VALU_DEP_3) | instskip(SKIP_1) | instid1(VALU_DEP_4)
	v_cmp_eq_u32_e64 s0, s19, v6
	v_cndmask_b32_e64 v11, 0, -1, vcc_lo
	v_cmp_le_u32_e32 vcc_lo, s19, v8
	v_cndmask_b32_e64 v13, 0, -1, vcc_lo
	v_cmp_le_u32_e32 vcc_lo, s18, v5
	v_cndmask_b32_e64 v5, 0, -1, vcc_lo
	v_cmp_le_u32_e32 vcc_lo, s19, v6
	v_cndmask_b32_e64 v14, 0, -1, vcc_lo
	v_cmp_eq_u32_e32 vcc_lo, s19, v8
	s_delay_alu instid0(VALU_DEP_2) | instskip(SKIP_3) | instid1(VALU_DEP_3)
	v_cndmask_b32_e64 v5, v14, v5, s0
	v_cndmask_b32_e32 v8, v13, v11, vcc_lo
	v_add_co_u32 v11, vcc_lo, v3, 1
	v_add_co_ci_u32_e32 v13, vcc_lo, 0, v7, vcc_lo
	v_cmp_ne_u32_e32 vcc_lo, 0, v8
	s_delay_alu instid0(VALU_DEP_3) | instskip(NEXT) | instid1(VALU_DEP_3)
	v_cndmask_b32_e32 v8, v11, v9, vcc_lo
	v_cndmask_b32_e32 v6, v13, v10, vcc_lo
	v_cmp_ne_u32_e32 vcc_lo, 0, v5
	v_xor_b32_e32 v5, s16, v12
	s_delay_alu instid0(VALU_DEP_4) | instskip(NEXT) | instid1(VALU_DEP_4)
	v_cndmask_b32_e32 v3, v3, v8, vcc_lo
	v_cndmask_b32_e32 v6, v7, v6, vcc_lo
	v_xor_b32_e32 v7, s17, v12
	s_delay_alu instid0(VALU_DEP_3) | instskip(NEXT) | instid1(VALU_DEP_2)
	v_xor_b32_e32 v3, v3, v5
	v_xor_b32_e32 v8, v6, v7
	s_delay_alu instid0(VALU_DEP_2) | instskip(NEXT) | instid1(VALU_DEP_2)
	v_sub_co_u32 v6, vcc_lo, v3, v5
	v_sub_co_ci_u32_e32 v7, vcc_lo, v8, v7, vcc_lo
.LBB68_9:                               ;   in Loop: Header=BB68_3 Depth=1
	s_and_not1_saveexec_b32 s0, s14
	s_cbranch_execz .LBB68_11
; %bb.10:                               ;   in Loop: Header=BB68_3 Depth=1
	v_cvt_f32_u32_e32 v3, s28
	s_sub_i32 s14, 0, s28
	s_delay_alu instid0(VALU_DEP_1) | instskip(SKIP_2) | instid1(VALU_DEP_1)
	v_rcp_iflag_f32_e32 v3, v3
	s_waitcnt_depctr 0xfff
	v_mul_f32_e32 v3, 0x4f7ffffe, v3
	v_cvt_u32_f32_e32 v3, v3
	s_delay_alu instid0(VALU_DEP_1) | instskip(NEXT) | instid1(VALU_DEP_1)
	v_mul_lo_u32 v5, s14, v3
	v_mul_hi_u32 v5, v3, v5
	s_delay_alu instid0(VALU_DEP_1) | instskip(NEXT) | instid1(VALU_DEP_1)
	v_add_nc_u32_e32 v3, v3, v5
	v_mul_hi_u32 v3, v4, v3
	s_delay_alu instid0(VALU_DEP_1) | instskip(SKIP_1) | instid1(VALU_DEP_2)
	v_mul_lo_u32 v5, v3, s28
	v_add_nc_u32_e32 v6, 1, v3
	v_sub_nc_u32_e32 v5, v4, v5
	s_delay_alu instid0(VALU_DEP_1) | instskip(SKIP_1) | instid1(VALU_DEP_2)
	v_subrev_nc_u32_e32 v7, s28, v5
	v_cmp_le_u32_e32 vcc_lo, s28, v5
	v_cndmask_b32_e32 v5, v5, v7, vcc_lo
	v_mov_b32_e32 v7, v2
	v_cndmask_b32_e32 v3, v3, v6, vcc_lo
	s_delay_alu instid0(VALU_DEP_3) | instskip(NEXT) | instid1(VALU_DEP_2)
	v_cmp_le_u32_e32 vcc_lo, s28, v5
	v_add_nc_u32_e32 v6, 1, v3
	s_delay_alu instid0(VALU_DEP_1)
	v_cndmask_b32_e32 v6, v3, v6, vcc_lo
.LBB68_11:                              ;   in Loop: Header=BB68_3 Depth=1
	s_or_b32 exec_lo, exec_lo, s0
	v_mad_u64_u32 v[8:9], null, v4, s24, 0
	s_delay_alu instid0(VALU_DEP_2) | instskip(SKIP_1) | instid1(VALU_DEP_2)
	v_mad_u64_u32 v[9:10], null, v6, s28, 0
	s_mov_b32 s39, exec_lo
	v_sub_co_u32 v26, null, v0, v8
	s_delay_alu instid0(VALU_DEP_2) | instskip(NEXT) | instid1(VALU_DEP_1)
	v_sub_co_u32 v25, null, v4, v9
	v_sub_nc_u32_e32 v3, v26, v25
	s_delay_alu instid0(VALU_DEP_1) | instskip(NEXT) | instid1(VALU_DEP_1)
	v_ashrrev_i32_e32 v4, 31, v3
	v_cmpx_gt_i64_e64 s[4:5], v[3:4]
	s_cbranch_execz .LBB68_2
; %bb.12:                               ;   in Loop: Header=BB68_3 Depth=1
	s_clause 0x1
	s_load_b32 s40, s[8:9], 0x0
	s_load_b32 s0, s[10:11], 0x0
	s_and_not1_b32 vcc_lo, exec_lo, s37
	s_waitcnt lgkmcnt(0)
	v_mul_lo_u32 v3, s40, v26
	s_delay_alu instid0(VALU_DEP_1)
	v_mad_u64_u32 v[4:5], null, s0, v25, v[3:4]
	s_cbranch_vccnz .LBB68_58
; %bb.13:                               ;   in Loop: Header=BB68_3 Depth=1
	s_and_not1_b32 vcc_lo, exec_lo, s35
	s_cbranch_vccnz .LBB68_21
; %bb.14:                               ;   in Loop: Header=BB68_3 Depth=1
	v_dual_mov_b32 v9, v7 :: v_dual_mov_b32 v8, v6
	s_mov_b32 s22, s33
	s_mov_b32 s14, s31
.LBB68_15:                              ;   Parent Loop BB68_3 Depth=1
                                        ; =>  This Inner Loop Header: Depth=2
	s_delay_alu instid0(SALU_CYCLE_1) | instskip(NEXT) | instid1(SALU_CYCLE_1)
	s_lshl_b64 s[16:17], s[14:15], 2
                                        ; implicit-def: $vgpr6_vgpr7
	s_add_u32 s18, s26, s16
	s_addc_u32 s19, s27, s17
	s_load_b32 s23, s[18:19], 0x0
	s_mov_b32 s18, exec_lo
	s_waitcnt lgkmcnt(0)
	s_ashr_i32 s0, s23, 31
	s_delay_alu instid0(SALU_CYCLE_1) | instskip(NEXT) | instid1(VALU_DEP_1)
	v_or_b32_e32 v3, s0, v9
	v_cmpx_ne_u64_e32 0, v[2:3]
	s_xor_b32 s41, exec_lo, s18
	s_cbranch_execz .LBB68_17
; %bb.16:                               ;   in Loop: Header=BB68_15 Depth=2
	s_add_u32 s20, s23, s0
	s_mov_b32 s18, s0
	s_mov_b32 s19, s0
	s_addc_u32 s21, s0, s0
	s_delay_alu instid0(SALU_CYCLE_1) | instskip(NEXT) | instid1(SALU_CYCLE_1)
	s_xor_b64 s[20:21], s[20:21], s[18:19]
	v_cvt_f32_u32_e32 v3, s20
	v_cvt_f32_u32_e32 v5, s21
	s_sub_u32 s0, 0, s20
	s_subb_u32 s42, 0, s21
	s_delay_alu instid0(VALU_DEP_1) | instskip(NEXT) | instid1(VALU_DEP_1)
	v_fmac_f32_e32 v3, 0x4f800000, v5
	v_rcp_f32_e32 v3, v3
	s_waitcnt_depctr 0xfff
	v_mul_f32_e32 v3, 0x5f7ffffc, v3
	s_delay_alu instid0(VALU_DEP_1) | instskip(NEXT) | instid1(VALU_DEP_1)
	v_mul_f32_e32 v5, 0x2f800000, v3
	v_trunc_f32_e32 v5, v5
	s_delay_alu instid0(VALU_DEP_1) | instskip(SKIP_1) | instid1(VALU_DEP_2)
	v_fmac_f32_e32 v3, 0xcf800000, v5
	v_cvt_u32_f32_e32 v5, v5
	v_cvt_u32_f32_e32 v3, v3
	s_delay_alu instid0(VALU_DEP_2) | instskip(NEXT) | instid1(VALU_DEP_2)
	v_mul_lo_u32 v6, s0, v5
	v_mul_hi_u32 v7, s0, v3
	v_mul_lo_u32 v10, s42, v3
	s_delay_alu instid0(VALU_DEP_2) | instskip(SKIP_1) | instid1(VALU_DEP_2)
	v_add_nc_u32_e32 v6, v7, v6
	v_mul_lo_u32 v7, s0, v3
	v_add_nc_u32_e32 v6, v6, v10
	s_delay_alu instid0(VALU_DEP_2) | instskip(NEXT) | instid1(VALU_DEP_2)
	v_mul_hi_u32 v10, v3, v7
	v_mul_lo_u32 v11, v3, v6
	v_mul_hi_u32 v12, v3, v6
	v_mul_hi_u32 v13, v5, v7
	v_mul_lo_u32 v7, v5, v7
	v_mul_hi_u32 v14, v5, v6
	v_mul_lo_u32 v6, v5, v6
	v_add_co_u32 v10, vcc_lo, v10, v11
	v_add_co_ci_u32_e32 v11, vcc_lo, 0, v12, vcc_lo
	s_delay_alu instid0(VALU_DEP_2) | instskip(NEXT) | instid1(VALU_DEP_2)
	v_add_co_u32 v7, vcc_lo, v10, v7
	v_add_co_ci_u32_e32 v7, vcc_lo, v11, v13, vcc_lo
	v_add_co_ci_u32_e32 v10, vcc_lo, 0, v14, vcc_lo
	v_ashrrev_i32_e32 v13, 31, v9
	s_delay_alu instid0(VALU_DEP_3) | instskip(NEXT) | instid1(VALU_DEP_3)
	v_add_co_u32 v6, vcc_lo, v7, v6
	v_add_co_ci_u32_e32 v7, vcc_lo, 0, v10, vcc_lo
	s_delay_alu instid0(VALU_DEP_2) | instskip(NEXT) | instid1(VALU_DEP_2)
	v_add_co_u32 v3, vcc_lo, v3, v6
	v_add_co_ci_u32_e32 v5, vcc_lo, v5, v7, vcc_lo
	s_delay_alu instid0(VALU_DEP_2) | instskip(SKIP_1) | instid1(VALU_DEP_3)
	v_mul_hi_u32 v6, s0, v3
	v_mul_lo_u32 v10, s42, v3
	v_mul_lo_u32 v7, s0, v5
	s_delay_alu instid0(VALU_DEP_1) | instskip(SKIP_1) | instid1(VALU_DEP_2)
	v_add_nc_u32_e32 v6, v6, v7
	v_mul_lo_u32 v7, s0, v3
	v_add_nc_u32_e32 v6, v6, v10
	s_delay_alu instid0(VALU_DEP_2) | instskip(NEXT) | instid1(VALU_DEP_2)
	v_mul_hi_u32 v10, v3, v7
	v_mul_lo_u32 v11, v3, v6
	v_mul_hi_u32 v12, v3, v6
	v_mul_hi_u32 v14, v5, v7
	v_mul_lo_u32 v7, v5, v7
	v_mul_hi_u32 v15, v5, v6
	v_mul_lo_u32 v6, v5, v6
	v_add_co_u32 v10, vcc_lo, v10, v11
	v_add_co_ci_u32_e32 v11, vcc_lo, 0, v12, vcc_lo
	s_delay_alu instid0(VALU_DEP_2) | instskip(NEXT) | instid1(VALU_DEP_2)
	v_add_co_u32 v7, vcc_lo, v10, v7
	v_add_co_ci_u32_e32 v7, vcc_lo, v11, v14, vcc_lo
	v_add_co_ci_u32_e32 v10, vcc_lo, 0, v15, vcc_lo
	v_add_co_u32 v11, vcc_lo, v8, v13
	v_add_co_ci_u32_e32 v9, vcc_lo, v9, v13, vcc_lo
	s_delay_alu instid0(VALU_DEP_4) | instskip(NEXT) | instid1(VALU_DEP_4)
	v_add_co_u32 v6, vcc_lo, v7, v6
	v_add_co_ci_u32_e32 v7, vcc_lo, 0, v10, vcc_lo
	s_delay_alu instid0(VALU_DEP_4) | instskip(NEXT) | instid1(VALU_DEP_3)
	v_xor_b32_e32 v14, v11, v13
	v_add_co_u32 v3, vcc_lo, v3, v6
	s_delay_alu instid0(VALU_DEP_3) | instskip(SKIP_1) | instid1(VALU_DEP_3)
	v_add_co_ci_u32_e32 v7, vcc_lo, v5, v7, vcc_lo
	v_xor_b32_e32 v15, v9, v13
	v_mul_hi_u32 v16, v14, v3
	s_delay_alu instid0(VALU_DEP_3) | instskip(NEXT) | instid1(VALU_DEP_3)
	v_mad_u64_u32 v[5:6], null, v14, v7, 0
	v_mad_u64_u32 v[9:10], null, v15, v3, 0
	;; [unrolled: 1-line block ×3, first 2 shown]
	s_delay_alu instid0(VALU_DEP_3) | instskip(NEXT) | instid1(VALU_DEP_4)
	v_add_co_u32 v3, vcc_lo, v16, v5
	v_add_co_ci_u32_e32 v5, vcc_lo, 0, v6, vcc_lo
	s_delay_alu instid0(VALU_DEP_2) | instskip(NEXT) | instid1(VALU_DEP_2)
	v_add_co_u32 v3, vcc_lo, v3, v9
	v_add_co_ci_u32_e32 v3, vcc_lo, v5, v10, vcc_lo
	v_add_co_ci_u32_e32 v5, vcc_lo, 0, v12, vcc_lo
	s_delay_alu instid0(VALU_DEP_2) | instskip(NEXT) | instid1(VALU_DEP_2)
	v_add_co_u32 v3, vcc_lo, v3, v11
	v_add_co_ci_u32_e32 v7, vcc_lo, 0, v5, vcc_lo
	s_delay_alu instid0(VALU_DEP_2) | instskip(SKIP_1) | instid1(VALU_DEP_3)
	v_mul_lo_u32 v9, s21, v3
	v_mad_u64_u32 v[5:6], null, s20, v3, 0
	v_mul_lo_u32 v10, s20, v7
	s_delay_alu instid0(VALU_DEP_2) | instskip(NEXT) | instid1(VALU_DEP_2)
	v_sub_co_u32 v5, vcc_lo, v14, v5
	v_add3_u32 v6, v6, v10, v9
	s_delay_alu instid0(VALU_DEP_1) | instskip(NEXT) | instid1(VALU_DEP_1)
	v_sub_nc_u32_e32 v9, v15, v6
	v_subrev_co_ci_u32_e64 v9, s0, s21, v9, vcc_lo
	v_add_co_u32 v10, s0, v3, 2
	s_delay_alu instid0(VALU_DEP_1) | instskip(SKIP_3) | instid1(VALU_DEP_3)
	v_add_co_ci_u32_e64 v11, s0, 0, v7, s0
	v_sub_co_u32 v12, s0, v5, s20
	v_sub_co_ci_u32_e32 v6, vcc_lo, v15, v6, vcc_lo
	v_subrev_co_ci_u32_e64 v9, s0, 0, v9, s0
	v_cmp_le_u32_e32 vcc_lo, s20, v12
	s_delay_alu instid0(VALU_DEP_3) | instskip(SKIP_1) | instid1(VALU_DEP_4)
	v_cmp_eq_u32_e64 s0, s21, v6
	v_cndmask_b32_e64 v12, 0, -1, vcc_lo
	v_cmp_le_u32_e32 vcc_lo, s21, v9
	v_cndmask_b32_e64 v14, 0, -1, vcc_lo
	v_cmp_le_u32_e32 vcc_lo, s20, v5
	;; [unrolled: 2-line block ×3, first 2 shown]
	v_cndmask_b32_e64 v15, 0, -1, vcc_lo
	v_cmp_eq_u32_e32 vcc_lo, s21, v9
	s_delay_alu instid0(VALU_DEP_2) | instskip(SKIP_3) | instid1(VALU_DEP_3)
	v_cndmask_b32_e64 v5, v15, v5, s0
	v_cndmask_b32_e32 v9, v14, v12, vcc_lo
	v_add_co_u32 v12, vcc_lo, v3, 1
	v_add_co_ci_u32_e32 v14, vcc_lo, 0, v7, vcc_lo
	v_cmp_ne_u32_e32 vcc_lo, 0, v9
	s_delay_alu instid0(VALU_DEP_2) | instskip(SKIP_2) | instid1(VALU_DEP_3)
	v_dual_cndmask_b32 v6, v14, v11 :: v_dual_cndmask_b32 v9, v12, v10
	v_cmp_ne_u32_e32 vcc_lo, 0, v5
	v_xor_b32_e32 v5, s18, v13
	v_cndmask_b32_e32 v3, v3, v9, vcc_lo
	s_delay_alu instid0(VALU_DEP_4) | instskip(SKIP_1) | instid1(VALU_DEP_3)
	v_cndmask_b32_e32 v6, v7, v6, vcc_lo
	v_xor_b32_e32 v7, s19, v13
	v_xor_b32_e32 v3, v3, v5
	s_delay_alu instid0(VALU_DEP_2) | instskip(NEXT) | instid1(VALU_DEP_2)
	v_xor_b32_e32 v9, v6, v7
	v_sub_co_u32 v6, vcc_lo, v3, v5
	s_delay_alu instid0(VALU_DEP_2)
	v_sub_co_ci_u32_e32 v7, vcc_lo, v9, v7, vcc_lo
.LBB68_17:                              ;   in Loop: Header=BB68_15 Depth=2
	s_and_not1_saveexec_b32 s0, s41
	s_cbranch_execz .LBB68_19
; %bb.18:                               ;   in Loop: Header=BB68_15 Depth=2
	v_cvt_f32_u32_e32 v3, s23
	s_sub_i32 s18, 0, s23
	s_delay_alu instid0(VALU_DEP_1) | instskip(SKIP_2) | instid1(VALU_DEP_1)
	v_rcp_iflag_f32_e32 v3, v3
	s_waitcnt_depctr 0xfff
	v_mul_f32_e32 v3, 0x4f7ffffe, v3
	v_cvt_u32_f32_e32 v3, v3
	s_delay_alu instid0(VALU_DEP_1) | instskip(NEXT) | instid1(VALU_DEP_1)
	v_mul_lo_u32 v5, s18, v3
	v_mul_hi_u32 v5, v3, v5
	s_delay_alu instid0(VALU_DEP_1) | instskip(NEXT) | instid1(VALU_DEP_1)
	v_add_nc_u32_e32 v3, v3, v5
	v_mul_hi_u32 v3, v8, v3
	s_delay_alu instid0(VALU_DEP_1) | instskip(SKIP_1) | instid1(VALU_DEP_2)
	v_mul_lo_u32 v5, v3, s23
	v_add_nc_u32_e32 v6, 1, v3
	v_sub_nc_u32_e32 v5, v8, v5
	s_delay_alu instid0(VALU_DEP_1) | instskip(SKIP_1) | instid1(VALU_DEP_2)
	v_subrev_nc_u32_e32 v7, s23, v5
	v_cmp_le_u32_e32 vcc_lo, s23, v5
	v_cndmask_b32_e32 v5, v5, v7, vcc_lo
	v_mov_b32_e32 v7, v2
	v_cndmask_b32_e32 v3, v3, v6, vcc_lo
	s_delay_alu instid0(VALU_DEP_3) | instskip(NEXT) | instid1(VALU_DEP_2)
	v_cmp_le_u32_e32 vcc_lo, s23, v5
	v_add_nc_u32_e32 v6, 1, v3
	s_delay_alu instid0(VALU_DEP_1)
	v_cndmask_b32_e32 v6, v3, v6, vcc_lo
.LBB68_19:                              ;   in Loop: Header=BB68_15 Depth=2
	s_or_b32 exec_lo, exec_lo, s0
	s_add_u32 s16, s30, s16
	s_addc_u32 s17, s1, s17
	s_delay_alu instid0(VALU_DEP_1) | instskip(SKIP_4) | instid1(VALU_DEP_1)
	v_mul_lo_u32 v3, v6, s23
	s_load_b32 s0, s[16:17], 0x0
	s_add_i32 s22, s22, -1
	s_add_i32 s14, s14, -1
	s_cmp_lg_u32 s22, 0
	v_sub_nc_u32_e32 v3, v8, v3
	s_waitcnt lgkmcnt(0)
	s_delay_alu instid0(VALU_DEP_1) | instskip(NEXT) | instid1(VALU_DEP_1)
	v_mad_u64_u32 v[8:9], null, s0, v3, v[4:5]
	v_mov_b32_e32 v4, v8
	s_cbranch_scc0 .LBB68_22
; %bb.20:                               ;   in Loop: Header=BB68_15 Depth=2
	v_dual_mov_b32 v9, v7 :: v_dual_mov_b32 v8, v6
	s_branch .LBB68_15
.LBB68_21:                              ;   in Loop: Header=BB68_3 Depth=1
	s_mov_b32 s14, s31
.LBB68_22:                              ;   in Loop: Header=BB68_3 Depth=1
	s_and_not1_b32 vcc_lo, exec_lo, s36
	s_cbranch_vccnz .LBB68_58
; %bb.23:                               ;   in Loop: Header=BB68_3 Depth=1
	s_add_i32 s16, s14, -7
.LBB68_24:                              ;   Parent Loop BB68_3 Depth=1
                                        ; =>  This Inner Loop Header: Depth=2
	s_delay_alu instid0(SALU_CYCLE_1) | instskip(NEXT) | instid1(SALU_CYCLE_1)
	s_add_i32 s14, s16, 7
                                        ; implicit-def: $vgpr8_vgpr9
	s_lshl_b64 s[18:19], s[14:15], 2
	s_mov_b32 s14, exec_lo
	s_add_u32 s20, s26, s18
	s_addc_u32 s21, s27, s19
	s_load_b32 s41, s[20:21], 0x0
	s_waitcnt lgkmcnt(0)
	s_ashr_i32 s0, s41, 31
	s_delay_alu instid0(SALU_CYCLE_1) | instskip(NEXT) | instid1(VALU_DEP_1)
	v_or_b32_e32 v3, s0, v7
	v_cmpx_ne_u64_e32 0, v[2:3]
	s_xor_b32 s14, exec_lo, s14
	s_cbranch_execz .LBB68_26
; %bb.25:                               ;   in Loop: Header=BB68_24 Depth=2
	s_add_u32 s22, s41, s0
	s_mov_b32 s20, s0
	s_mov_b32 s21, s0
	s_addc_u32 s23, s0, s0
	s_delay_alu instid0(SALU_CYCLE_1) | instskip(NEXT) | instid1(SALU_CYCLE_1)
	s_xor_b64 s[22:23], s[22:23], s[20:21]
	v_cvt_f32_u32_e32 v3, s22
	v_cvt_f32_u32_e32 v5, s23
	s_sub_u32 s0, 0, s22
	s_subb_u32 s17, 0, s23
	s_delay_alu instid0(VALU_DEP_1) | instskip(NEXT) | instid1(VALU_DEP_1)
	v_fmac_f32_e32 v3, 0x4f800000, v5
	v_rcp_f32_e32 v3, v3
	s_waitcnt_depctr 0xfff
	v_mul_f32_e32 v3, 0x5f7ffffc, v3
	s_delay_alu instid0(VALU_DEP_1) | instskip(NEXT) | instid1(VALU_DEP_1)
	v_mul_f32_e32 v5, 0x2f800000, v3
	v_trunc_f32_e32 v5, v5
	s_delay_alu instid0(VALU_DEP_1) | instskip(SKIP_1) | instid1(VALU_DEP_2)
	v_fmac_f32_e32 v3, 0xcf800000, v5
	v_cvt_u32_f32_e32 v5, v5
	v_cvt_u32_f32_e32 v3, v3
	s_delay_alu instid0(VALU_DEP_2) | instskip(NEXT) | instid1(VALU_DEP_2)
	v_mul_lo_u32 v8, s0, v5
	v_mul_hi_u32 v9, s0, v3
	v_mul_lo_u32 v10, s17, v3
	s_delay_alu instid0(VALU_DEP_2) | instskip(SKIP_1) | instid1(VALU_DEP_2)
	v_add_nc_u32_e32 v8, v9, v8
	v_mul_lo_u32 v9, s0, v3
	v_add_nc_u32_e32 v8, v8, v10
	s_delay_alu instid0(VALU_DEP_2) | instskip(NEXT) | instid1(VALU_DEP_2)
	v_mul_hi_u32 v10, v3, v9
	v_mul_lo_u32 v11, v3, v8
	v_mul_hi_u32 v12, v3, v8
	v_mul_hi_u32 v13, v5, v9
	v_mul_lo_u32 v9, v5, v9
	v_mul_hi_u32 v14, v5, v8
	v_mul_lo_u32 v8, v5, v8
	v_add_co_u32 v10, vcc_lo, v10, v11
	v_add_co_ci_u32_e32 v11, vcc_lo, 0, v12, vcc_lo
	s_delay_alu instid0(VALU_DEP_2) | instskip(NEXT) | instid1(VALU_DEP_2)
	v_add_co_u32 v9, vcc_lo, v10, v9
	v_add_co_ci_u32_e32 v9, vcc_lo, v11, v13, vcc_lo
	v_add_co_ci_u32_e32 v10, vcc_lo, 0, v14, vcc_lo
	v_ashrrev_i32_e32 v13, 31, v7
	s_delay_alu instid0(VALU_DEP_3) | instskip(NEXT) | instid1(VALU_DEP_3)
	v_add_co_u32 v8, vcc_lo, v9, v8
	v_add_co_ci_u32_e32 v9, vcc_lo, 0, v10, vcc_lo
	s_delay_alu instid0(VALU_DEP_2) | instskip(NEXT) | instid1(VALU_DEP_2)
	v_add_co_u32 v3, vcc_lo, v3, v8
	v_add_co_ci_u32_e32 v5, vcc_lo, v5, v9, vcc_lo
	s_delay_alu instid0(VALU_DEP_2) | instskip(SKIP_1) | instid1(VALU_DEP_3)
	v_mul_hi_u32 v8, s0, v3
	v_mul_lo_u32 v10, s17, v3
	v_mul_lo_u32 v9, s0, v5
	s_delay_alu instid0(VALU_DEP_1) | instskip(SKIP_1) | instid1(VALU_DEP_2)
	v_add_nc_u32_e32 v8, v8, v9
	v_mul_lo_u32 v9, s0, v3
	v_add_nc_u32_e32 v8, v8, v10
	s_delay_alu instid0(VALU_DEP_2) | instskip(NEXT) | instid1(VALU_DEP_2)
	v_mul_hi_u32 v10, v3, v9
	v_mul_lo_u32 v11, v3, v8
	v_mul_hi_u32 v12, v3, v8
	v_mul_hi_u32 v14, v5, v9
	v_mul_lo_u32 v9, v5, v9
	v_mul_hi_u32 v15, v5, v8
	v_mul_lo_u32 v8, v5, v8
	v_add_co_u32 v10, vcc_lo, v10, v11
	v_add_co_ci_u32_e32 v11, vcc_lo, 0, v12, vcc_lo
	s_delay_alu instid0(VALU_DEP_2) | instskip(NEXT) | instid1(VALU_DEP_2)
	v_add_co_u32 v9, vcc_lo, v10, v9
	v_add_co_ci_u32_e32 v9, vcc_lo, v11, v14, vcc_lo
	v_add_co_ci_u32_e32 v10, vcc_lo, 0, v15, vcc_lo
	v_add_co_u32 v11, vcc_lo, v6, v13
	v_add_co_ci_u32_e32 v7, vcc_lo, v7, v13, vcc_lo
	s_delay_alu instid0(VALU_DEP_4) | instskip(NEXT) | instid1(VALU_DEP_4)
	v_add_co_u32 v8, vcc_lo, v9, v8
	v_add_co_ci_u32_e32 v9, vcc_lo, 0, v10, vcc_lo
	s_delay_alu instid0(VALU_DEP_4) | instskip(NEXT) | instid1(VALU_DEP_3)
	v_xor_b32_e32 v14, v11, v13
	v_add_co_u32 v3, vcc_lo, v3, v8
	s_delay_alu instid0(VALU_DEP_3) | instskip(SKIP_1) | instid1(VALU_DEP_3)
	v_add_co_ci_u32_e32 v5, vcc_lo, v5, v9, vcc_lo
	v_xor_b32_e32 v15, v7, v13
	v_mul_hi_u32 v16, v14, v3
	s_delay_alu instid0(VALU_DEP_3) | instskip(NEXT) | instid1(VALU_DEP_3)
	v_mad_u64_u32 v[7:8], null, v14, v5, 0
	v_mad_u64_u32 v[9:10], null, v15, v3, 0
	;; [unrolled: 1-line block ×3, first 2 shown]
	s_delay_alu instid0(VALU_DEP_3) | instskip(NEXT) | instid1(VALU_DEP_4)
	v_add_co_u32 v3, vcc_lo, v16, v7
	v_add_co_ci_u32_e32 v5, vcc_lo, 0, v8, vcc_lo
	s_delay_alu instid0(VALU_DEP_2) | instskip(NEXT) | instid1(VALU_DEP_2)
	v_add_co_u32 v3, vcc_lo, v3, v9
	v_add_co_ci_u32_e32 v3, vcc_lo, v5, v10, vcc_lo
	v_add_co_ci_u32_e32 v5, vcc_lo, 0, v12, vcc_lo
	s_delay_alu instid0(VALU_DEP_2) | instskip(NEXT) | instid1(VALU_DEP_2)
	v_add_co_u32 v3, vcc_lo, v3, v11
	v_add_co_ci_u32_e32 v5, vcc_lo, 0, v5, vcc_lo
	s_delay_alu instid0(VALU_DEP_2) | instskip(SKIP_1) | instid1(VALU_DEP_3)
	v_mul_lo_u32 v9, s23, v3
	v_mad_u64_u32 v[7:8], null, s22, v3, 0
	v_mul_lo_u32 v10, s22, v5
	s_delay_alu instid0(VALU_DEP_2) | instskip(NEXT) | instid1(VALU_DEP_2)
	v_sub_co_u32 v7, vcc_lo, v14, v7
	v_add3_u32 v8, v8, v10, v9
	s_delay_alu instid0(VALU_DEP_1) | instskip(NEXT) | instid1(VALU_DEP_1)
	v_sub_nc_u32_e32 v9, v15, v8
	v_subrev_co_ci_u32_e64 v9, s0, s23, v9, vcc_lo
	v_add_co_u32 v10, s0, v3, 2
	s_delay_alu instid0(VALU_DEP_1) | instskip(SKIP_3) | instid1(VALU_DEP_3)
	v_add_co_ci_u32_e64 v11, s0, 0, v5, s0
	v_sub_co_u32 v12, s0, v7, s22
	v_sub_co_ci_u32_e32 v8, vcc_lo, v15, v8, vcc_lo
	v_subrev_co_ci_u32_e64 v9, s0, 0, v9, s0
	v_cmp_le_u32_e32 vcc_lo, s22, v12
	s_delay_alu instid0(VALU_DEP_3) | instskip(SKIP_1) | instid1(VALU_DEP_4)
	v_cmp_eq_u32_e64 s0, s23, v8
	v_cndmask_b32_e64 v12, 0, -1, vcc_lo
	v_cmp_le_u32_e32 vcc_lo, s23, v9
	v_cndmask_b32_e64 v14, 0, -1, vcc_lo
	v_cmp_le_u32_e32 vcc_lo, s22, v7
	;; [unrolled: 2-line block ×3, first 2 shown]
	v_cndmask_b32_e64 v15, 0, -1, vcc_lo
	v_cmp_eq_u32_e32 vcc_lo, s23, v9
	s_delay_alu instid0(VALU_DEP_2) | instskip(SKIP_3) | instid1(VALU_DEP_3)
	v_cndmask_b32_e64 v7, v15, v7, s0
	v_cndmask_b32_e32 v9, v14, v12, vcc_lo
	v_add_co_u32 v12, vcc_lo, v3, 1
	v_add_co_ci_u32_e32 v14, vcc_lo, 0, v5, vcc_lo
	v_cmp_ne_u32_e32 vcc_lo, 0, v9
	s_delay_alu instid0(VALU_DEP_2) | instskip(SKIP_2) | instid1(VALU_DEP_3)
	v_dual_cndmask_b32 v8, v14, v11 :: v_dual_cndmask_b32 v9, v12, v10
	v_cmp_ne_u32_e32 vcc_lo, 0, v7
	v_xor_b32_e32 v7, s20, v13
	v_cndmask_b32_e32 v3, v3, v9, vcc_lo
	s_delay_alu instid0(VALU_DEP_4) | instskip(SKIP_1) | instid1(VALU_DEP_3)
	v_cndmask_b32_e32 v5, v5, v8, vcc_lo
	v_xor_b32_e32 v9, s21, v13
	v_xor_b32_e32 v3, v3, v7
	s_delay_alu instid0(VALU_DEP_2) | instskip(NEXT) | instid1(VALU_DEP_2)
	v_xor_b32_e32 v5, v5, v9
	v_sub_co_u32 v8, vcc_lo, v3, v7
	s_delay_alu instid0(VALU_DEP_2)
	v_sub_co_ci_u32_e32 v9, vcc_lo, v5, v9, vcc_lo
.LBB68_26:                              ;   in Loop: Header=BB68_24 Depth=2
	s_and_not1_saveexec_b32 s0, s14
	s_cbranch_execz .LBB68_28
; %bb.27:                               ;   in Loop: Header=BB68_24 Depth=2
	v_cvt_f32_u32_e32 v3, s41
	s_sub_i32 s14, 0, s41
	v_mov_b32_e32 v9, v2
	s_delay_alu instid0(VALU_DEP_2) | instskip(SKIP_2) | instid1(VALU_DEP_1)
	v_rcp_iflag_f32_e32 v3, v3
	s_waitcnt_depctr 0xfff
	v_mul_f32_e32 v3, 0x4f7ffffe, v3
	v_cvt_u32_f32_e32 v3, v3
	s_delay_alu instid0(VALU_DEP_1) | instskip(NEXT) | instid1(VALU_DEP_1)
	v_mul_lo_u32 v5, s14, v3
	v_mul_hi_u32 v5, v3, v5
	s_delay_alu instid0(VALU_DEP_1) | instskip(NEXT) | instid1(VALU_DEP_1)
	v_add_nc_u32_e32 v3, v3, v5
	v_mul_hi_u32 v3, v6, v3
	s_delay_alu instid0(VALU_DEP_1) | instskip(SKIP_1) | instid1(VALU_DEP_2)
	v_mul_lo_u32 v5, v3, s41
	v_add_nc_u32_e32 v7, 1, v3
	v_sub_nc_u32_e32 v5, v6, v5
	s_delay_alu instid0(VALU_DEP_1) | instskip(SKIP_1) | instid1(VALU_DEP_4)
	v_cmp_le_u32_e32 vcc_lo, s41, v5
	v_subrev_nc_u32_e32 v8, s41, v5
	v_cndmask_b32_e32 v3, v3, v7, vcc_lo
	s_delay_alu instid0(VALU_DEP_1) | instskip(NEXT) | instid1(VALU_DEP_3)
	v_add_nc_u32_e32 v7, 1, v3
	v_cndmask_b32_e32 v5, v5, v8, vcc_lo
	s_delay_alu instid0(VALU_DEP_1) | instskip(NEXT) | instid1(VALU_DEP_3)
	v_cmp_le_u32_e32 vcc_lo, s41, v5
	v_cndmask_b32_e32 v8, v3, v7, vcc_lo
.LBB68_28:                              ;   in Loop: Header=BB68_24 Depth=2
	s_or_b32 exec_lo, exec_lo, s0
	s_add_u32 s20, s30, s18
	s_addc_u32 s21, s1, s19
	s_add_i32 s14, s16, 6
                                        ; implicit-def: $vgpr10_vgpr11
	s_delay_alu instid0(SALU_CYCLE_1)
	s_lshl_b64 s[18:19], s[14:15], 2
	s_mov_b32 s14, exec_lo
	s_add_u32 s22, s26, s18
	s_addc_u32 s23, s27, s19
	s_clause 0x1
	s_load_b32 s43, s[22:23], 0x0
	s_load_b32 s42, s[20:21], 0x0
	s_waitcnt lgkmcnt(0)
	s_ashr_i32 s0, s43, 31
	s_delay_alu instid0(SALU_CYCLE_1) | instskip(NEXT) | instid1(VALU_DEP_1)
	v_or_b32_e32 v3, s0, v9
	v_cmpx_ne_u64_e32 0, v[2:3]
	s_xor_b32 s14, exec_lo, s14
	s_cbranch_execz .LBB68_30
; %bb.29:                               ;   in Loop: Header=BB68_24 Depth=2
	s_add_u32 s22, s43, s0
	s_mov_b32 s20, s0
	s_mov_b32 s21, s0
	s_addc_u32 s23, s0, s0
	s_delay_alu instid0(SALU_CYCLE_1) | instskip(NEXT) | instid1(SALU_CYCLE_1)
	s_xor_b64 s[22:23], s[22:23], s[20:21]
	v_cvt_f32_u32_e32 v3, s22
	v_cvt_f32_u32_e32 v5, s23
	s_sub_u32 s0, 0, s22
	s_subb_u32 s17, 0, s23
	s_delay_alu instid0(VALU_DEP_1) | instskip(NEXT) | instid1(VALU_DEP_1)
	v_fmac_f32_e32 v3, 0x4f800000, v5
	v_rcp_f32_e32 v3, v3
	s_waitcnt_depctr 0xfff
	v_mul_f32_e32 v3, 0x5f7ffffc, v3
	s_delay_alu instid0(VALU_DEP_1) | instskip(NEXT) | instid1(VALU_DEP_1)
	v_mul_f32_e32 v5, 0x2f800000, v3
	v_trunc_f32_e32 v5, v5
	s_delay_alu instid0(VALU_DEP_1) | instskip(SKIP_1) | instid1(VALU_DEP_2)
	v_fmac_f32_e32 v3, 0xcf800000, v5
	v_cvt_u32_f32_e32 v5, v5
	v_cvt_u32_f32_e32 v3, v3
	s_delay_alu instid0(VALU_DEP_2) | instskip(NEXT) | instid1(VALU_DEP_2)
	v_mul_lo_u32 v7, s0, v5
	v_mul_hi_u32 v10, s0, v3
	v_mul_lo_u32 v11, s17, v3
	s_delay_alu instid0(VALU_DEP_2) | instskip(SKIP_1) | instid1(VALU_DEP_2)
	v_add_nc_u32_e32 v7, v10, v7
	v_mul_lo_u32 v10, s0, v3
	v_add_nc_u32_e32 v7, v7, v11
	s_delay_alu instid0(VALU_DEP_2) | instskip(NEXT) | instid1(VALU_DEP_2)
	v_mul_hi_u32 v11, v3, v10
	v_mul_lo_u32 v12, v3, v7
	v_mul_hi_u32 v13, v3, v7
	v_mul_hi_u32 v14, v5, v10
	v_mul_lo_u32 v10, v5, v10
	v_mul_hi_u32 v15, v5, v7
	v_mul_lo_u32 v7, v5, v7
	v_add_co_u32 v11, vcc_lo, v11, v12
	v_add_co_ci_u32_e32 v12, vcc_lo, 0, v13, vcc_lo
	s_delay_alu instid0(VALU_DEP_2) | instskip(NEXT) | instid1(VALU_DEP_2)
	v_add_co_u32 v10, vcc_lo, v11, v10
	v_add_co_ci_u32_e32 v10, vcc_lo, v12, v14, vcc_lo
	v_add_co_ci_u32_e32 v11, vcc_lo, 0, v15, vcc_lo
	v_ashrrev_i32_e32 v15, 31, v9
	s_delay_alu instid0(VALU_DEP_3) | instskip(NEXT) | instid1(VALU_DEP_3)
	v_add_co_u32 v7, vcc_lo, v10, v7
	v_add_co_ci_u32_e32 v10, vcc_lo, 0, v11, vcc_lo
	s_delay_alu instid0(VALU_DEP_2) | instskip(NEXT) | instid1(VALU_DEP_2)
	v_add_co_u32 v3, vcc_lo, v3, v7
	v_add_co_ci_u32_e32 v5, vcc_lo, v5, v10, vcc_lo
	s_delay_alu instid0(VALU_DEP_2) | instskip(SKIP_1) | instid1(VALU_DEP_3)
	v_mul_hi_u32 v7, s0, v3
	v_mul_lo_u32 v11, s17, v3
	v_mul_lo_u32 v10, s0, v5
	s_delay_alu instid0(VALU_DEP_1) | instskip(SKIP_1) | instid1(VALU_DEP_2)
	v_add_nc_u32_e32 v7, v7, v10
	v_mul_lo_u32 v10, s0, v3
	v_add_nc_u32_e32 v7, v7, v11
	s_delay_alu instid0(VALU_DEP_2) | instskip(NEXT) | instid1(VALU_DEP_2)
	v_mul_hi_u32 v11, v3, v10
	v_mul_lo_u32 v12, v3, v7
	v_mul_hi_u32 v13, v3, v7
	v_mul_hi_u32 v14, v5, v10
	v_mul_lo_u32 v10, v5, v10
	v_mul_hi_u32 v16, v5, v7
	v_mul_lo_u32 v7, v5, v7
	v_add_co_u32 v11, vcc_lo, v11, v12
	v_add_co_ci_u32_e32 v12, vcc_lo, 0, v13, vcc_lo
	s_delay_alu instid0(VALU_DEP_2) | instskip(NEXT) | instid1(VALU_DEP_2)
	v_add_co_u32 v10, vcc_lo, v11, v10
	v_add_co_ci_u32_e32 v10, vcc_lo, v12, v14, vcc_lo
	v_add_co_ci_u32_e32 v11, vcc_lo, 0, v16, vcc_lo
	v_add_co_u32 v12, vcc_lo, v8, v15
	v_add_co_ci_u32_e32 v9, vcc_lo, v9, v15, vcc_lo
	s_delay_alu instid0(VALU_DEP_4) | instskip(NEXT) | instid1(VALU_DEP_4)
	v_add_co_u32 v7, vcc_lo, v10, v7
	v_add_co_ci_u32_e32 v10, vcc_lo, 0, v11, vcc_lo
	s_delay_alu instid0(VALU_DEP_4) | instskip(NEXT) | instid1(VALU_DEP_3)
	v_xor_b32_e32 v16, v12, v15
	v_add_co_u32 v3, vcc_lo, v3, v7
	s_delay_alu instid0(VALU_DEP_3) | instskip(SKIP_1) | instid1(VALU_DEP_3)
	v_add_co_ci_u32_e32 v5, vcc_lo, v5, v10, vcc_lo
	v_xor_b32_e32 v7, v9, v15
	v_mul_hi_u32 v17, v16, v3
	s_delay_alu instid0(VALU_DEP_3) | instskip(NEXT) | instid1(VALU_DEP_3)
	v_mad_u64_u32 v[9:10], null, v16, v5, 0
	v_mad_u64_u32 v[11:12], null, v7, v3, 0
	;; [unrolled: 1-line block ×3, first 2 shown]
	s_delay_alu instid0(VALU_DEP_3) | instskip(NEXT) | instid1(VALU_DEP_4)
	v_add_co_u32 v3, vcc_lo, v17, v9
	v_add_co_ci_u32_e32 v5, vcc_lo, 0, v10, vcc_lo
	s_delay_alu instid0(VALU_DEP_2) | instskip(NEXT) | instid1(VALU_DEP_2)
	v_add_co_u32 v3, vcc_lo, v3, v11
	v_add_co_ci_u32_e32 v3, vcc_lo, v5, v12, vcc_lo
	v_add_co_ci_u32_e32 v5, vcc_lo, 0, v14, vcc_lo
	s_delay_alu instid0(VALU_DEP_2) | instskip(NEXT) | instid1(VALU_DEP_2)
	v_add_co_u32 v3, vcc_lo, v3, v13
	v_add_co_ci_u32_e32 v5, vcc_lo, 0, v5, vcc_lo
	s_delay_alu instid0(VALU_DEP_2) | instskip(SKIP_1) | instid1(VALU_DEP_3)
	v_mul_lo_u32 v11, s23, v3
	v_mad_u64_u32 v[9:10], null, s22, v3, 0
	v_mul_lo_u32 v12, s22, v5
	s_delay_alu instid0(VALU_DEP_2) | instskip(NEXT) | instid1(VALU_DEP_2)
	v_sub_co_u32 v9, vcc_lo, v16, v9
	v_add3_u32 v10, v10, v12, v11
	s_delay_alu instid0(VALU_DEP_1) | instskip(NEXT) | instid1(VALU_DEP_1)
	v_sub_nc_u32_e32 v11, v7, v10
	v_subrev_co_ci_u32_e64 v11, s0, s23, v11, vcc_lo
	v_add_co_u32 v12, s0, v3, 2
	s_delay_alu instid0(VALU_DEP_1) | instskip(SKIP_3) | instid1(VALU_DEP_3)
	v_add_co_ci_u32_e64 v13, s0, 0, v5, s0
	v_sub_co_u32 v14, s0, v9, s22
	v_sub_co_ci_u32_e32 v7, vcc_lo, v7, v10, vcc_lo
	v_subrev_co_ci_u32_e64 v11, s0, 0, v11, s0
	v_cmp_le_u32_e32 vcc_lo, s22, v14
	s_delay_alu instid0(VALU_DEP_3) | instskip(SKIP_1) | instid1(VALU_DEP_4)
	v_cmp_eq_u32_e64 s0, s23, v7
	v_cndmask_b32_e64 v10, 0, -1, vcc_lo
	v_cmp_le_u32_e32 vcc_lo, s23, v11
	v_cndmask_b32_e64 v14, 0, -1, vcc_lo
	v_cmp_le_u32_e32 vcc_lo, s22, v9
	;; [unrolled: 2-line block ×3, first 2 shown]
	v_cndmask_b32_e64 v16, 0, -1, vcc_lo
	v_cmp_eq_u32_e32 vcc_lo, s23, v11
	s_delay_alu instid0(VALU_DEP_2) | instskip(SKIP_3) | instid1(VALU_DEP_3)
	v_cndmask_b32_e64 v7, v16, v9, s0
	v_cndmask_b32_e32 v10, v14, v10, vcc_lo
	v_add_co_u32 v11, vcc_lo, v3, 1
	v_add_co_ci_u32_e32 v14, vcc_lo, 0, v5, vcc_lo
	v_cmp_ne_u32_e32 vcc_lo, 0, v10
	s_delay_alu instid0(VALU_DEP_2) | instskip(SKIP_2) | instid1(VALU_DEP_3)
	v_dual_cndmask_b32 v10, v11, v12 :: v_dual_cndmask_b32 v9, v14, v13
	v_cmp_ne_u32_e32 vcc_lo, 0, v7
	v_xor_b32_e32 v7, s20, v15
	v_cndmask_b32_e32 v3, v3, v10, vcc_lo
	s_delay_alu instid0(VALU_DEP_4) | instskip(SKIP_1) | instid1(VALU_DEP_3)
	v_cndmask_b32_e32 v5, v5, v9, vcc_lo
	v_xor_b32_e32 v9, s21, v15
	v_xor_b32_e32 v3, v3, v7
	s_delay_alu instid0(VALU_DEP_2) | instskip(NEXT) | instid1(VALU_DEP_2)
	v_xor_b32_e32 v5, v5, v9
	v_sub_co_u32 v10, vcc_lo, v3, v7
	s_delay_alu instid0(VALU_DEP_2)
	v_sub_co_ci_u32_e32 v11, vcc_lo, v5, v9, vcc_lo
.LBB68_30:                              ;   in Loop: Header=BB68_24 Depth=2
	s_and_not1_saveexec_b32 s0, s14
	s_cbranch_execz .LBB68_32
; %bb.31:                               ;   in Loop: Header=BB68_24 Depth=2
	v_cvt_f32_u32_e32 v3, s43
	s_sub_i32 s14, 0, s43
	v_mov_b32_e32 v11, v2
	s_delay_alu instid0(VALU_DEP_2) | instskip(SKIP_2) | instid1(VALU_DEP_1)
	v_rcp_iflag_f32_e32 v3, v3
	s_waitcnt_depctr 0xfff
	v_mul_f32_e32 v3, 0x4f7ffffe, v3
	v_cvt_u32_f32_e32 v3, v3
	s_delay_alu instid0(VALU_DEP_1) | instskip(NEXT) | instid1(VALU_DEP_1)
	v_mul_lo_u32 v5, s14, v3
	v_mul_hi_u32 v5, v3, v5
	s_delay_alu instid0(VALU_DEP_1) | instskip(NEXT) | instid1(VALU_DEP_1)
	v_add_nc_u32_e32 v3, v3, v5
	v_mul_hi_u32 v3, v8, v3
	s_delay_alu instid0(VALU_DEP_1) | instskip(SKIP_1) | instid1(VALU_DEP_2)
	v_mul_lo_u32 v5, v3, s43
	v_add_nc_u32_e32 v7, 1, v3
	v_sub_nc_u32_e32 v5, v8, v5
	s_delay_alu instid0(VALU_DEP_1) | instskip(SKIP_1) | instid1(VALU_DEP_4)
	v_cmp_le_u32_e32 vcc_lo, s43, v5
	v_subrev_nc_u32_e32 v9, s43, v5
	v_cndmask_b32_e32 v3, v3, v7, vcc_lo
	s_delay_alu instid0(VALU_DEP_1) | instskip(NEXT) | instid1(VALU_DEP_3)
	v_add_nc_u32_e32 v7, 1, v3
	v_cndmask_b32_e32 v5, v5, v9, vcc_lo
	s_delay_alu instid0(VALU_DEP_1) | instskip(NEXT) | instid1(VALU_DEP_3)
	v_cmp_le_u32_e32 vcc_lo, s43, v5
	v_cndmask_b32_e32 v10, v3, v7, vcc_lo
.LBB68_32:                              ;   in Loop: Header=BB68_24 Depth=2
	s_or_b32 exec_lo, exec_lo, s0
	s_add_u32 s20, s30, s18
	s_addc_u32 s21, s1, s19
	s_add_i32 s14, s16, 5
                                        ; implicit-def: $vgpr12_vgpr13
	s_delay_alu instid0(SALU_CYCLE_1)
	s_lshl_b64 s[18:19], s[14:15], 2
	s_mov_b32 s14, exec_lo
	s_add_u32 s22, s26, s18
	s_addc_u32 s23, s27, s19
	s_clause 0x1
	s_load_b32 s45, s[22:23], 0x0
	s_load_b32 s44, s[20:21], 0x0
	s_waitcnt lgkmcnt(0)
	s_ashr_i32 s0, s45, 31
	s_delay_alu instid0(SALU_CYCLE_1) | instskip(NEXT) | instid1(VALU_DEP_1)
	v_or_b32_e32 v3, s0, v11
	v_cmpx_ne_u64_e32 0, v[2:3]
	s_xor_b32 s14, exec_lo, s14
	s_cbranch_execz .LBB68_34
; %bb.33:                               ;   in Loop: Header=BB68_24 Depth=2
	s_add_u32 s22, s45, s0
	s_mov_b32 s20, s0
	s_mov_b32 s21, s0
	s_addc_u32 s23, s0, s0
	v_ashrrev_i32_e32 v17, 31, v11
	s_xor_b64 s[22:23], s[22:23], s[20:21]
	s_delay_alu instid0(SALU_CYCLE_1) | instskip(SKIP_3) | instid1(VALU_DEP_1)
	v_cvt_f32_u32_e32 v3, s22
	v_cvt_f32_u32_e32 v5, s23
	s_sub_u32 s0, 0, s22
	s_subb_u32 s17, 0, s23
	v_fmac_f32_e32 v3, 0x4f800000, v5
	s_delay_alu instid0(VALU_DEP_1) | instskip(SKIP_2) | instid1(VALU_DEP_1)
	v_rcp_f32_e32 v3, v3
	s_waitcnt_depctr 0xfff
	v_mul_f32_e32 v3, 0x5f7ffffc, v3
	v_mul_f32_e32 v5, 0x2f800000, v3
	s_delay_alu instid0(VALU_DEP_1) | instskip(NEXT) | instid1(VALU_DEP_1)
	v_trunc_f32_e32 v5, v5
	v_fmac_f32_e32 v3, 0xcf800000, v5
	v_cvt_u32_f32_e32 v5, v5
	s_delay_alu instid0(VALU_DEP_2) | instskip(NEXT) | instid1(VALU_DEP_2)
	v_cvt_u32_f32_e32 v3, v3
	v_mul_lo_u32 v7, s0, v5
	s_delay_alu instid0(VALU_DEP_2) | instskip(SKIP_1) | instid1(VALU_DEP_2)
	v_mul_hi_u32 v9, s0, v3
	v_mul_lo_u32 v12, s17, v3
	v_add_nc_u32_e32 v7, v9, v7
	v_mul_lo_u32 v9, s0, v3
	s_delay_alu instid0(VALU_DEP_2) | instskip(NEXT) | instid1(VALU_DEP_2)
	v_add_nc_u32_e32 v7, v7, v12
	v_mul_hi_u32 v12, v3, v9
	s_delay_alu instid0(VALU_DEP_2)
	v_mul_lo_u32 v13, v3, v7
	v_mul_hi_u32 v14, v3, v7
	v_mul_hi_u32 v15, v5, v9
	v_mul_lo_u32 v9, v5, v9
	v_mul_hi_u32 v16, v5, v7
	v_mul_lo_u32 v7, v5, v7
	v_add_co_u32 v12, vcc_lo, v12, v13
	v_add_co_ci_u32_e32 v13, vcc_lo, 0, v14, vcc_lo
	s_delay_alu instid0(VALU_DEP_2) | instskip(NEXT) | instid1(VALU_DEP_2)
	v_add_co_u32 v9, vcc_lo, v12, v9
	v_add_co_ci_u32_e32 v9, vcc_lo, v13, v15, vcc_lo
	v_add_co_ci_u32_e32 v12, vcc_lo, 0, v16, vcc_lo
	s_delay_alu instid0(VALU_DEP_2) | instskip(NEXT) | instid1(VALU_DEP_2)
	v_add_co_u32 v7, vcc_lo, v9, v7
	v_add_co_ci_u32_e32 v9, vcc_lo, 0, v12, vcc_lo
	s_delay_alu instid0(VALU_DEP_2) | instskip(NEXT) | instid1(VALU_DEP_2)
	v_add_co_u32 v3, vcc_lo, v3, v7
	v_add_co_ci_u32_e32 v5, vcc_lo, v5, v9, vcc_lo
	s_delay_alu instid0(VALU_DEP_2) | instskip(SKIP_1) | instid1(VALU_DEP_3)
	v_mul_hi_u32 v7, s0, v3
	v_mul_lo_u32 v12, s17, v3
	v_mul_lo_u32 v9, s0, v5
	s_delay_alu instid0(VALU_DEP_1) | instskip(SKIP_1) | instid1(VALU_DEP_2)
	v_add_nc_u32_e32 v7, v7, v9
	v_mul_lo_u32 v9, s0, v3
	v_add_nc_u32_e32 v7, v7, v12
	s_delay_alu instid0(VALU_DEP_2) | instskip(NEXT) | instid1(VALU_DEP_2)
	v_mul_hi_u32 v12, v3, v9
	v_mul_lo_u32 v13, v3, v7
	v_mul_hi_u32 v14, v3, v7
	v_mul_hi_u32 v15, v5, v9
	v_mul_lo_u32 v9, v5, v9
	v_mul_hi_u32 v16, v5, v7
	v_mul_lo_u32 v7, v5, v7
	v_add_co_u32 v12, vcc_lo, v12, v13
	v_add_co_ci_u32_e32 v13, vcc_lo, 0, v14, vcc_lo
	s_delay_alu instid0(VALU_DEP_2) | instskip(NEXT) | instid1(VALU_DEP_2)
	v_add_co_u32 v9, vcc_lo, v12, v9
	v_add_co_ci_u32_e32 v9, vcc_lo, v13, v15, vcc_lo
	v_add_co_ci_u32_e32 v12, vcc_lo, 0, v16, vcc_lo
	v_add_co_u32 v13, vcc_lo, v10, v17
	v_add_co_ci_u32_e32 v11, vcc_lo, v11, v17, vcc_lo
	s_delay_alu instid0(VALU_DEP_4) | instskip(NEXT) | instid1(VALU_DEP_4)
	v_add_co_u32 v7, vcc_lo, v9, v7
	v_add_co_ci_u32_e32 v9, vcc_lo, 0, v12, vcc_lo
	s_delay_alu instid0(VALU_DEP_4) | instskip(NEXT) | instid1(VALU_DEP_3)
	v_xor_b32_e32 v18, v13, v17
	v_add_co_u32 v3, vcc_lo, v3, v7
	s_delay_alu instid0(VALU_DEP_3) | instskip(SKIP_1) | instid1(VALU_DEP_3)
	v_add_co_ci_u32_e32 v5, vcc_lo, v5, v9, vcc_lo
	v_xor_b32_e32 v7, v11, v17
	v_mul_hi_u32 v9, v18, v3
	s_delay_alu instid0(VALU_DEP_3) | instskip(NEXT) | instid1(VALU_DEP_3)
	v_mad_u64_u32 v[11:12], null, v18, v5, 0
	v_mad_u64_u32 v[13:14], null, v7, v3, 0
	;; [unrolled: 1-line block ×3, first 2 shown]
	s_delay_alu instid0(VALU_DEP_3) | instskip(NEXT) | instid1(VALU_DEP_4)
	v_add_co_u32 v3, vcc_lo, v9, v11
	v_add_co_ci_u32_e32 v5, vcc_lo, 0, v12, vcc_lo
	s_delay_alu instid0(VALU_DEP_2) | instskip(NEXT) | instid1(VALU_DEP_2)
	v_add_co_u32 v3, vcc_lo, v3, v13
	v_add_co_ci_u32_e32 v3, vcc_lo, v5, v14, vcc_lo
	v_add_co_ci_u32_e32 v5, vcc_lo, 0, v16, vcc_lo
	s_delay_alu instid0(VALU_DEP_2) | instskip(NEXT) | instid1(VALU_DEP_2)
	v_add_co_u32 v3, vcc_lo, v3, v15
	v_add_co_ci_u32_e32 v5, vcc_lo, 0, v5, vcc_lo
	s_delay_alu instid0(VALU_DEP_2) | instskip(SKIP_1) | instid1(VALU_DEP_3)
	v_mul_lo_u32 v9, s23, v3
	v_mad_u64_u32 v[11:12], null, s22, v3, 0
	v_mul_lo_u32 v13, s22, v5
	s_delay_alu instid0(VALU_DEP_2) | instskip(NEXT) | instid1(VALU_DEP_2)
	v_sub_co_u32 v11, vcc_lo, v18, v11
	v_add3_u32 v9, v12, v13, v9
	s_delay_alu instid0(VALU_DEP_1) | instskip(NEXT) | instid1(VALU_DEP_1)
	v_sub_nc_u32_e32 v12, v7, v9
	v_subrev_co_ci_u32_e64 v12, s0, s23, v12, vcc_lo
	v_add_co_u32 v13, s0, v3, 2
	s_delay_alu instid0(VALU_DEP_1) | instskip(SKIP_3) | instid1(VALU_DEP_3)
	v_add_co_ci_u32_e64 v14, s0, 0, v5, s0
	v_sub_co_u32 v15, s0, v11, s22
	v_sub_co_ci_u32_e32 v7, vcc_lo, v7, v9, vcc_lo
	v_subrev_co_ci_u32_e64 v12, s0, 0, v12, s0
	v_cmp_le_u32_e32 vcc_lo, s22, v15
	s_delay_alu instid0(VALU_DEP_3) | instskip(SKIP_1) | instid1(VALU_DEP_4)
	v_cmp_eq_u32_e64 s0, s23, v7
	v_cndmask_b32_e64 v9, 0, -1, vcc_lo
	v_cmp_le_u32_e32 vcc_lo, s23, v12
	v_cndmask_b32_e64 v15, 0, -1, vcc_lo
	v_cmp_le_u32_e32 vcc_lo, s22, v11
	;; [unrolled: 2-line block ×3, first 2 shown]
	v_cndmask_b32_e64 v16, 0, -1, vcc_lo
	v_cmp_eq_u32_e32 vcc_lo, s23, v12
	s_delay_alu instid0(VALU_DEP_2) | instskip(SKIP_3) | instid1(VALU_DEP_3)
	v_cndmask_b32_e64 v7, v16, v11, s0
	v_cndmask_b32_e32 v9, v15, v9, vcc_lo
	v_add_co_u32 v12, vcc_lo, v3, 1
	v_add_co_ci_u32_e32 v15, vcc_lo, 0, v5, vcc_lo
	v_cmp_ne_u32_e32 vcc_lo, 0, v9
	s_delay_alu instid0(VALU_DEP_2) | instskip(NEXT) | instid1(VALU_DEP_4)
	v_cndmask_b32_e32 v9, v15, v14, vcc_lo
	v_cndmask_b32_e32 v11, v12, v13, vcc_lo
	v_cmp_ne_u32_e32 vcc_lo, 0, v7
	v_xor_b32_e32 v7, s20, v17
	s_delay_alu instid0(VALU_DEP_3) | instskip(SKIP_2) | instid1(VALU_DEP_3)
	v_cndmask_b32_e32 v3, v3, v11, vcc_lo
	v_cndmask_b32_e32 v5, v5, v9, vcc_lo
	v_xor_b32_e32 v9, s21, v17
	v_xor_b32_e32 v3, v3, v7
	s_delay_alu instid0(VALU_DEP_2) | instskip(NEXT) | instid1(VALU_DEP_2)
	v_xor_b32_e32 v5, v5, v9
	v_sub_co_u32 v12, vcc_lo, v3, v7
	s_delay_alu instid0(VALU_DEP_2)
	v_sub_co_ci_u32_e32 v13, vcc_lo, v5, v9, vcc_lo
.LBB68_34:                              ;   in Loop: Header=BB68_24 Depth=2
	s_and_not1_saveexec_b32 s0, s14
	s_cbranch_execz .LBB68_36
; %bb.35:                               ;   in Loop: Header=BB68_24 Depth=2
	v_cvt_f32_u32_e32 v3, s45
	s_sub_i32 s14, 0, s45
	v_mov_b32_e32 v13, v2
	s_delay_alu instid0(VALU_DEP_2) | instskip(SKIP_2) | instid1(VALU_DEP_1)
	v_rcp_iflag_f32_e32 v3, v3
	s_waitcnt_depctr 0xfff
	v_mul_f32_e32 v3, 0x4f7ffffe, v3
	v_cvt_u32_f32_e32 v3, v3
	s_delay_alu instid0(VALU_DEP_1) | instskip(NEXT) | instid1(VALU_DEP_1)
	v_mul_lo_u32 v5, s14, v3
	v_mul_hi_u32 v5, v3, v5
	s_delay_alu instid0(VALU_DEP_1) | instskip(NEXT) | instid1(VALU_DEP_1)
	v_add_nc_u32_e32 v3, v3, v5
	v_mul_hi_u32 v3, v10, v3
	s_delay_alu instid0(VALU_DEP_1) | instskip(SKIP_1) | instid1(VALU_DEP_2)
	v_mul_lo_u32 v5, v3, s45
	v_add_nc_u32_e32 v7, 1, v3
	v_sub_nc_u32_e32 v5, v10, v5
	s_delay_alu instid0(VALU_DEP_1) | instskip(SKIP_1) | instid1(VALU_DEP_4)
	v_cmp_le_u32_e32 vcc_lo, s45, v5
	v_subrev_nc_u32_e32 v9, s45, v5
	v_cndmask_b32_e32 v3, v3, v7, vcc_lo
	s_delay_alu instid0(VALU_DEP_1) | instskip(NEXT) | instid1(VALU_DEP_3)
	v_add_nc_u32_e32 v7, 1, v3
	v_cndmask_b32_e32 v5, v5, v9, vcc_lo
	s_delay_alu instid0(VALU_DEP_1) | instskip(NEXT) | instid1(VALU_DEP_3)
	v_cmp_le_u32_e32 vcc_lo, s45, v5
	v_cndmask_b32_e32 v12, v3, v7, vcc_lo
.LBB68_36:                              ;   in Loop: Header=BB68_24 Depth=2
	s_or_b32 exec_lo, exec_lo, s0
	s_add_u32 s20, s30, s18
	s_addc_u32 s21, s1, s19
	s_add_i32 s14, s16, 4
                                        ; implicit-def: $vgpr14_vgpr15
	s_delay_alu instid0(SALU_CYCLE_1)
	s_lshl_b64 s[18:19], s[14:15], 2
	s_mov_b32 s14, exec_lo
	s_add_u32 s22, s26, s18
	s_addc_u32 s23, s27, s19
	s_clause 0x1
	s_load_b32 s47, s[22:23], 0x0
	s_load_b32 s46, s[20:21], 0x0
	s_waitcnt lgkmcnt(0)
	s_ashr_i32 s0, s47, 31
	s_delay_alu instid0(SALU_CYCLE_1) | instskip(NEXT) | instid1(VALU_DEP_1)
	v_or_b32_e32 v3, s0, v13
	v_cmpx_ne_u64_e32 0, v[2:3]
	s_xor_b32 s14, exec_lo, s14
	s_cbranch_execz .LBB68_38
; %bb.37:                               ;   in Loop: Header=BB68_24 Depth=2
	s_add_u32 s22, s47, s0
	s_mov_b32 s20, s0
	s_mov_b32 s21, s0
	s_addc_u32 s23, s0, s0
	v_ashrrev_i32_e32 v19, 31, v13
	s_xor_b64 s[22:23], s[22:23], s[20:21]
	s_delay_alu instid0(SALU_CYCLE_1) | instskip(SKIP_3) | instid1(VALU_DEP_1)
	v_cvt_f32_u32_e32 v3, s22
	v_cvt_f32_u32_e32 v5, s23
	s_sub_u32 s0, 0, s22
	s_subb_u32 s17, 0, s23
	v_fmac_f32_e32 v3, 0x4f800000, v5
	s_delay_alu instid0(VALU_DEP_1) | instskip(SKIP_2) | instid1(VALU_DEP_1)
	v_rcp_f32_e32 v3, v3
	s_waitcnt_depctr 0xfff
	v_mul_f32_e32 v3, 0x5f7ffffc, v3
	v_mul_f32_e32 v5, 0x2f800000, v3
	s_delay_alu instid0(VALU_DEP_1) | instskip(NEXT) | instid1(VALU_DEP_1)
	v_trunc_f32_e32 v5, v5
	v_fmac_f32_e32 v3, 0xcf800000, v5
	v_cvt_u32_f32_e32 v5, v5
	s_delay_alu instid0(VALU_DEP_2) | instskip(NEXT) | instid1(VALU_DEP_2)
	v_cvt_u32_f32_e32 v3, v3
	v_mul_lo_u32 v7, s0, v5
	s_delay_alu instid0(VALU_DEP_2) | instskip(SKIP_1) | instid1(VALU_DEP_2)
	v_mul_hi_u32 v9, s0, v3
	v_mul_lo_u32 v11, s17, v3
	v_add_nc_u32_e32 v7, v9, v7
	v_mul_lo_u32 v9, s0, v3
	s_delay_alu instid0(VALU_DEP_2) | instskip(NEXT) | instid1(VALU_DEP_2)
	v_add_nc_u32_e32 v7, v7, v11
	v_mul_hi_u32 v11, v3, v9
	s_delay_alu instid0(VALU_DEP_2)
	v_mul_lo_u32 v14, v3, v7
	v_mul_hi_u32 v15, v3, v7
	v_mul_hi_u32 v16, v5, v9
	v_mul_lo_u32 v9, v5, v9
	v_mul_hi_u32 v17, v5, v7
	v_mul_lo_u32 v7, v5, v7
	v_add_co_u32 v11, vcc_lo, v11, v14
	v_add_co_ci_u32_e32 v14, vcc_lo, 0, v15, vcc_lo
	s_delay_alu instid0(VALU_DEP_2) | instskip(NEXT) | instid1(VALU_DEP_2)
	v_add_co_u32 v9, vcc_lo, v11, v9
	v_add_co_ci_u32_e32 v9, vcc_lo, v14, v16, vcc_lo
	v_add_co_ci_u32_e32 v11, vcc_lo, 0, v17, vcc_lo
	s_delay_alu instid0(VALU_DEP_2) | instskip(NEXT) | instid1(VALU_DEP_2)
	v_add_co_u32 v7, vcc_lo, v9, v7
	v_add_co_ci_u32_e32 v9, vcc_lo, 0, v11, vcc_lo
	s_delay_alu instid0(VALU_DEP_2) | instskip(NEXT) | instid1(VALU_DEP_2)
	v_add_co_u32 v3, vcc_lo, v3, v7
	v_add_co_ci_u32_e32 v5, vcc_lo, v5, v9, vcc_lo
	s_delay_alu instid0(VALU_DEP_2) | instskip(SKIP_1) | instid1(VALU_DEP_3)
	v_mul_hi_u32 v7, s0, v3
	v_mul_lo_u32 v11, s17, v3
	v_mul_lo_u32 v9, s0, v5
	s_delay_alu instid0(VALU_DEP_1) | instskip(SKIP_1) | instid1(VALU_DEP_2)
	v_add_nc_u32_e32 v7, v7, v9
	v_mul_lo_u32 v9, s0, v3
	v_add_nc_u32_e32 v7, v7, v11
	s_delay_alu instid0(VALU_DEP_2) | instskip(NEXT) | instid1(VALU_DEP_2)
	v_mul_hi_u32 v11, v3, v9
	v_mul_lo_u32 v14, v3, v7
	v_mul_hi_u32 v15, v3, v7
	v_mul_hi_u32 v16, v5, v9
	v_mul_lo_u32 v9, v5, v9
	v_mul_hi_u32 v17, v5, v7
	v_mul_lo_u32 v7, v5, v7
	v_add_co_u32 v11, vcc_lo, v11, v14
	v_add_co_ci_u32_e32 v14, vcc_lo, 0, v15, vcc_lo
	s_delay_alu instid0(VALU_DEP_2) | instskip(NEXT) | instid1(VALU_DEP_2)
	v_add_co_u32 v9, vcc_lo, v11, v9
	v_add_co_ci_u32_e32 v9, vcc_lo, v14, v16, vcc_lo
	v_add_co_ci_u32_e32 v11, vcc_lo, 0, v17, vcc_lo
	v_add_co_u32 v14, vcc_lo, v12, v19
	v_add_co_ci_u32_e32 v13, vcc_lo, v13, v19, vcc_lo
	s_delay_alu instid0(VALU_DEP_4) | instskip(NEXT) | instid1(VALU_DEP_4)
	v_add_co_u32 v7, vcc_lo, v9, v7
	v_add_co_ci_u32_e32 v9, vcc_lo, 0, v11, vcc_lo
	s_delay_alu instid0(VALU_DEP_4) | instskip(NEXT) | instid1(VALU_DEP_3)
	v_xor_b32_e32 v11, v14, v19
	v_add_co_u32 v3, vcc_lo, v3, v7
	s_delay_alu instid0(VALU_DEP_3) | instskip(SKIP_1) | instid1(VALU_DEP_3)
	v_add_co_ci_u32_e32 v5, vcc_lo, v5, v9, vcc_lo
	v_xor_b32_e32 v7, v13, v19
	v_mul_hi_u32 v9, v11, v3
	s_delay_alu instid0(VALU_DEP_3) | instskip(NEXT) | instid1(VALU_DEP_3)
	v_mad_u64_u32 v[13:14], null, v11, v5, 0
	v_mad_u64_u32 v[15:16], null, v7, v3, 0
	;; [unrolled: 1-line block ×3, first 2 shown]
	s_delay_alu instid0(VALU_DEP_3) | instskip(NEXT) | instid1(VALU_DEP_4)
	v_add_co_u32 v3, vcc_lo, v9, v13
	v_add_co_ci_u32_e32 v5, vcc_lo, 0, v14, vcc_lo
	s_delay_alu instid0(VALU_DEP_2) | instskip(NEXT) | instid1(VALU_DEP_2)
	v_add_co_u32 v3, vcc_lo, v3, v15
	v_add_co_ci_u32_e32 v3, vcc_lo, v5, v16, vcc_lo
	v_add_co_ci_u32_e32 v5, vcc_lo, 0, v18, vcc_lo
	s_delay_alu instid0(VALU_DEP_2) | instskip(NEXT) | instid1(VALU_DEP_2)
	v_add_co_u32 v3, vcc_lo, v3, v17
	v_add_co_ci_u32_e32 v5, vcc_lo, 0, v5, vcc_lo
	s_delay_alu instid0(VALU_DEP_2) | instskip(SKIP_1) | instid1(VALU_DEP_3)
	v_mul_lo_u32 v9, s23, v3
	v_mad_u64_u32 v[13:14], null, s22, v3, 0
	v_mul_lo_u32 v15, s22, v5
	s_delay_alu instid0(VALU_DEP_2) | instskip(NEXT) | instid1(VALU_DEP_2)
	v_sub_co_u32 v11, vcc_lo, v11, v13
	v_add3_u32 v9, v14, v15, v9
	s_delay_alu instid0(VALU_DEP_1) | instskip(NEXT) | instid1(VALU_DEP_1)
	v_sub_nc_u32_e32 v14, v7, v9
	v_subrev_co_ci_u32_e64 v13, s0, s23, v14, vcc_lo
	v_add_co_u32 v14, s0, v3, 2
	s_delay_alu instid0(VALU_DEP_1) | instskip(SKIP_3) | instid1(VALU_DEP_3)
	v_add_co_ci_u32_e64 v15, s0, 0, v5, s0
	v_sub_co_u32 v16, s0, v11, s22
	v_sub_co_ci_u32_e32 v7, vcc_lo, v7, v9, vcc_lo
	v_subrev_co_ci_u32_e64 v13, s0, 0, v13, s0
	v_cmp_le_u32_e32 vcc_lo, s22, v16
	s_delay_alu instid0(VALU_DEP_3) | instskip(SKIP_1) | instid1(VALU_DEP_4)
	v_cmp_eq_u32_e64 s0, s23, v7
	v_cndmask_b32_e64 v9, 0, -1, vcc_lo
	v_cmp_le_u32_e32 vcc_lo, s23, v13
	v_cndmask_b32_e64 v16, 0, -1, vcc_lo
	v_cmp_le_u32_e32 vcc_lo, s22, v11
	;; [unrolled: 2-line block ×3, first 2 shown]
	v_cndmask_b32_e64 v17, 0, -1, vcc_lo
	v_cmp_eq_u32_e32 vcc_lo, s23, v13
	s_delay_alu instid0(VALU_DEP_2) | instskip(SKIP_3) | instid1(VALU_DEP_3)
	v_cndmask_b32_e64 v7, v17, v11, s0
	v_cndmask_b32_e32 v9, v16, v9, vcc_lo
	v_add_co_u32 v13, vcc_lo, v3, 1
	v_add_co_ci_u32_e32 v16, vcc_lo, 0, v5, vcc_lo
	v_cmp_ne_u32_e32 vcc_lo, 0, v9
	s_delay_alu instid0(VALU_DEP_2) | instskip(NEXT) | instid1(VALU_DEP_4)
	v_cndmask_b32_e32 v9, v16, v15, vcc_lo
	v_cndmask_b32_e32 v11, v13, v14, vcc_lo
	v_cmp_ne_u32_e32 vcc_lo, 0, v7
	v_xor_b32_e32 v7, s20, v19
	s_delay_alu instid0(VALU_DEP_3) | instskip(SKIP_2) | instid1(VALU_DEP_3)
	v_cndmask_b32_e32 v3, v3, v11, vcc_lo
	v_cndmask_b32_e32 v5, v5, v9, vcc_lo
	v_xor_b32_e32 v9, s21, v19
	v_xor_b32_e32 v3, v3, v7
	s_delay_alu instid0(VALU_DEP_2) | instskip(NEXT) | instid1(VALU_DEP_2)
	v_xor_b32_e32 v5, v5, v9
	v_sub_co_u32 v14, vcc_lo, v3, v7
	s_delay_alu instid0(VALU_DEP_2)
	v_sub_co_ci_u32_e32 v15, vcc_lo, v5, v9, vcc_lo
.LBB68_38:                              ;   in Loop: Header=BB68_24 Depth=2
	s_and_not1_saveexec_b32 s0, s14
	s_cbranch_execz .LBB68_40
; %bb.39:                               ;   in Loop: Header=BB68_24 Depth=2
	v_cvt_f32_u32_e32 v3, s47
	s_sub_i32 s14, 0, s47
	v_mov_b32_e32 v15, v2
	s_delay_alu instid0(VALU_DEP_2) | instskip(SKIP_2) | instid1(VALU_DEP_1)
	v_rcp_iflag_f32_e32 v3, v3
	s_waitcnt_depctr 0xfff
	v_mul_f32_e32 v3, 0x4f7ffffe, v3
	v_cvt_u32_f32_e32 v3, v3
	s_delay_alu instid0(VALU_DEP_1) | instskip(NEXT) | instid1(VALU_DEP_1)
	v_mul_lo_u32 v5, s14, v3
	v_mul_hi_u32 v5, v3, v5
	s_delay_alu instid0(VALU_DEP_1) | instskip(NEXT) | instid1(VALU_DEP_1)
	v_add_nc_u32_e32 v3, v3, v5
	v_mul_hi_u32 v3, v12, v3
	s_delay_alu instid0(VALU_DEP_1) | instskip(SKIP_1) | instid1(VALU_DEP_2)
	v_mul_lo_u32 v5, v3, s47
	v_add_nc_u32_e32 v7, 1, v3
	v_sub_nc_u32_e32 v5, v12, v5
	s_delay_alu instid0(VALU_DEP_1) | instskip(SKIP_1) | instid1(VALU_DEP_4)
	v_cmp_le_u32_e32 vcc_lo, s47, v5
	v_subrev_nc_u32_e32 v9, s47, v5
	v_cndmask_b32_e32 v3, v3, v7, vcc_lo
	s_delay_alu instid0(VALU_DEP_1) | instskip(NEXT) | instid1(VALU_DEP_3)
	v_add_nc_u32_e32 v7, 1, v3
	v_cndmask_b32_e32 v5, v5, v9, vcc_lo
	s_delay_alu instid0(VALU_DEP_1) | instskip(NEXT) | instid1(VALU_DEP_3)
	v_cmp_le_u32_e32 vcc_lo, s47, v5
	v_cndmask_b32_e32 v14, v3, v7, vcc_lo
.LBB68_40:                              ;   in Loop: Header=BB68_24 Depth=2
	s_or_b32 exec_lo, exec_lo, s0
	s_add_u32 s20, s30, s18
	s_addc_u32 s21, s1, s19
	s_add_i32 s14, s16, 3
                                        ; implicit-def: $vgpr16_vgpr17
	s_delay_alu instid0(SALU_CYCLE_1)
	s_lshl_b64 s[18:19], s[14:15], 2
	s_mov_b32 s14, exec_lo
	s_add_u32 s22, s26, s18
	s_addc_u32 s23, s27, s19
	s_clause 0x1
	s_load_b32 s49, s[22:23], 0x0
	s_load_b32 s48, s[20:21], 0x0
	s_waitcnt lgkmcnt(0)
	s_ashr_i32 s0, s49, 31
	s_delay_alu instid0(SALU_CYCLE_1) | instskip(NEXT) | instid1(VALU_DEP_1)
	v_or_b32_e32 v3, s0, v15
	v_cmpx_ne_u64_e32 0, v[2:3]
	s_xor_b32 s14, exec_lo, s14
	s_cbranch_execz .LBB68_42
; %bb.41:                               ;   in Loop: Header=BB68_24 Depth=2
	s_add_u32 s22, s49, s0
	s_mov_b32 s20, s0
	s_mov_b32 s21, s0
	s_addc_u32 s23, s0, s0
	v_ashrrev_i32_e32 v21, 31, v15
	s_xor_b64 s[22:23], s[22:23], s[20:21]
	s_delay_alu instid0(SALU_CYCLE_1) | instskip(SKIP_3) | instid1(VALU_DEP_1)
	v_cvt_f32_u32_e32 v3, s22
	v_cvt_f32_u32_e32 v5, s23
	s_sub_u32 s0, 0, s22
	s_subb_u32 s17, 0, s23
	v_fmac_f32_e32 v3, 0x4f800000, v5
	s_delay_alu instid0(VALU_DEP_1) | instskip(SKIP_2) | instid1(VALU_DEP_1)
	v_rcp_f32_e32 v3, v3
	s_waitcnt_depctr 0xfff
	v_mul_f32_e32 v3, 0x5f7ffffc, v3
	v_mul_f32_e32 v5, 0x2f800000, v3
	s_delay_alu instid0(VALU_DEP_1) | instskip(NEXT) | instid1(VALU_DEP_1)
	v_trunc_f32_e32 v5, v5
	v_fmac_f32_e32 v3, 0xcf800000, v5
	v_cvt_u32_f32_e32 v5, v5
	s_delay_alu instid0(VALU_DEP_2) | instskip(NEXT) | instid1(VALU_DEP_2)
	v_cvt_u32_f32_e32 v3, v3
	v_mul_lo_u32 v7, s0, v5
	s_delay_alu instid0(VALU_DEP_2) | instskip(SKIP_1) | instid1(VALU_DEP_2)
	v_mul_hi_u32 v9, s0, v3
	v_mul_lo_u32 v11, s17, v3
	v_add_nc_u32_e32 v7, v9, v7
	v_mul_lo_u32 v9, s0, v3
	s_delay_alu instid0(VALU_DEP_2) | instskip(NEXT) | instid1(VALU_DEP_2)
	v_add_nc_u32_e32 v7, v7, v11
	v_mul_hi_u32 v11, v3, v9
	s_delay_alu instid0(VALU_DEP_2)
	v_mul_lo_u32 v13, v3, v7
	v_mul_hi_u32 v16, v3, v7
	v_mul_hi_u32 v17, v5, v9
	v_mul_lo_u32 v9, v5, v9
	v_mul_hi_u32 v18, v5, v7
	v_mul_lo_u32 v7, v5, v7
	v_add_co_u32 v11, vcc_lo, v11, v13
	v_add_co_ci_u32_e32 v13, vcc_lo, 0, v16, vcc_lo
	s_delay_alu instid0(VALU_DEP_2) | instskip(NEXT) | instid1(VALU_DEP_2)
	v_add_co_u32 v9, vcc_lo, v11, v9
	v_add_co_ci_u32_e32 v9, vcc_lo, v13, v17, vcc_lo
	v_add_co_ci_u32_e32 v11, vcc_lo, 0, v18, vcc_lo
	s_delay_alu instid0(VALU_DEP_2) | instskip(NEXT) | instid1(VALU_DEP_2)
	v_add_co_u32 v7, vcc_lo, v9, v7
	v_add_co_ci_u32_e32 v9, vcc_lo, 0, v11, vcc_lo
	s_delay_alu instid0(VALU_DEP_2) | instskip(NEXT) | instid1(VALU_DEP_2)
	v_add_co_u32 v3, vcc_lo, v3, v7
	v_add_co_ci_u32_e32 v5, vcc_lo, v5, v9, vcc_lo
	s_delay_alu instid0(VALU_DEP_2) | instskip(SKIP_1) | instid1(VALU_DEP_3)
	v_mul_hi_u32 v7, s0, v3
	v_mul_lo_u32 v11, s17, v3
	v_mul_lo_u32 v9, s0, v5
	s_delay_alu instid0(VALU_DEP_1) | instskip(SKIP_1) | instid1(VALU_DEP_2)
	v_add_nc_u32_e32 v7, v7, v9
	v_mul_lo_u32 v9, s0, v3
	v_add_nc_u32_e32 v7, v7, v11
	s_delay_alu instid0(VALU_DEP_2) | instskip(NEXT) | instid1(VALU_DEP_2)
	v_mul_hi_u32 v11, v3, v9
	v_mul_lo_u32 v13, v3, v7
	v_mul_hi_u32 v16, v3, v7
	v_mul_hi_u32 v17, v5, v9
	v_mul_lo_u32 v9, v5, v9
	v_mul_hi_u32 v18, v5, v7
	v_mul_lo_u32 v7, v5, v7
	v_add_co_u32 v11, vcc_lo, v11, v13
	v_add_co_ci_u32_e32 v13, vcc_lo, 0, v16, vcc_lo
	s_delay_alu instid0(VALU_DEP_2) | instskip(NEXT) | instid1(VALU_DEP_2)
	v_add_co_u32 v9, vcc_lo, v11, v9
	v_add_co_ci_u32_e32 v9, vcc_lo, v13, v17, vcc_lo
	v_add_co_ci_u32_e32 v11, vcc_lo, 0, v18, vcc_lo
	v_add_co_u32 v13, vcc_lo, v14, v21
	v_add_co_ci_u32_e32 v15, vcc_lo, v15, v21, vcc_lo
	s_delay_alu instid0(VALU_DEP_4) | instskip(NEXT) | instid1(VALU_DEP_4)
	v_add_co_u32 v7, vcc_lo, v9, v7
	v_add_co_ci_u32_e32 v9, vcc_lo, 0, v11, vcc_lo
	s_delay_alu instid0(VALU_DEP_4) | instskip(NEXT) | instid1(VALU_DEP_3)
	v_xor_b32_e32 v11, v13, v21
	v_add_co_u32 v3, vcc_lo, v3, v7
	s_delay_alu instid0(VALU_DEP_3) | instskip(SKIP_1) | instid1(VALU_DEP_3)
	v_add_co_ci_u32_e32 v5, vcc_lo, v5, v9, vcc_lo
	v_xor_b32_e32 v7, v15, v21
	v_mul_hi_u32 v9, v11, v3
	s_delay_alu instid0(VALU_DEP_3) | instskip(NEXT) | instid1(VALU_DEP_3)
	v_mad_u64_u32 v[15:16], null, v11, v5, 0
	v_mad_u64_u32 v[17:18], null, v7, v3, 0
	;; [unrolled: 1-line block ×3, first 2 shown]
	s_delay_alu instid0(VALU_DEP_3) | instskip(NEXT) | instid1(VALU_DEP_4)
	v_add_co_u32 v3, vcc_lo, v9, v15
	v_add_co_ci_u32_e32 v5, vcc_lo, 0, v16, vcc_lo
	s_delay_alu instid0(VALU_DEP_2) | instskip(NEXT) | instid1(VALU_DEP_2)
	v_add_co_u32 v3, vcc_lo, v3, v17
	v_add_co_ci_u32_e32 v3, vcc_lo, v5, v18, vcc_lo
	v_add_co_ci_u32_e32 v5, vcc_lo, 0, v20, vcc_lo
	s_delay_alu instid0(VALU_DEP_2) | instskip(NEXT) | instid1(VALU_DEP_2)
	v_add_co_u32 v3, vcc_lo, v3, v19
	v_add_co_ci_u32_e32 v5, vcc_lo, 0, v5, vcc_lo
	s_delay_alu instid0(VALU_DEP_2) | instskip(SKIP_1) | instid1(VALU_DEP_3)
	v_mul_lo_u32 v9, s23, v3
	v_mad_u64_u32 v[15:16], null, s22, v3, 0
	v_mul_lo_u32 v13, s22, v5
	s_delay_alu instid0(VALU_DEP_2) | instskip(NEXT) | instid1(VALU_DEP_2)
	v_sub_co_u32 v11, vcc_lo, v11, v15
	v_add3_u32 v9, v16, v13, v9
	s_delay_alu instid0(VALU_DEP_1) | instskip(NEXT) | instid1(VALU_DEP_1)
	v_sub_nc_u32_e32 v13, v7, v9
	v_subrev_co_ci_u32_e64 v13, s0, s23, v13, vcc_lo
	v_add_co_u32 v15, s0, v3, 2
	s_delay_alu instid0(VALU_DEP_1) | instskip(SKIP_3) | instid1(VALU_DEP_3)
	v_add_co_ci_u32_e64 v16, s0, 0, v5, s0
	v_sub_co_u32 v17, s0, v11, s22
	v_sub_co_ci_u32_e32 v7, vcc_lo, v7, v9, vcc_lo
	v_subrev_co_ci_u32_e64 v13, s0, 0, v13, s0
	v_cmp_le_u32_e32 vcc_lo, s22, v17
	s_delay_alu instid0(VALU_DEP_3) | instskip(SKIP_1) | instid1(VALU_DEP_4)
	v_cmp_eq_u32_e64 s0, s23, v7
	v_cndmask_b32_e64 v9, 0, -1, vcc_lo
	v_cmp_le_u32_e32 vcc_lo, s23, v13
	v_cndmask_b32_e64 v17, 0, -1, vcc_lo
	v_cmp_le_u32_e32 vcc_lo, s22, v11
	;; [unrolled: 2-line block ×3, first 2 shown]
	v_cndmask_b32_e64 v18, 0, -1, vcc_lo
	v_cmp_eq_u32_e32 vcc_lo, s23, v13
	s_delay_alu instid0(VALU_DEP_2) | instskip(SKIP_3) | instid1(VALU_DEP_3)
	v_cndmask_b32_e64 v7, v18, v11, s0
	v_cndmask_b32_e32 v9, v17, v9, vcc_lo
	v_add_co_u32 v13, vcc_lo, v3, 1
	v_add_co_ci_u32_e32 v17, vcc_lo, 0, v5, vcc_lo
	v_cmp_ne_u32_e32 vcc_lo, 0, v9
	s_delay_alu instid0(VALU_DEP_2) | instskip(NEXT) | instid1(VALU_DEP_4)
	v_cndmask_b32_e32 v9, v17, v16, vcc_lo
	v_cndmask_b32_e32 v11, v13, v15, vcc_lo
	v_cmp_ne_u32_e32 vcc_lo, 0, v7
	v_xor_b32_e32 v7, s20, v21
	s_delay_alu instid0(VALU_DEP_3) | instskip(SKIP_2) | instid1(VALU_DEP_3)
	v_cndmask_b32_e32 v3, v3, v11, vcc_lo
	v_cndmask_b32_e32 v5, v5, v9, vcc_lo
	v_xor_b32_e32 v9, s21, v21
	v_xor_b32_e32 v3, v3, v7
	s_delay_alu instid0(VALU_DEP_2) | instskip(NEXT) | instid1(VALU_DEP_2)
	v_xor_b32_e32 v5, v5, v9
	v_sub_co_u32 v16, vcc_lo, v3, v7
	s_delay_alu instid0(VALU_DEP_2)
	v_sub_co_ci_u32_e32 v17, vcc_lo, v5, v9, vcc_lo
.LBB68_42:                              ;   in Loop: Header=BB68_24 Depth=2
	s_and_not1_saveexec_b32 s0, s14
	s_cbranch_execz .LBB68_44
; %bb.43:                               ;   in Loop: Header=BB68_24 Depth=2
	v_cvt_f32_u32_e32 v3, s49
	s_sub_i32 s14, 0, s49
	v_mov_b32_e32 v17, v2
	s_delay_alu instid0(VALU_DEP_2) | instskip(SKIP_2) | instid1(VALU_DEP_1)
	v_rcp_iflag_f32_e32 v3, v3
	s_waitcnt_depctr 0xfff
	v_mul_f32_e32 v3, 0x4f7ffffe, v3
	v_cvt_u32_f32_e32 v3, v3
	s_delay_alu instid0(VALU_DEP_1) | instskip(NEXT) | instid1(VALU_DEP_1)
	v_mul_lo_u32 v5, s14, v3
	v_mul_hi_u32 v5, v3, v5
	s_delay_alu instid0(VALU_DEP_1) | instskip(NEXT) | instid1(VALU_DEP_1)
	v_add_nc_u32_e32 v3, v3, v5
	v_mul_hi_u32 v3, v14, v3
	s_delay_alu instid0(VALU_DEP_1) | instskip(SKIP_1) | instid1(VALU_DEP_2)
	v_mul_lo_u32 v5, v3, s49
	v_add_nc_u32_e32 v7, 1, v3
	v_sub_nc_u32_e32 v5, v14, v5
	s_delay_alu instid0(VALU_DEP_1) | instskip(SKIP_1) | instid1(VALU_DEP_4)
	v_cmp_le_u32_e32 vcc_lo, s49, v5
	v_subrev_nc_u32_e32 v9, s49, v5
	v_cndmask_b32_e32 v3, v3, v7, vcc_lo
	s_delay_alu instid0(VALU_DEP_1) | instskip(NEXT) | instid1(VALU_DEP_3)
	v_add_nc_u32_e32 v7, 1, v3
	v_cndmask_b32_e32 v5, v5, v9, vcc_lo
	s_delay_alu instid0(VALU_DEP_1) | instskip(NEXT) | instid1(VALU_DEP_3)
	v_cmp_le_u32_e32 vcc_lo, s49, v5
	v_cndmask_b32_e32 v16, v3, v7, vcc_lo
.LBB68_44:                              ;   in Loop: Header=BB68_24 Depth=2
	s_or_b32 exec_lo, exec_lo, s0
	s_add_u32 s20, s30, s18
	s_addc_u32 s21, s1, s19
	s_add_i32 s14, s16, 2
                                        ; implicit-def: $vgpr18_vgpr19
	s_delay_alu instid0(SALU_CYCLE_1)
	s_lshl_b64 s[18:19], s[14:15], 2
	s_mov_b32 s14, exec_lo
	s_add_u32 s22, s26, s18
	s_addc_u32 s23, s27, s19
	s_clause 0x1
	s_load_b32 s51, s[22:23], 0x0
	s_load_b32 s50, s[20:21], 0x0
	s_waitcnt lgkmcnt(0)
	s_ashr_i32 s0, s51, 31
	s_delay_alu instid0(SALU_CYCLE_1) | instskip(NEXT) | instid1(VALU_DEP_1)
	v_or_b32_e32 v3, s0, v17
	v_cmpx_ne_u64_e32 0, v[2:3]
	s_xor_b32 s14, exec_lo, s14
	s_cbranch_execz .LBB68_46
; %bb.45:                               ;   in Loop: Header=BB68_24 Depth=2
	s_add_u32 s22, s51, s0
	s_mov_b32 s20, s0
	s_mov_b32 s21, s0
	s_addc_u32 s23, s0, s0
	v_ashrrev_i32_e32 v23, 31, v17
	s_xor_b64 s[22:23], s[22:23], s[20:21]
	s_delay_alu instid0(SALU_CYCLE_1) | instskip(SKIP_3) | instid1(VALU_DEP_1)
	v_cvt_f32_u32_e32 v3, s22
	v_cvt_f32_u32_e32 v5, s23
	s_sub_u32 s0, 0, s22
	s_subb_u32 s17, 0, s23
	v_fmac_f32_e32 v3, 0x4f800000, v5
	s_delay_alu instid0(VALU_DEP_1) | instskip(SKIP_2) | instid1(VALU_DEP_1)
	v_rcp_f32_e32 v3, v3
	s_waitcnt_depctr 0xfff
	v_mul_f32_e32 v3, 0x5f7ffffc, v3
	v_mul_f32_e32 v5, 0x2f800000, v3
	s_delay_alu instid0(VALU_DEP_1) | instskip(NEXT) | instid1(VALU_DEP_1)
	v_trunc_f32_e32 v5, v5
	v_fmac_f32_e32 v3, 0xcf800000, v5
	v_cvt_u32_f32_e32 v5, v5
	s_delay_alu instid0(VALU_DEP_2) | instskip(NEXT) | instid1(VALU_DEP_2)
	v_cvt_u32_f32_e32 v3, v3
	v_mul_lo_u32 v7, s0, v5
	s_delay_alu instid0(VALU_DEP_2) | instskip(SKIP_1) | instid1(VALU_DEP_2)
	v_mul_hi_u32 v9, s0, v3
	v_mul_lo_u32 v11, s17, v3
	v_add_nc_u32_e32 v7, v9, v7
	v_mul_lo_u32 v9, s0, v3
	s_delay_alu instid0(VALU_DEP_2) | instskip(NEXT) | instid1(VALU_DEP_2)
	v_add_nc_u32_e32 v7, v7, v11
	v_mul_hi_u32 v11, v3, v9
	s_delay_alu instid0(VALU_DEP_2)
	v_mul_lo_u32 v13, v3, v7
	v_mul_hi_u32 v15, v3, v7
	v_mul_hi_u32 v18, v5, v9
	v_mul_lo_u32 v9, v5, v9
	v_mul_hi_u32 v19, v5, v7
	v_mul_lo_u32 v7, v5, v7
	v_add_co_u32 v11, vcc_lo, v11, v13
	v_add_co_ci_u32_e32 v13, vcc_lo, 0, v15, vcc_lo
	s_delay_alu instid0(VALU_DEP_2) | instskip(NEXT) | instid1(VALU_DEP_2)
	v_add_co_u32 v9, vcc_lo, v11, v9
	v_add_co_ci_u32_e32 v9, vcc_lo, v13, v18, vcc_lo
	v_add_co_ci_u32_e32 v11, vcc_lo, 0, v19, vcc_lo
	s_delay_alu instid0(VALU_DEP_2) | instskip(NEXT) | instid1(VALU_DEP_2)
	v_add_co_u32 v7, vcc_lo, v9, v7
	v_add_co_ci_u32_e32 v9, vcc_lo, 0, v11, vcc_lo
	s_delay_alu instid0(VALU_DEP_2) | instskip(NEXT) | instid1(VALU_DEP_2)
	v_add_co_u32 v3, vcc_lo, v3, v7
	v_add_co_ci_u32_e32 v5, vcc_lo, v5, v9, vcc_lo
	s_delay_alu instid0(VALU_DEP_2) | instskip(SKIP_1) | instid1(VALU_DEP_3)
	v_mul_hi_u32 v7, s0, v3
	v_mul_lo_u32 v11, s17, v3
	v_mul_lo_u32 v9, s0, v5
	s_delay_alu instid0(VALU_DEP_1) | instskip(SKIP_1) | instid1(VALU_DEP_2)
	v_add_nc_u32_e32 v7, v7, v9
	v_mul_lo_u32 v9, s0, v3
	v_add_nc_u32_e32 v7, v7, v11
	s_delay_alu instid0(VALU_DEP_2) | instskip(NEXT) | instid1(VALU_DEP_2)
	v_mul_hi_u32 v11, v3, v9
	v_mul_lo_u32 v13, v3, v7
	v_mul_hi_u32 v15, v3, v7
	v_mul_hi_u32 v18, v5, v9
	v_mul_lo_u32 v9, v5, v9
	v_mul_hi_u32 v19, v5, v7
	v_mul_lo_u32 v7, v5, v7
	v_add_co_u32 v11, vcc_lo, v11, v13
	v_add_co_ci_u32_e32 v13, vcc_lo, 0, v15, vcc_lo
	s_delay_alu instid0(VALU_DEP_2) | instskip(NEXT) | instid1(VALU_DEP_2)
	v_add_co_u32 v9, vcc_lo, v11, v9
	v_add_co_ci_u32_e32 v9, vcc_lo, v13, v18, vcc_lo
	v_add_co_ci_u32_e32 v11, vcc_lo, 0, v19, vcc_lo
	v_add_co_u32 v13, vcc_lo, v16, v23
	v_add_co_ci_u32_e32 v15, vcc_lo, v17, v23, vcc_lo
	s_delay_alu instid0(VALU_DEP_4) | instskip(NEXT) | instid1(VALU_DEP_4)
	v_add_co_u32 v7, vcc_lo, v9, v7
	v_add_co_ci_u32_e32 v9, vcc_lo, 0, v11, vcc_lo
	s_delay_alu instid0(VALU_DEP_4) | instskip(NEXT) | instid1(VALU_DEP_3)
	v_xor_b32_e32 v11, v13, v23
	v_add_co_u32 v3, vcc_lo, v3, v7
	s_delay_alu instid0(VALU_DEP_3) | instskip(SKIP_1) | instid1(VALU_DEP_3)
	v_add_co_ci_u32_e32 v5, vcc_lo, v5, v9, vcc_lo
	v_xor_b32_e32 v7, v15, v23
	v_mul_hi_u32 v9, v11, v3
	s_delay_alu instid0(VALU_DEP_3) | instskip(NEXT) | instid1(VALU_DEP_3)
	v_mad_u64_u32 v[17:18], null, v11, v5, 0
	v_mad_u64_u32 v[19:20], null, v7, v3, 0
	;; [unrolled: 1-line block ×3, first 2 shown]
	s_delay_alu instid0(VALU_DEP_3) | instskip(NEXT) | instid1(VALU_DEP_4)
	v_add_co_u32 v3, vcc_lo, v9, v17
	v_add_co_ci_u32_e32 v5, vcc_lo, 0, v18, vcc_lo
	s_delay_alu instid0(VALU_DEP_2) | instskip(NEXT) | instid1(VALU_DEP_2)
	v_add_co_u32 v3, vcc_lo, v3, v19
	v_add_co_ci_u32_e32 v3, vcc_lo, v5, v20, vcc_lo
	v_add_co_ci_u32_e32 v5, vcc_lo, 0, v22, vcc_lo
	s_delay_alu instid0(VALU_DEP_2) | instskip(NEXT) | instid1(VALU_DEP_2)
	v_add_co_u32 v3, vcc_lo, v3, v21
	v_add_co_ci_u32_e32 v5, vcc_lo, 0, v5, vcc_lo
	s_delay_alu instid0(VALU_DEP_2) | instskip(SKIP_1) | instid1(VALU_DEP_3)
	v_mul_lo_u32 v9, s23, v3
	v_mad_u64_u32 v[17:18], null, s22, v3, 0
	v_mul_lo_u32 v13, s22, v5
	s_delay_alu instid0(VALU_DEP_2) | instskip(NEXT) | instid1(VALU_DEP_2)
	v_sub_co_u32 v11, vcc_lo, v11, v17
	v_add3_u32 v9, v18, v13, v9
	s_delay_alu instid0(VALU_DEP_1) | instskip(NEXT) | instid1(VALU_DEP_1)
	v_sub_nc_u32_e32 v13, v7, v9
	v_subrev_co_ci_u32_e64 v13, s0, s23, v13, vcc_lo
	v_add_co_u32 v15, s0, v3, 2
	s_delay_alu instid0(VALU_DEP_1) | instskip(SKIP_3) | instid1(VALU_DEP_3)
	v_add_co_ci_u32_e64 v17, s0, 0, v5, s0
	v_sub_co_u32 v18, s0, v11, s22
	v_sub_co_ci_u32_e32 v7, vcc_lo, v7, v9, vcc_lo
	v_subrev_co_ci_u32_e64 v13, s0, 0, v13, s0
	v_cmp_le_u32_e32 vcc_lo, s22, v18
	s_delay_alu instid0(VALU_DEP_3) | instskip(SKIP_1) | instid1(VALU_DEP_4)
	v_cmp_eq_u32_e64 s0, s23, v7
	v_cndmask_b32_e64 v9, 0, -1, vcc_lo
	v_cmp_le_u32_e32 vcc_lo, s23, v13
	v_cndmask_b32_e64 v18, 0, -1, vcc_lo
	v_cmp_le_u32_e32 vcc_lo, s22, v11
	;; [unrolled: 2-line block ×3, first 2 shown]
	v_cndmask_b32_e64 v19, 0, -1, vcc_lo
	v_cmp_eq_u32_e32 vcc_lo, s23, v13
	s_delay_alu instid0(VALU_DEP_2) | instskip(SKIP_3) | instid1(VALU_DEP_3)
	v_cndmask_b32_e64 v7, v19, v11, s0
	v_cndmask_b32_e32 v9, v18, v9, vcc_lo
	v_add_co_u32 v13, vcc_lo, v3, 1
	v_add_co_ci_u32_e32 v18, vcc_lo, 0, v5, vcc_lo
	v_cmp_ne_u32_e32 vcc_lo, 0, v9
	s_delay_alu instid0(VALU_DEP_2) | instskip(NEXT) | instid1(VALU_DEP_4)
	v_cndmask_b32_e32 v9, v18, v17, vcc_lo
	v_cndmask_b32_e32 v11, v13, v15, vcc_lo
	v_cmp_ne_u32_e32 vcc_lo, 0, v7
	v_xor_b32_e32 v7, s20, v23
	s_delay_alu instid0(VALU_DEP_3) | instskip(SKIP_2) | instid1(VALU_DEP_3)
	v_cndmask_b32_e32 v3, v3, v11, vcc_lo
	v_cndmask_b32_e32 v5, v5, v9, vcc_lo
	v_xor_b32_e32 v9, s21, v23
	v_xor_b32_e32 v3, v3, v7
	s_delay_alu instid0(VALU_DEP_2) | instskip(NEXT) | instid1(VALU_DEP_2)
	v_xor_b32_e32 v5, v5, v9
	v_sub_co_u32 v18, vcc_lo, v3, v7
	s_delay_alu instid0(VALU_DEP_2)
	v_sub_co_ci_u32_e32 v19, vcc_lo, v5, v9, vcc_lo
.LBB68_46:                              ;   in Loop: Header=BB68_24 Depth=2
	s_and_not1_saveexec_b32 s0, s14
	s_cbranch_execz .LBB68_48
; %bb.47:                               ;   in Loop: Header=BB68_24 Depth=2
	v_cvt_f32_u32_e32 v3, s51
	s_sub_i32 s14, 0, s51
	v_mov_b32_e32 v19, v2
	s_delay_alu instid0(VALU_DEP_2) | instskip(SKIP_2) | instid1(VALU_DEP_1)
	v_rcp_iflag_f32_e32 v3, v3
	s_waitcnt_depctr 0xfff
	v_mul_f32_e32 v3, 0x4f7ffffe, v3
	v_cvt_u32_f32_e32 v3, v3
	s_delay_alu instid0(VALU_DEP_1) | instskip(NEXT) | instid1(VALU_DEP_1)
	v_mul_lo_u32 v5, s14, v3
	v_mul_hi_u32 v5, v3, v5
	s_delay_alu instid0(VALU_DEP_1) | instskip(NEXT) | instid1(VALU_DEP_1)
	v_add_nc_u32_e32 v3, v3, v5
	v_mul_hi_u32 v3, v16, v3
	s_delay_alu instid0(VALU_DEP_1) | instskip(SKIP_1) | instid1(VALU_DEP_2)
	v_mul_lo_u32 v5, v3, s51
	v_add_nc_u32_e32 v7, 1, v3
	v_sub_nc_u32_e32 v5, v16, v5
	s_delay_alu instid0(VALU_DEP_1) | instskip(SKIP_1) | instid1(VALU_DEP_4)
	v_cmp_le_u32_e32 vcc_lo, s51, v5
	v_subrev_nc_u32_e32 v9, s51, v5
	v_cndmask_b32_e32 v3, v3, v7, vcc_lo
	s_delay_alu instid0(VALU_DEP_1) | instskip(NEXT) | instid1(VALU_DEP_3)
	v_add_nc_u32_e32 v7, 1, v3
	v_cndmask_b32_e32 v5, v5, v9, vcc_lo
	s_delay_alu instid0(VALU_DEP_1) | instskip(NEXT) | instid1(VALU_DEP_3)
	v_cmp_le_u32_e32 vcc_lo, s51, v5
	v_cndmask_b32_e32 v18, v3, v7, vcc_lo
.LBB68_48:                              ;   in Loop: Header=BB68_24 Depth=2
	s_or_b32 exec_lo, exec_lo, s0
	s_add_u32 s20, s30, s18
	s_addc_u32 s21, s1, s19
	s_add_i32 s14, s16, 1
	s_mov_b32 s17, exec_lo
	s_lshl_b64 s[18:19], s[14:15], 2
                                        ; implicit-def: $vgpr20_vgpr21
	s_delay_alu instid0(SALU_CYCLE_1)
	s_add_u32 s22, s26, s18
	s_addc_u32 s23, s27, s19
	s_clause 0x1
	s_load_b32 s52, s[22:23], 0x0
	s_load_b32 s14, s[20:21], 0x0
	s_waitcnt lgkmcnt(0)
	s_ashr_i32 s0, s52, 31
	s_delay_alu instid0(SALU_CYCLE_1) | instskip(NEXT) | instid1(VALU_DEP_1)
	v_or_b32_e32 v3, s0, v19
	v_cmpx_ne_u64_e32 0, v[2:3]
	s_xor_b32 s17, exec_lo, s17
	s_cbranch_execz .LBB68_50
; %bb.49:                               ;   in Loop: Header=BB68_24 Depth=2
	s_add_u32 s22, s52, s0
	s_mov_b32 s20, s0
	s_mov_b32 s21, s0
	s_addc_u32 s23, s0, s0
	s_delay_alu instid0(SALU_CYCLE_1) | instskip(NEXT) | instid1(SALU_CYCLE_1)
	s_xor_b64 s[22:23], s[22:23], s[20:21]
	v_cvt_f32_u32_e32 v3, s22
	v_cvt_f32_u32_e32 v5, s23
	s_sub_u32 s0, 0, s22
	s_subb_u32 s53, 0, s23
	s_delay_alu instid0(VALU_DEP_1) | instskip(NEXT) | instid1(VALU_DEP_1)
	v_fmac_f32_e32 v3, 0x4f800000, v5
	v_rcp_f32_e32 v3, v3
	s_waitcnt_depctr 0xfff
	v_mul_f32_e32 v3, 0x5f7ffffc, v3
	s_delay_alu instid0(VALU_DEP_1) | instskip(NEXT) | instid1(VALU_DEP_1)
	v_mul_f32_e32 v5, 0x2f800000, v3
	v_trunc_f32_e32 v5, v5
	s_delay_alu instid0(VALU_DEP_1) | instskip(SKIP_1) | instid1(VALU_DEP_2)
	v_fmac_f32_e32 v3, 0xcf800000, v5
	v_cvt_u32_f32_e32 v5, v5
	v_cvt_u32_f32_e32 v3, v3
	s_delay_alu instid0(VALU_DEP_2) | instskip(NEXT) | instid1(VALU_DEP_2)
	v_mul_lo_u32 v7, s0, v5
	v_mul_hi_u32 v9, s0, v3
	v_mul_lo_u32 v11, s53, v3
	s_delay_alu instid0(VALU_DEP_2) | instskip(SKIP_1) | instid1(VALU_DEP_2)
	v_add_nc_u32_e32 v7, v9, v7
	v_mul_lo_u32 v9, s0, v3
	v_add_nc_u32_e32 v7, v7, v11
	s_delay_alu instid0(VALU_DEP_2) | instskip(NEXT) | instid1(VALU_DEP_2)
	v_mul_hi_u32 v11, v3, v9
	v_mul_lo_u32 v13, v3, v7
	v_mul_hi_u32 v15, v3, v7
	v_mul_hi_u32 v17, v5, v9
	v_mul_lo_u32 v9, v5, v9
	v_mul_hi_u32 v20, v5, v7
	v_mul_lo_u32 v7, v5, v7
	v_add_co_u32 v11, vcc_lo, v11, v13
	v_add_co_ci_u32_e32 v13, vcc_lo, 0, v15, vcc_lo
	s_delay_alu instid0(VALU_DEP_2) | instskip(NEXT) | instid1(VALU_DEP_2)
	v_add_co_u32 v9, vcc_lo, v11, v9
	v_add_co_ci_u32_e32 v9, vcc_lo, v13, v17, vcc_lo
	v_add_co_ci_u32_e32 v11, vcc_lo, 0, v20, vcc_lo
	v_ashrrev_i32_e32 v17, 31, v19
	s_delay_alu instid0(VALU_DEP_3) | instskip(NEXT) | instid1(VALU_DEP_3)
	v_add_co_u32 v7, vcc_lo, v9, v7
	v_add_co_ci_u32_e32 v9, vcc_lo, 0, v11, vcc_lo
	s_delay_alu instid0(VALU_DEP_2) | instskip(NEXT) | instid1(VALU_DEP_2)
	v_add_co_u32 v3, vcc_lo, v3, v7
	v_add_co_ci_u32_e32 v5, vcc_lo, v5, v9, vcc_lo
	s_delay_alu instid0(VALU_DEP_2) | instskip(SKIP_1) | instid1(VALU_DEP_3)
	v_mul_hi_u32 v7, s0, v3
	v_mul_lo_u32 v11, s53, v3
	v_mul_lo_u32 v9, s0, v5
	s_delay_alu instid0(VALU_DEP_1) | instskip(SKIP_1) | instid1(VALU_DEP_2)
	v_add_nc_u32_e32 v7, v7, v9
	v_mul_lo_u32 v9, s0, v3
	v_add_nc_u32_e32 v7, v7, v11
	s_delay_alu instid0(VALU_DEP_2) | instskip(NEXT) | instid1(VALU_DEP_2)
	v_mul_hi_u32 v11, v3, v9
	v_mul_lo_u32 v13, v3, v7
	v_mul_hi_u32 v15, v3, v7
	v_mul_hi_u32 v20, v5, v9
	v_mul_lo_u32 v9, v5, v9
	v_mul_hi_u32 v21, v5, v7
	v_mul_lo_u32 v7, v5, v7
	v_add_co_u32 v11, vcc_lo, v11, v13
	v_add_co_ci_u32_e32 v13, vcc_lo, 0, v15, vcc_lo
	s_delay_alu instid0(VALU_DEP_2) | instskip(NEXT) | instid1(VALU_DEP_2)
	v_add_co_u32 v9, vcc_lo, v11, v9
	v_add_co_ci_u32_e32 v9, vcc_lo, v13, v20, vcc_lo
	v_add_co_ci_u32_e32 v11, vcc_lo, 0, v21, vcc_lo
	v_add_co_u32 v13, vcc_lo, v18, v17
	v_add_co_ci_u32_e32 v15, vcc_lo, v19, v17, vcc_lo
	s_delay_alu instid0(VALU_DEP_4) | instskip(NEXT) | instid1(VALU_DEP_4)
	v_add_co_u32 v7, vcc_lo, v9, v7
	v_add_co_ci_u32_e32 v9, vcc_lo, 0, v11, vcc_lo
	s_delay_alu instid0(VALU_DEP_4) | instskip(NEXT) | instid1(VALU_DEP_3)
	v_xor_b32_e32 v11, v13, v17
	v_add_co_u32 v3, vcc_lo, v3, v7
	s_delay_alu instid0(VALU_DEP_3) | instskip(SKIP_1) | instid1(VALU_DEP_3)
	v_add_co_ci_u32_e32 v5, vcc_lo, v5, v9, vcc_lo
	v_xor_b32_e32 v7, v15, v17
	v_mul_hi_u32 v9, v11, v3
	s_delay_alu instid0(VALU_DEP_3) | instskip(NEXT) | instid1(VALU_DEP_3)
	v_mad_u64_u32 v[19:20], null, v11, v5, 0
	v_mad_u64_u32 v[21:22], null, v7, v3, 0
	;; [unrolled: 1-line block ×3, first 2 shown]
	s_delay_alu instid0(VALU_DEP_3) | instskip(NEXT) | instid1(VALU_DEP_4)
	v_add_co_u32 v3, vcc_lo, v9, v19
	v_add_co_ci_u32_e32 v5, vcc_lo, 0, v20, vcc_lo
	s_delay_alu instid0(VALU_DEP_2) | instskip(NEXT) | instid1(VALU_DEP_2)
	v_add_co_u32 v3, vcc_lo, v3, v21
	v_add_co_ci_u32_e32 v3, vcc_lo, v5, v22, vcc_lo
	v_add_co_ci_u32_e32 v5, vcc_lo, 0, v28, vcc_lo
	s_delay_alu instid0(VALU_DEP_2) | instskip(NEXT) | instid1(VALU_DEP_2)
	v_add_co_u32 v3, vcc_lo, v3, v27
	v_add_co_ci_u32_e32 v5, vcc_lo, 0, v5, vcc_lo
	s_delay_alu instid0(VALU_DEP_2) | instskip(SKIP_1) | instid1(VALU_DEP_3)
	v_mul_lo_u32 v9, s23, v3
	v_mad_u64_u32 v[19:20], null, s22, v3, 0
	v_mul_lo_u32 v13, s22, v5
	s_delay_alu instid0(VALU_DEP_2) | instskip(NEXT) | instid1(VALU_DEP_2)
	v_sub_co_u32 v11, vcc_lo, v11, v19
	v_add3_u32 v9, v20, v13, v9
	s_delay_alu instid0(VALU_DEP_1) | instskip(NEXT) | instid1(VALU_DEP_1)
	v_sub_nc_u32_e32 v13, v7, v9
	v_subrev_co_ci_u32_e64 v13, s0, s23, v13, vcc_lo
	v_add_co_u32 v15, s0, v3, 2
	s_delay_alu instid0(VALU_DEP_1) | instskip(SKIP_3) | instid1(VALU_DEP_3)
	v_add_co_ci_u32_e64 v19, s0, 0, v5, s0
	v_sub_co_u32 v20, s0, v11, s22
	v_sub_co_ci_u32_e32 v7, vcc_lo, v7, v9, vcc_lo
	v_subrev_co_ci_u32_e64 v13, s0, 0, v13, s0
	v_cmp_le_u32_e32 vcc_lo, s22, v20
	s_delay_alu instid0(VALU_DEP_3) | instskip(SKIP_1) | instid1(VALU_DEP_4)
	v_cmp_eq_u32_e64 s0, s23, v7
	v_cndmask_b32_e64 v9, 0, -1, vcc_lo
	v_cmp_le_u32_e32 vcc_lo, s23, v13
	v_cndmask_b32_e64 v20, 0, -1, vcc_lo
	v_cmp_le_u32_e32 vcc_lo, s22, v11
	;; [unrolled: 2-line block ×3, first 2 shown]
	v_cndmask_b32_e64 v21, 0, -1, vcc_lo
	v_cmp_eq_u32_e32 vcc_lo, s23, v13
	s_delay_alu instid0(VALU_DEP_2) | instskip(SKIP_3) | instid1(VALU_DEP_3)
	v_cndmask_b32_e64 v7, v21, v11, s0
	v_cndmask_b32_e32 v9, v20, v9, vcc_lo
	v_add_co_u32 v13, vcc_lo, v3, 1
	v_add_co_ci_u32_e32 v20, vcc_lo, 0, v5, vcc_lo
	v_cmp_ne_u32_e32 vcc_lo, 0, v9
	s_delay_alu instid0(VALU_DEP_2) | instskip(NEXT) | instid1(VALU_DEP_4)
	v_cndmask_b32_e32 v9, v20, v19, vcc_lo
	v_cndmask_b32_e32 v11, v13, v15, vcc_lo
	v_cmp_ne_u32_e32 vcc_lo, 0, v7
	v_xor_b32_e32 v7, s20, v17
	s_delay_alu instid0(VALU_DEP_3) | instskip(SKIP_2) | instid1(VALU_DEP_3)
	v_cndmask_b32_e32 v3, v3, v11, vcc_lo
	v_cndmask_b32_e32 v5, v5, v9, vcc_lo
	v_xor_b32_e32 v9, s21, v17
	v_xor_b32_e32 v3, v3, v7
	s_delay_alu instid0(VALU_DEP_2) | instskip(NEXT) | instid1(VALU_DEP_2)
	v_xor_b32_e32 v5, v5, v9
	v_sub_co_u32 v20, vcc_lo, v3, v7
	s_delay_alu instid0(VALU_DEP_2)
	v_sub_co_ci_u32_e32 v21, vcc_lo, v5, v9, vcc_lo
.LBB68_50:                              ;   in Loop: Header=BB68_24 Depth=2
	s_and_not1_saveexec_b32 s0, s17
	s_cbranch_execz .LBB68_52
; %bb.51:                               ;   in Loop: Header=BB68_24 Depth=2
	v_cvt_f32_u32_e32 v3, s52
	s_sub_i32 s17, 0, s52
	v_mov_b32_e32 v21, v2
	s_delay_alu instid0(VALU_DEP_2) | instskip(SKIP_2) | instid1(VALU_DEP_1)
	v_rcp_iflag_f32_e32 v3, v3
	s_waitcnt_depctr 0xfff
	v_mul_f32_e32 v3, 0x4f7ffffe, v3
	v_cvt_u32_f32_e32 v3, v3
	s_delay_alu instid0(VALU_DEP_1) | instskip(NEXT) | instid1(VALU_DEP_1)
	v_mul_lo_u32 v5, s17, v3
	v_mul_hi_u32 v5, v3, v5
	s_delay_alu instid0(VALU_DEP_1) | instskip(NEXT) | instid1(VALU_DEP_1)
	v_add_nc_u32_e32 v3, v3, v5
	v_mul_hi_u32 v3, v18, v3
	s_delay_alu instid0(VALU_DEP_1) | instskip(SKIP_1) | instid1(VALU_DEP_2)
	v_mul_lo_u32 v5, v3, s52
	v_add_nc_u32_e32 v7, 1, v3
	v_sub_nc_u32_e32 v5, v18, v5
	s_delay_alu instid0(VALU_DEP_1) | instskip(SKIP_1) | instid1(VALU_DEP_4)
	v_cmp_le_u32_e32 vcc_lo, s52, v5
	v_subrev_nc_u32_e32 v9, s52, v5
	v_cndmask_b32_e32 v3, v3, v7, vcc_lo
	s_delay_alu instid0(VALU_DEP_1) | instskip(NEXT) | instid1(VALU_DEP_3)
	v_add_nc_u32_e32 v7, 1, v3
	v_cndmask_b32_e32 v5, v5, v9, vcc_lo
	s_delay_alu instid0(VALU_DEP_1) | instskip(NEXT) | instid1(VALU_DEP_3)
	v_cmp_le_u32_e32 vcc_lo, s52, v5
	v_cndmask_b32_e32 v20, v3, v7, vcc_lo
.LBB68_52:                              ;   in Loop: Header=BB68_24 Depth=2
	s_or_b32 exec_lo, exec_lo, s0
	s_mov_b32 s17, s15
	s_add_u32 s20, s30, s18
	s_addc_u32 s21, s1, s19
	s_lshl_b64 s[18:19], s[16:17], 2
                                        ; implicit-def: $vgpr22_vgpr23
	s_delay_alu instid0(SALU_CYCLE_1)
	s_add_u32 s22, s26, s18
	s_addc_u32 s23, s27, s19
	s_clause 0x1
	s_load_b32 s53, s[22:23], 0x0
	s_load_b32 s17, s[20:21], 0x0
	s_mov_b32 s20, exec_lo
	s_waitcnt lgkmcnt(0)
	s_ashr_i32 s0, s53, 31
	s_delay_alu instid0(SALU_CYCLE_1) | instskip(NEXT) | instid1(VALU_DEP_1)
	v_or_b32_e32 v3, s0, v21
	v_cmpx_ne_u64_e32 0, v[2:3]
	s_xor_b32 s54, exec_lo, s20
	s_cbranch_execz .LBB68_54
; %bb.53:                               ;   in Loop: Header=BB68_24 Depth=2
	s_add_u32 s22, s53, s0
	s_mov_b32 s20, s0
	s_mov_b32 s21, s0
	s_addc_u32 s23, s0, s0
	s_delay_alu instid0(SALU_CYCLE_1) | instskip(NEXT) | instid1(SALU_CYCLE_1)
	s_xor_b64 s[22:23], s[22:23], s[20:21]
	v_cvt_f32_u32_e32 v3, s22
	v_cvt_f32_u32_e32 v5, s23
	s_sub_u32 s0, 0, s22
	s_subb_u32 s55, 0, s23
	s_delay_alu instid0(VALU_DEP_1) | instskip(NEXT) | instid1(VALU_DEP_1)
	v_fmac_f32_e32 v3, 0x4f800000, v5
	v_rcp_f32_e32 v3, v3
	s_waitcnt_depctr 0xfff
	v_mul_f32_e32 v3, 0x5f7ffffc, v3
	s_delay_alu instid0(VALU_DEP_1) | instskip(NEXT) | instid1(VALU_DEP_1)
	v_mul_f32_e32 v5, 0x2f800000, v3
	v_trunc_f32_e32 v5, v5
	s_delay_alu instid0(VALU_DEP_1) | instskip(SKIP_1) | instid1(VALU_DEP_2)
	v_fmac_f32_e32 v3, 0xcf800000, v5
	v_cvt_u32_f32_e32 v5, v5
	v_cvt_u32_f32_e32 v3, v3
	s_delay_alu instid0(VALU_DEP_2) | instskip(NEXT) | instid1(VALU_DEP_2)
	v_mul_lo_u32 v7, s0, v5
	v_mul_hi_u32 v9, s0, v3
	v_mul_lo_u32 v11, s55, v3
	s_delay_alu instid0(VALU_DEP_2) | instskip(SKIP_1) | instid1(VALU_DEP_2)
	v_add_nc_u32_e32 v7, v9, v7
	v_mul_lo_u32 v9, s0, v3
	v_add_nc_u32_e32 v7, v7, v11
	s_delay_alu instid0(VALU_DEP_2) | instskip(NEXT) | instid1(VALU_DEP_2)
	v_mul_hi_u32 v11, v3, v9
	v_mul_lo_u32 v13, v3, v7
	v_mul_hi_u32 v15, v3, v7
	v_mul_hi_u32 v17, v5, v9
	v_mul_lo_u32 v9, v5, v9
	v_mul_hi_u32 v19, v5, v7
	v_mul_lo_u32 v7, v5, v7
	v_add_co_u32 v11, vcc_lo, v11, v13
	v_add_co_ci_u32_e32 v13, vcc_lo, 0, v15, vcc_lo
	s_delay_alu instid0(VALU_DEP_2) | instskip(NEXT) | instid1(VALU_DEP_2)
	v_add_co_u32 v9, vcc_lo, v11, v9
	v_add_co_ci_u32_e32 v9, vcc_lo, v13, v17, vcc_lo
	v_add_co_ci_u32_e32 v11, vcc_lo, 0, v19, vcc_lo
	v_ashrrev_i32_e32 v17, 31, v21
	s_delay_alu instid0(VALU_DEP_3) | instskip(NEXT) | instid1(VALU_DEP_3)
	v_add_co_u32 v7, vcc_lo, v9, v7
	v_add_co_ci_u32_e32 v9, vcc_lo, 0, v11, vcc_lo
	s_delay_alu instid0(VALU_DEP_2) | instskip(NEXT) | instid1(VALU_DEP_2)
	v_add_co_u32 v3, vcc_lo, v3, v7
	v_add_co_ci_u32_e32 v5, vcc_lo, v5, v9, vcc_lo
	s_delay_alu instid0(VALU_DEP_2) | instskip(SKIP_1) | instid1(VALU_DEP_3)
	v_mul_hi_u32 v7, s0, v3
	v_mul_lo_u32 v11, s55, v3
	v_mul_lo_u32 v9, s0, v5
	s_delay_alu instid0(VALU_DEP_1) | instskip(SKIP_1) | instid1(VALU_DEP_2)
	v_add_nc_u32_e32 v7, v7, v9
	v_mul_lo_u32 v9, s0, v3
	v_add_nc_u32_e32 v7, v7, v11
	s_delay_alu instid0(VALU_DEP_2) | instskip(NEXT) | instid1(VALU_DEP_2)
	v_mul_hi_u32 v11, v3, v9
	v_mul_lo_u32 v13, v3, v7
	v_mul_hi_u32 v15, v3, v7
	v_mul_hi_u32 v19, v5, v9
	v_mul_lo_u32 v9, v5, v9
	v_mul_hi_u32 v22, v5, v7
	v_mul_lo_u32 v7, v5, v7
	v_add_co_u32 v11, vcc_lo, v11, v13
	v_add_co_ci_u32_e32 v13, vcc_lo, 0, v15, vcc_lo
	s_delay_alu instid0(VALU_DEP_2) | instskip(NEXT) | instid1(VALU_DEP_2)
	v_add_co_u32 v9, vcc_lo, v11, v9
	v_add_co_ci_u32_e32 v9, vcc_lo, v13, v19, vcc_lo
	v_add_co_ci_u32_e32 v11, vcc_lo, 0, v22, vcc_lo
	v_add_co_u32 v13, vcc_lo, v20, v17
	v_add_co_ci_u32_e32 v15, vcc_lo, v21, v17, vcc_lo
	s_delay_alu instid0(VALU_DEP_4) | instskip(NEXT) | instid1(VALU_DEP_4)
	v_add_co_u32 v7, vcc_lo, v9, v7
	v_add_co_ci_u32_e32 v9, vcc_lo, 0, v11, vcc_lo
	s_delay_alu instid0(VALU_DEP_4) | instskip(NEXT) | instid1(VALU_DEP_3)
	v_xor_b32_e32 v11, v13, v17
	v_add_co_u32 v3, vcc_lo, v3, v7
	s_delay_alu instid0(VALU_DEP_3) | instskip(SKIP_1) | instid1(VALU_DEP_3)
	v_add_co_ci_u32_e32 v5, vcc_lo, v5, v9, vcc_lo
	v_xor_b32_e32 v7, v15, v17
	v_mul_hi_u32 v9, v11, v3
	s_delay_alu instid0(VALU_DEP_3) | instskip(NEXT) | instid1(VALU_DEP_3)
	v_mad_u64_u32 v[21:22], null, v11, v5, 0
	v_mad_u64_u32 v[27:28], null, v7, v3, 0
	;; [unrolled: 1-line block ×3, first 2 shown]
	s_delay_alu instid0(VALU_DEP_3) | instskip(NEXT) | instid1(VALU_DEP_4)
	v_add_co_u32 v3, vcc_lo, v9, v21
	v_add_co_ci_u32_e32 v5, vcc_lo, 0, v22, vcc_lo
	s_delay_alu instid0(VALU_DEP_2) | instskip(NEXT) | instid1(VALU_DEP_2)
	v_add_co_u32 v3, vcc_lo, v3, v27
	v_add_co_ci_u32_e32 v3, vcc_lo, v5, v28, vcc_lo
	v_add_co_ci_u32_e32 v5, vcc_lo, 0, v30, vcc_lo
	s_delay_alu instid0(VALU_DEP_2) | instskip(NEXT) | instid1(VALU_DEP_2)
	v_add_co_u32 v3, vcc_lo, v3, v29
	v_add_co_ci_u32_e32 v5, vcc_lo, 0, v5, vcc_lo
	s_delay_alu instid0(VALU_DEP_2) | instskip(SKIP_1) | instid1(VALU_DEP_3)
	v_mul_lo_u32 v9, s23, v3
	v_mad_u64_u32 v[21:22], null, s22, v3, 0
	v_mul_lo_u32 v13, s22, v5
	s_delay_alu instid0(VALU_DEP_2) | instskip(NEXT) | instid1(VALU_DEP_2)
	v_sub_co_u32 v11, vcc_lo, v11, v21
	v_add3_u32 v9, v22, v13, v9
	s_delay_alu instid0(VALU_DEP_1) | instskip(NEXT) | instid1(VALU_DEP_1)
	v_sub_nc_u32_e32 v13, v7, v9
	v_subrev_co_ci_u32_e64 v13, s0, s23, v13, vcc_lo
	v_add_co_u32 v15, s0, v3, 2
	s_delay_alu instid0(VALU_DEP_1) | instskip(SKIP_3) | instid1(VALU_DEP_3)
	v_add_co_ci_u32_e64 v19, s0, 0, v5, s0
	v_sub_co_u32 v21, s0, v11, s22
	v_sub_co_ci_u32_e32 v7, vcc_lo, v7, v9, vcc_lo
	v_subrev_co_ci_u32_e64 v13, s0, 0, v13, s0
	v_cmp_le_u32_e32 vcc_lo, s22, v21
	s_delay_alu instid0(VALU_DEP_3) | instskip(SKIP_1) | instid1(VALU_DEP_4)
	v_cmp_eq_u32_e64 s0, s23, v7
	v_cndmask_b32_e64 v9, 0, -1, vcc_lo
	v_cmp_le_u32_e32 vcc_lo, s23, v13
	v_cndmask_b32_e64 v21, 0, -1, vcc_lo
	v_cmp_le_u32_e32 vcc_lo, s22, v11
	;; [unrolled: 2-line block ×3, first 2 shown]
	v_cndmask_b32_e64 v22, 0, -1, vcc_lo
	v_cmp_eq_u32_e32 vcc_lo, s23, v13
	s_delay_alu instid0(VALU_DEP_2) | instskip(SKIP_3) | instid1(VALU_DEP_3)
	v_cndmask_b32_e64 v7, v22, v11, s0
	v_cndmask_b32_e32 v9, v21, v9, vcc_lo
	v_add_co_u32 v13, vcc_lo, v3, 1
	v_add_co_ci_u32_e32 v21, vcc_lo, 0, v5, vcc_lo
	v_cmp_ne_u32_e32 vcc_lo, 0, v9
	s_delay_alu instid0(VALU_DEP_2) | instskip(NEXT) | instid1(VALU_DEP_4)
	v_cndmask_b32_e32 v9, v21, v19, vcc_lo
	v_cndmask_b32_e32 v11, v13, v15, vcc_lo
	v_cmp_ne_u32_e32 vcc_lo, 0, v7
	v_xor_b32_e32 v7, s20, v17
	s_delay_alu instid0(VALU_DEP_3) | instskip(SKIP_2) | instid1(VALU_DEP_3)
	v_cndmask_b32_e32 v3, v3, v11, vcc_lo
	v_cndmask_b32_e32 v5, v5, v9, vcc_lo
	v_xor_b32_e32 v9, s21, v17
	v_xor_b32_e32 v3, v3, v7
	s_delay_alu instid0(VALU_DEP_2) | instskip(NEXT) | instid1(VALU_DEP_2)
	v_xor_b32_e32 v5, v5, v9
	v_sub_co_u32 v22, vcc_lo, v3, v7
	s_delay_alu instid0(VALU_DEP_2)
	v_sub_co_ci_u32_e32 v23, vcc_lo, v5, v9, vcc_lo
.LBB68_54:                              ;   in Loop: Header=BB68_24 Depth=2
	s_and_not1_saveexec_b32 s0, s54
	s_cbranch_execz .LBB68_56
; %bb.55:                               ;   in Loop: Header=BB68_24 Depth=2
	v_cvt_f32_u32_e32 v3, s53
	s_sub_i32 s20, 0, s53
	v_mov_b32_e32 v23, v2
	s_delay_alu instid0(VALU_DEP_2) | instskip(SKIP_2) | instid1(VALU_DEP_1)
	v_rcp_iflag_f32_e32 v3, v3
	s_waitcnt_depctr 0xfff
	v_mul_f32_e32 v3, 0x4f7ffffe, v3
	v_cvt_u32_f32_e32 v3, v3
	s_delay_alu instid0(VALU_DEP_1) | instskip(NEXT) | instid1(VALU_DEP_1)
	v_mul_lo_u32 v5, s20, v3
	v_mul_hi_u32 v5, v3, v5
	s_delay_alu instid0(VALU_DEP_1) | instskip(NEXT) | instid1(VALU_DEP_1)
	v_add_nc_u32_e32 v3, v3, v5
	v_mul_hi_u32 v3, v20, v3
	s_delay_alu instid0(VALU_DEP_1) | instskip(SKIP_1) | instid1(VALU_DEP_2)
	v_mul_lo_u32 v5, v3, s53
	v_add_nc_u32_e32 v7, 1, v3
	v_sub_nc_u32_e32 v5, v20, v5
	s_delay_alu instid0(VALU_DEP_1) | instskip(SKIP_1) | instid1(VALU_DEP_4)
	v_cmp_le_u32_e32 vcc_lo, s53, v5
	v_subrev_nc_u32_e32 v9, s53, v5
	v_cndmask_b32_e32 v3, v3, v7, vcc_lo
	s_delay_alu instid0(VALU_DEP_1) | instskip(NEXT) | instid1(VALU_DEP_3)
	v_add_nc_u32_e32 v7, 1, v3
	v_cndmask_b32_e32 v5, v5, v9, vcc_lo
	s_delay_alu instid0(VALU_DEP_1) | instskip(NEXT) | instid1(VALU_DEP_3)
	v_cmp_le_u32_e32 vcc_lo, s53, v5
	v_cndmask_b32_e32 v22, v3, v7, vcc_lo
.LBB68_56:                              ;   in Loop: Header=BB68_24 Depth=2
	s_or_b32 exec_lo, exec_lo, s0
	v_mul_lo_u32 v3, v8, s41
	v_mul_lo_u32 v5, v10, s43
	;; [unrolled: 1-line block ×4, first 2 shown]
	s_add_u32 s18, s30, s18
	s_addc_u32 s19, s1, s19
	v_mul_lo_u32 v11, v16, s49
	s_load_b32 s0, s[18:19], 0x0
	v_sub_nc_u32_e32 v3, v6, v3
	v_sub_nc_u32_e32 v5, v8, v5
	v_mul_lo_u32 v6, v18, s51
	v_sub_nc_u32_e32 v7, v10, v7
	v_sub_nc_u32_e32 v9, v12, v9
	v_mul_lo_u32 v3, s42, v3
	v_mul_lo_u32 v5, s44, v5
	;; [unrolled: 1-line block ×4, first 2 shown]
	v_sub_nc_u32_e32 v11, v14, v11
	v_sub_nc_u32_e32 v6, v16, v6
	v_mul_lo_u32 v7, s46, v7
	v_mul_lo_u32 v9, s48, v9
	s_add_i32 s16, s16, -8
	v_add3_u32 v3, v3, v4, v5
	v_mul_lo_u32 v4, s50, v11
	v_sub_nc_u32_e32 v5, v18, v8
	v_sub_nc_u32_e32 v8, v20, v10
	v_mul_lo_u32 v6, s14, v6
	s_cmp_eq_u32 s16, -8
	v_add3_u32 v3, v7, v3, v9
	v_mul_lo_u32 v5, s17, v5
	s_waitcnt lgkmcnt(0)
	v_mul_lo_u32 v7, s0, v8
	s_delay_alu instid0(VALU_DEP_3) | instskip(NEXT) | instid1(VALU_DEP_1)
	v_add3_u32 v3, v4, v3, v6
	v_add3_u32 v4, v5, v3, v7
	s_cbranch_scc1 .LBB68_58
; %bb.57:                               ;   in Loop: Header=BB68_24 Depth=2
	v_dual_mov_b32 v6, v22 :: v_dual_mov_b32 v7, v23
	s_branch .LBB68_24
.LBB68_58:                              ;   in Loop: Header=BB68_3 Depth=1
	s_load_b32 s0, s[12:13], 0x0
	s_waitcnt lgkmcnt(0)
	v_cmp_gt_i32_e32 vcc_lo, s0, v26
	s_and_b32 exec_lo, exec_lo, vcc_lo
	s_cbranch_execz .LBB68_2
; %bb.59:                               ;   in Loop: Header=BB68_3 Depth=1
	s_delay_alu instid0(VALU_DEP_2) | instskip(SKIP_1) | instid1(VALU_DEP_2)
	v_ashrrev_i32_e32 v5, 31, v4
	v_add_nc_u32_e32 v3, 1, v26
	v_lshlrev_b64 v[5:6], 1, v[4:5]
	s_delay_alu instid0(VALU_DEP_1) | instskip(NEXT) | instid1(VALU_DEP_2)
	v_add_co_u32 v5, vcc_lo, s2, v5
	v_add_co_ci_u32_e32 v6, vcc_lo, s3, v6, vcc_lo
	s_delay_alu instid0(VALU_DEP_4)
	v_cmp_gt_i32_e32 vcc_lo, s0, v3
	global_store_b16 v[5:6], v2, off
	s_and_b32 exec_lo, exec_lo, vcc_lo
	s_cbranch_execz .LBB68_2
; %bb.60:                               ;   in Loop: Header=BB68_3 Depth=1
	v_sub_nc_u32_e32 v5, v3, v25
	s_mov_b32 s14, exec_lo
	s_delay_alu instid0(VALU_DEP_1) | instskip(NEXT) | instid1(VALU_DEP_1)
	v_ashrrev_i32_e32 v6, 31, v5
	v_cmpx_gt_i64_e64 s[4:5], v[5:6]
	s_cbranch_execz .LBB68_62
; %bb.61:                               ;   in Loop: Header=BB68_3 Depth=1
	v_add_nc_u32_e32 v5, s40, v4
	s_delay_alu instid0(VALU_DEP_1) | instskip(NEXT) | instid1(VALU_DEP_1)
	v_ashrrev_i32_e32 v6, 31, v5
	v_lshlrev_b64 v[5:6], 1, v[5:6]
	s_delay_alu instid0(VALU_DEP_1) | instskip(NEXT) | instid1(VALU_DEP_2)
	v_add_co_u32 v5, vcc_lo, s2, v5
	v_add_co_ci_u32_e32 v6, vcc_lo, s3, v6, vcc_lo
	global_store_b16 v[5:6], v2, off
.LBB68_62:                              ;   in Loop: Header=BB68_3 Depth=1
	s_or_b32 exec_lo, exec_lo, s14
	v_add_nc_u32_e32 v3, 2, v26
	s_delay_alu instid0(VALU_DEP_1)
	v_cmp_gt_i32_e32 vcc_lo, s0, v3
	s_and_b32 exec_lo, exec_lo, vcc_lo
	s_cbranch_execz .LBB68_2
; %bb.63:                               ;   in Loop: Header=BB68_3 Depth=1
	v_sub_nc_u32_e32 v5, v3, v25
	s_mov_b32 s14, exec_lo
	s_delay_alu instid0(VALU_DEP_1) | instskip(NEXT) | instid1(VALU_DEP_1)
	v_ashrrev_i32_e32 v6, 31, v5
	v_cmpx_gt_i64_e64 s[4:5], v[5:6]
	s_cbranch_execz .LBB68_65
; %bb.64:                               ;   in Loop: Header=BB68_3 Depth=1
	v_lshl_add_u32 v5, s40, 1, v4
	s_delay_alu instid0(VALU_DEP_1) | instskip(NEXT) | instid1(VALU_DEP_1)
	v_ashrrev_i32_e32 v6, 31, v5
	v_lshlrev_b64 v[5:6], 1, v[5:6]
	s_delay_alu instid0(VALU_DEP_1) | instskip(NEXT) | instid1(VALU_DEP_2)
	v_add_co_u32 v5, vcc_lo, s2, v5
	v_add_co_ci_u32_e32 v6, vcc_lo, s3, v6, vcc_lo
	global_store_b16 v[5:6], v2, off
.LBB68_65:                              ;   in Loop: Header=BB68_3 Depth=1
	s_or_b32 exec_lo, exec_lo, s14
	v_add_nc_u32_e32 v3, 3, v26
	s_delay_alu instid0(VALU_DEP_1)
	v_cmp_gt_i32_e32 vcc_lo, s0, v3
	s_and_b32 exec_lo, exec_lo, vcc_lo
	s_cbranch_execz .LBB68_2
; %bb.66:                               ;   in Loop: Header=BB68_3 Depth=1
	v_sub_nc_u32_e32 v5, v3, v25
	s_delay_alu instid0(VALU_DEP_1) | instskip(NEXT) | instid1(VALU_DEP_1)
	v_ashrrev_i32_e32 v6, 31, v5
	v_cmp_gt_i64_e32 vcc_lo, s[4:5], v[5:6]
	s_and_b32 exec_lo, exec_lo, vcc_lo
	s_cbranch_execz .LBB68_2
; %bb.67:                               ;   in Loop: Header=BB68_3 Depth=1
	v_mad_u64_u32 v[5:6], null, s40, 3, v[4:5]
	s_delay_alu instid0(VALU_DEP_1) | instskip(NEXT) | instid1(VALU_DEP_1)
	v_ashrrev_i32_e32 v6, 31, v5
	v_lshlrev_b64 v[3:4], 1, v[5:6]
	s_delay_alu instid0(VALU_DEP_1) | instskip(NEXT) | instid1(VALU_DEP_2)
	v_add_co_u32 v3, vcc_lo, s2, v3
	v_add_co_ci_u32_e32 v4, vcc_lo, s3, v4, vcc_lo
	global_store_b16 v[3:4], v2, off
	s_branch .LBB68_2
.LBB68_68:
	s_nop 0
	s_sendmsg sendmsg(MSG_DEALLOC_VGPRS)
	s_endpgm
	.section	.rodata,"a",@progbits
	.p2align	6, 0x0
	.amdhsa_kernel _ZN2at6native16triu_tril_kernelIsiLb1ELi4ELb1EEEvNS_4cuda6detail10TensorInfoIT_T0_EENS4_IKS5_S6_EEllS6_
		.amdhsa_group_segment_fixed_size 0
		.amdhsa_private_segment_fixed_size 0
		.amdhsa_kernarg_size 712
		.amdhsa_user_sgpr_count 15
		.amdhsa_user_sgpr_dispatch_ptr 0
		.amdhsa_user_sgpr_queue_ptr 0
		.amdhsa_user_sgpr_kernarg_segment_ptr 1
		.amdhsa_user_sgpr_dispatch_id 0
		.amdhsa_user_sgpr_private_segment_size 0
		.amdhsa_wavefront_size32 1
		.amdhsa_uses_dynamic_stack 0
		.amdhsa_enable_private_segment 0
		.amdhsa_system_sgpr_workgroup_id_x 1
		.amdhsa_system_sgpr_workgroup_id_y 0
		.amdhsa_system_sgpr_workgroup_id_z 0
		.amdhsa_system_sgpr_workgroup_info 0
		.amdhsa_system_vgpr_workitem_id 0
		.amdhsa_next_free_vgpr 31
		.amdhsa_next_free_sgpr 56
		.amdhsa_reserve_vcc 1
		.amdhsa_float_round_mode_32 0
		.amdhsa_float_round_mode_16_64 0
		.amdhsa_float_denorm_mode_32 3
		.amdhsa_float_denorm_mode_16_64 3
		.amdhsa_dx10_clamp 1
		.amdhsa_ieee_mode 1
		.amdhsa_fp16_overflow 0
		.amdhsa_workgroup_processor_mode 1
		.amdhsa_memory_ordered 1
		.amdhsa_forward_progress 0
		.amdhsa_shared_vgpr_count 0
		.amdhsa_exception_fp_ieee_invalid_op 0
		.amdhsa_exception_fp_denorm_src 0
		.amdhsa_exception_fp_ieee_div_zero 0
		.amdhsa_exception_fp_ieee_overflow 0
		.amdhsa_exception_fp_ieee_underflow 0
		.amdhsa_exception_fp_ieee_inexact 0
		.amdhsa_exception_int_div_zero 0
	.end_amdhsa_kernel
	.section	.text._ZN2at6native16triu_tril_kernelIsiLb1ELi4ELb1EEEvNS_4cuda6detail10TensorInfoIT_T0_EENS4_IKS5_S6_EEllS6_,"axG",@progbits,_ZN2at6native16triu_tril_kernelIsiLb1ELi4ELb1EEEvNS_4cuda6detail10TensorInfoIT_T0_EENS4_IKS5_S6_EEllS6_,comdat
.Lfunc_end68:
	.size	_ZN2at6native16triu_tril_kernelIsiLb1ELi4ELb1EEEvNS_4cuda6detail10TensorInfoIT_T0_EENS4_IKS5_S6_EEllS6_, .Lfunc_end68-_ZN2at6native16triu_tril_kernelIsiLb1ELi4ELb1EEEvNS_4cuda6detail10TensorInfoIT_T0_EENS4_IKS5_S6_EEllS6_
                                        ; -- End function
	.section	.AMDGPU.csdata,"",@progbits
; Kernel info:
; codeLenInByte = 12580
; NumSgprs: 58
; NumVgprs: 31
; ScratchSize: 0
; MemoryBound: 0
; FloatMode: 240
; IeeeMode: 1
; LDSByteSize: 0 bytes/workgroup (compile time only)
; SGPRBlocks: 7
; VGPRBlocks: 3
; NumSGPRsForWavesPerEU: 58
; NumVGPRsForWavesPerEU: 31
; Occupancy: 16
; WaveLimiterHint : 0
; COMPUTE_PGM_RSRC2:SCRATCH_EN: 0
; COMPUTE_PGM_RSRC2:USER_SGPR: 15
; COMPUTE_PGM_RSRC2:TRAP_HANDLER: 0
; COMPUTE_PGM_RSRC2:TGID_X_EN: 1
; COMPUTE_PGM_RSRC2:TGID_Y_EN: 0
; COMPUTE_PGM_RSRC2:TGID_Z_EN: 0
; COMPUTE_PGM_RSRC2:TIDIG_COMP_CNT: 0
	.section	.text._ZN2at6native16triu_tril_kernelIsiLb1ELi4ELb0EEEvNS_4cuda6detail10TensorInfoIT_T0_EENS4_IKS5_S6_EEllS6_,"axG",@progbits,_ZN2at6native16triu_tril_kernelIsiLb1ELi4ELb0EEEvNS_4cuda6detail10TensorInfoIT_T0_EENS4_IKS5_S6_EEllS6_,comdat
	.protected	_ZN2at6native16triu_tril_kernelIsiLb1ELi4ELb0EEEvNS_4cuda6detail10TensorInfoIT_T0_EENS4_IKS5_S6_EEllS6_ ; -- Begin function _ZN2at6native16triu_tril_kernelIsiLb1ELi4ELb0EEEvNS_4cuda6detail10TensorInfoIT_T0_EENS4_IKS5_S6_EEllS6_
	.globl	_ZN2at6native16triu_tril_kernelIsiLb1ELi4ELb0EEEvNS_4cuda6detail10TensorInfoIT_T0_EENS4_IKS5_S6_EEllS6_
	.p2align	8
	.type	_ZN2at6native16triu_tril_kernelIsiLb1ELi4ELb0EEEvNS_4cuda6detail10TensorInfoIT_T0_EENS4_IKS5_S6_EEllS6_,@function
_ZN2at6native16triu_tril_kernelIsiLb1ELi4ELb0EEEvNS_4cuda6detail10TensorInfoIT_T0_EENS4_IKS5_S6_EEllS6_: ; @_ZN2at6native16triu_tril_kernelIsiLb1ELi4ELb0EEEvNS_4cuda6detail10TensorInfoIT_T0_EENS4_IKS5_S6_EEllS6_
; %bb.0:
	s_clause 0x1
	s_load_b32 s2, s[0:1], 0x1d4
	s_load_b128 s[4:7], s[0:1], 0x1b0
	v_mov_b32_e32 v2, 0
	s_add_u32 s10, s0, 0x1c8
	s_addc_u32 s11, s1, 0
	s_delay_alu instid0(VALU_DEP_1) | instskip(SKIP_3) | instid1(VALU_DEP_1)
	v_mov_b32_e32 v1, v2
	s_waitcnt lgkmcnt(0)
	s_and_b32 s12, s2, 0xffff
	s_mov_b32 s2, exec_lo
	v_mad_u64_u32 v[3:4], null, s12, s15, v[0:1]
	s_delay_alu instid0(VALU_DEP_1) | instskip(NEXT) | instid1(VALU_DEP_1)
	v_lshlrev_b64 v[0:1], 2, v[3:4]
	v_cmpx_gt_i64_e64 s[6:7], v[0:1]
	s_cbranch_execz .LBB69_55
; %bb.1:
	s_clause 0x1
	s_load_b32 s26, s[0:1], 0x1a8
	s_load_b32 s33, s[0:1], 0x1c0
	s_add_u32 s40, s0, 0xd8
	s_addc_u32 s41, s1, 0
	s_load_b64 s[2:3], s[0:1], 0xd8
	s_mov_b32 s13, 0
	s_mov_b32 s14, s4
	;; [unrolled: 1-line block ×7, first 2 shown]
	s_waitcnt lgkmcnt(0)
	s_ashr_i32 s27, s26, 31
	s_ashr_i32 s42, s33, 31
	s_lshl_b64 s[8:9], s[26:27], 2
	v_cvt_f32_u32_e32 v3, s33
	s_add_u32 s18, s8, -8
	s_addc_u32 s19, s9, -1
	s_add_u32 s16, s40, s18
	s_addc_u32 s17, s41, s19
	v_rcp_iflag_f32_e32 v3, v3
	s_load_b64 s[8:9], s[16:17], 0x8
	s_load_b32 s28, s[10:11], 0x0
	s_clause 0x1
	s_load_b64 s[16:17], s[16:17], 0x6c
	s_load_b64 s[10:11], s[0:1], 0x0
	v_cmp_gt_i64_e64 s45, s[26:27], 2
	s_waitcnt_depctr 0xfff
	v_mul_f32_e32 v3, 0x4f7ffffe, v3
	s_delay_alu instid0(VALU_DEP_1)
	v_cvt_u32_f32_e32 v18, v3
	s_waitcnt lgkmcnt(0)
	s_ashr_i32 s43, s8, 31
	s_add_u32 s44, s0, 0x6c
	s_addc_u32 s1, s1, 0
	s_add_u32 s20, s44, s18
	s_addc_u32 s21, s1, s19
	s_mul_i32 s28, s28, s12
	s_load_b64 s[20:21], s[20:21], 0x0
	s_and_b32 s47, s26, 3
	s_add_i32 s46, s26, -3
	s_lshl_b32 s48, s28, 2
	s_cmp_lg_u32 s47, 2
	s_mov_b32 s18, s4
	s_cselect_b32 s49, -1, 0
	s_cmp_gt_u32 s46, 2
	s_mov_b32 s19, s5
	s_mov_b32 s26, s17
	s_cselect_b32 s50, -1, 0
	s_ashr_i32 s27, s17, 31
	s_mov_b32 s17, 0
	s_waitcnt lgkmcnt(0)
	s_ashr_i32 s29, s21, 31
	s_mov_b32 s28, s21
	s_branch .LBB69_3
.LBB69_2:                               ;   in Loop: Header=BB69_3 Depth=1
	s_or_b32 exec_lo, exec_lo, s0
	v_add_co_u32 v0, vcc_lo, v0, s48
	v_add_co_ci_u32_e32 v1, vcc_lo, 0, v1, vcc_lo
	s_delay_alu instid0(VALU_DEP_1) | instskip(SKIP_1) | instid1(SALU_CYCLE_1)
	v_cmp_le_i64_e32 vcc_lo, s[6:7], v[0:1]
	s_or_b32 s17, vcc_lo, s17
	s_and_not1_b32 exec_lo, exec_lo, s17
	s_cbranch_execz .LBB69_55
.LBB69_3:                               ; =>This Loop Header: Depth=1
                                        ;     Child Loop BB69_14 Depth 2
                                        ;     Child Loop BB69_22 Depth 2
	v_or_b32_e32 v3, s42, v1
                                        ; implicit-def: $vgpr4_vgpr5
	s_mov_b32 s0, exec_lo
	s_delay_alu instid0(VALU_DEP_1)
	v_cmpx_ne_u64_e32 0, v[2:3]
	s_xor_b32 s12, exec_lo, s0
	s_cbranch_execz .LBB69_5
; %bb.4:                                ;   in Loop: Header=BB69_3 Depth=1
	s_add_u32 s34, s33, s42
	s_mov_b32 s30, s42
	s_mov_b32 s31, s42
	s_addc_u32 s35, s42, s42
	s_delay_alu instid0(SALU_CYCLE_1) | instskip(NEXT) | instid1(SALU_CYCLE_1)
	s_xor_b64 s[34:35], s[34:35], s[30:31]
	v_cvt_f32_u32_e32 v3, s34
	v_cvt_f32_u32_e32 v4, s35
	s_sub_u32 s0, 0, s34
	s_subb_u32 s21, 0, s35
	s_delay_alu instid0(VALU_DEP_1) | instskip(NEXT) | instid1(VALU_DEP_1)
	v_fmac_f32_e32 v3, 0x4f800000, v4
	v_rcp_f32_e32 v3, v3
	s_waitcnt_depctr 0xfff
	v_mul_f32_e32 v3, 0x5f7ffffc, v3
	s_delay_alu instid0(VALU_DEP_1) | instskip(NEXT) | instid1(VALU_DEP_1)
	v_mul_f32_e32 v4, 0x2f800000, v3
	v_trunc_f32_e32 v4, v4
	s_delay_alu instid0(VALU_DEP_1) | instskip(SKIP_1) | instid1(VALU_DEP_2)
	v_fmac_f32_e32 v3, 0xcf800000, v4
	v_cvt_u32_f32_e32 v4, v4
	v_cvt_u32_f32_e32 v3, v3
	s_delay_alu instid0(VALU_DEP_2) | instskip(NEXT) | instid1(VALU_DEP_2)
	v_mul_lo_u32 v5, s0, v4
	v_mul_hi_u32 v6, s0, v3
	v_mul_lo_u32 v7, s21, v3
	s_delay_alu instid0(VALU_DEP_2) | instskip(SKIP_1) | instid1(VALU_DEP_2)
	v_add_nc_u32_e32 v5, v6, v5
	v_mul_lo_u32 v6, s0, v3
	v_add_nc_u32_e32 v5, v5, v7
	s_delay_alu instid0(VALU_DEP_2) | instskip(NEXT) | instid1(VALU_DEP_2)
	v_mul_hi_u32 v7, v3, v6
	v_mul_lo_u32 v8, v3, v5
	v_mul_hi_u32 v9, v3, v5
	v_mul_hi_u32 v10, v4, v6
	v_mul_lo_u32 v6, v4, v6
	v_mul_hi_u32 v11, v4, v5
	v_mul_lo_u32 v5, v4, v5
	v_add_co_u32 v7, vcc_lo, v7, v8
	v_add_co_ci_u32_e32 v8, vcc_lo, 0, v9, vcc_lo
	s_delay_alu instid0(VALU_DEP_2) | instskip(NEXT) | instid1(VALU_DEP_2)
	v_add_co_u32 v6, vcc_lo, v7, v6
	v_add_co_ci_u32_e32 v6, vcc_lo, v8, v10, vcc_lo
	v_add_co_ci_u32_e32 v7, vcc_lo, 0, v11, vcc_lo
	v_ashrrev_i32_e32 v10, 31, v1
	s_delay_alu instid0(VALU_DEP_3) | instskip(NEXT) | instid1(VALU_DEP_3)
	v_add_co_u32 v5, vcc_lo, v6, v5
	v_add_co_ci_u32_e32 v6, vcc_lo, 0, v7, vcc_lo
	s_delay_alu instid0(VALU_DEP_2) | instskip(NEXT) | instid1(VALU_DEP_2)
	v_add_co_u32 v3, vcc_lo, v3, v5
	v_add_co_ci_u32_e32 v4, vcc_lo, v4, v6, vcc_lo
	s_delay_alu instid0(VALU_DEP_2) | instskip(SKIP_1) | instid1(VALU_DEP_3)
	v_mul_hi_u32 v5, s0, v3
	v_mul_lo_u32 v7, s21, v3
	v_mul_lo_u32 v6, s0, v4
	s_delay_alu instid0(VALU_DEP_1) | instskip(SKIP_1) | instid1(VALU_DEP_2)
	v_add_nc_u32_e32 v5, v5, v6
	v_mul_lo_u32 v6, s0, v3
	v_add_nc_u32_e32 v5, v5, v7
	s_delay_alu instid0(VALU_DEP_2) | instskip(NEXT) | instid1(VALU_DEP_2)
	v_mul_hi_u32 v7, v3, v6
	v_mul_lo_u32 v8, v3, v5
	v_mul_hi_u32 v9, v3, v5
	v_mul_hi_u32 v11, v4, v6
	v_mul_lo_u32 v6, v4, v6
	v_mul_hi_u32 v12, v4, v5
	v_mul_lo_u32 v5, v4, v5
	v_add_co_u32 v7, vcc_lo, v7, v8
	v_add_co_ci_u32_e32 v8, vcc_lo, 0, v9, vcc_lo
	s_delay_alu instid0(VALU_DEP_2) | instskip(NEXT) | instid1(VALU_DEP_2)
	v_add_co_u32 v6, vcc_lo, v7, v6
	v_add_co_ci_u32_e32 v6, vcc_lo, v8, v11, vcc_lo
	v_add_co_ci_u32_e32 v7, vcc_lo, 0, v12, vcc_lo
	v_add_co_u32 v8, vcc_lo, v0, v10
	v_add_co_ci_u32_e32 v9, vcc_lo, v1, v10, vcc_lo
	s_delay_alu instid0(VALU_DEP_4) | instskip(NEXT) | instid1(VALU_DEP_4)
	v_add_co_u32 v5, vcc_lo, v6, v5
	v_add_co_ci_u32_e32 v6, vcc_lo, 0, v7, vcc_lo
	s_delay_alu instid0(VALU_DEP_4) | instskip(NEXT) | instid1(VALU_DEP_3)
	v_xor_b32_e32 v11, v8, v10
	v_add_co_u32 v7, vcc_lo, v3, v5
	s_delay_alu instid0(VALU_DEP_3) | instskip(SKIP_1) | instid1(VALU_DEP_3)
	v_add_co_ci_u32_e32 v12, vcc_lo, v4, v6, vcc_lo
	v_xor_b32_e32 v9, v9, v10
	v_mul_hi_u32 v13, v11, v7
	s_delay_alu instid0(VALU_DEP_3) | instskip(NEXT) | instid1(VALU_DEP_3)
	v_mad_u64_u32 v[3:4], null, v11, v12, 0
	v_mad_u64_u32 v[5:6], null, v9, v7, 0
	;; [unrolled: 1-line block ×3, first 2 shown]
	s_delay_alu instid0(VALU_DEP_3) | instskip(NEXT) | instid1(VALU_DEP_4)
	v_add_co_u32 v3, vcc_lo, v13, v3
	v_add_co_ci_u32_e32 v4, vcc_lo, 0, v4, vcc_lo
	s_delay_alu instid0(VALU_DEP_2) | instskip(NEXT) | instid1(VALU_DEP_2)
	v_add_co_u32 v3, vcc_lo, v3, v5
	v_add_co_ci_u32_e32 v3, vcc_lo, v4, v6, vcc_lo
	v_add_co_ci_u32_e32 v4, vcc_lo, 0, v8, vcc_lo
	s_delay_alu instid0(VALU_DEP_2) | instskip(NEXT) | instid1(VALU_DEP_2)
	v_add_co_u32 v5, vcc_lo, v3, v7
	v_add_co_ci_u32_e32 v6, vcc_lo, 0, v4, vcc_lo
	s_delay_alu instid0(VALU_DEP_2) | instskip(SKIP_1) | instid1(VALU_DEP_3)
	v_mul_lo_u32 v7, s35, v5
	v_mad_u64_u32 v[3:4], null, s34, v5, 0
	v_mul_lo_u32 v8, s34, v6
	s_delay_alu instid0(VALU_DEP_2) | instskip(NEXT) | instid1(VALU_DEP_2)
	v_sub_co_u32 v3, vcc_lo, v11, v3
	v_add3_u32 v4, v4, v8, v7
	s_delay_alu instid0(VALU_DEP_1) | instskip(NEXT) | instid1(VALU_DEP_1)
	v_sub_nc_u32_e32 v7, v9, v4
	v_subrev_co_ci_u32_e64 v7, s0, s35, v7, vcc_lo
	v_add_co_u32 v8, s0, v5, 2
	s_delay_alu instid0(VALU_DEP_1) | instskip(SKIP_3) | instid1(VALU_DEP_3)
	v_add_co_ci_u32_e64 v11, s0, 0, v6, s0
	v_sub_co_u32 v12, s0, v3, s34
	v_sub_co_ci_u32_e32 v4, vcc_lo, v9, v4, vcc_lo
	v_subrev_co_ci_u32_e64 v7, s0, 0, v7, s0
	v_cmp_le_u32_e32 vcc_lo, s34, v12
	s_delay_alu instid0(VALU_DEP_3) | instskip(SKIP_1) | instid1(VALU_DEP_4)
	v_cmp_eq_u32_e64 s0, s35, v4
	v_cndmask_b32_e64 v9, 0, -1, vcc_lo
	v_cmp_le_u32_e32 vcc_lo, s35, v7
	v_cndmask_b32_e64 v12, 0, -1, vcc_lo
	v_cmp_le_u32_e32 vcc_lo, s34, v3
	;; [unrolled: 2-line block ×3, first 2 shown]
	v_cndmask_b32_e64 v13, 0, -1, vcc_lo
	v_cmp_eq_u32_e32 vcc_lo, s35, v7
	s_delay_alu instid0(VALU_DEP_2) | instskip(SKIP_3) | instid1(VALU_DEP_3)
	v_cndmask_b32_e64 v3, v13, v3, s0
	v_cndmask_b32_e32 v7, v12, v9, vcc_lo
	v_add_co_u32 v9, vcc_lo, v5, 1
	v_add_co_ci_u32_e32 v12, vcc_lo, 0, v6, vcc_lo
	v_cmp_ne_u32_e32 vcc_lo, 0, v7
	s_delay_alu instid0(VALU_DEP_2) | instskip(SKIP_2) | instid1(VALU_DEP_3)
	v_dual_cndmask_b32 v4, v12, v11 :: v_dual_cndmask_b32 v7, v9, v8
	v_cmp_ne_u32_e32 vcc_lo, 0, v3
	v_xor_b32_e32 v3, s30, v10
	v_dual_cndmask_b32 v5, v5, v7 :: v_dual_cndmask_b32 v4, v6, v4
	v_xor_b32_e32 v6, s31, v10
	s_delay_alu instid0(VALU_DEP_2) | instskip(NEXT) | instid1(VALU_DEP_2)
	v_xor_b32_e32 v5, v5, v3
	v_xor_b32_e32 v7, v4, v6
	s_delay_alu instid0(VALU_DEP_2) | instskip(NEXT) | instid1(VALU_DEP_2)
	v_sub_co_u32 v4, vcc_lo, v5, v3
	v_sub_co_ci_u32_e32 v5, vcc_lo, v7, v6, vcc_lo
.LBB69_5:                               ;   in Loop: Header=BB69_3 Depth=1
	s_and_not1_saveexec_b32 s0, s12
	s_cbranch_execz .LBB69_7
; %bb.6:                                ;   in Loop: Header=BB69_3 Depth=1
	s_sub_i32 s12, 0, s33
	s_delay_alu instid0(SALU_CYCLE_1) | instskip(NEXT) | instid1(VALU_DEP_1)
	v_mul_lo_u32 v3, s12, v18
	v_mul_hi_u32 v3, v18, v3
	s_delay_alu instid0(VALU_DEP_1) | instskip(NEXT) | instid1(VALU_DEP_1)
	v_add_nc_u32_e32 v3, v18, v3
	v_mul_hi_u32 v3, v0, v3
	s_delay_alu instid0(VALU_DEP_1) | instskip(SKIP_1) | instid1(VALU_DEP_2)
	v_mul_lo_u32 v4, v3, s33
	v_add_nc_u32_e32 v5, 1, v3
	v_sub_nc_u32_e32 v4, v0, v4
	s_delay_alu instid0(VALU_DEP_1) | instskip(SKIP_1) | instid1(VALU_DEP_2)
	v_subrev_nc_u32_e32 v6, s33, v4
	v_cmp_le_u32_e32 vcc_lo, s33, v4
	v_dual_cndmask_b32 v4, v4, v6 :: v_dual_cndmask_b32 v3, v3, v5
	s_delay_alu instid0(VALU_DEP_1) | instskip(NEXT) | instid1(VALU_DEP_2)
	v_cmp_le_u32_e32 vcc_lo, s33, v4
	v_add_nc_u32_e32 v5, 1, v3
	s_delay_alu instid0(VALU_DEP_1)
	v_dual_cndmask_b32 v4, v3, v5 :: v_dual_mov_b32 v5, v2
.LBB69_7:                               ;   in Loop: Header=BB69_3 Depth=1
	s_or_b32 exec_lo, exec_lo, s0
	s_delay_alu instid0(VALU_DEP_1) | instskip(SKIP_1) | instid1(VALU_DEP_1)
	v_or_b32_e32 v3, s43, v5
                                        ; implicit-def: $vgpr8_vgpr9
	s_mov_b32 s0, exec_lo
	v_cmpx_ne_u64_e32 0, v[2:3]
	s_xor_b32 s12, exec_lo, s0
	s_cbranch_execz .LBB69_9
; %bb.8:                                ;   in Loop: Header=BB69_3 Depth=1
	s_add_u32 s34, s8, s43
	s_mov_b32 s30, s43
	s_mov_b32 s31, s43
	s_addc_u32 s35, s43, s43
	s_delay_alu instid0(SALU_CYCLE_1) | instskip(NEXT) | instid1(SALU_CYCLE_1)
	s_xor_b64 s[34:35], s[34:35], s[30:31]
	v_cvt_f32_u32_e32 v3, s34
	v_cvt_f32_u32_e32 v6, s35
	s_sub_u32 s0, 0, s34
	s_subb_u32 s21, 0, s35
	s_delay_alu instid0(VALU_DEP_1) | instskip(NEXT) | instid1(VALU_DEP_1)
	v_fmac_f32_e32 v3, 0x4f800000, v6
	v_rcp_f32_e32 v3, v3
	s_waitcnt_depctr 0xfff
	v_mul_f32_e32 v3, 0x5f7ffffc, v3
	s_delay_alu instid0(VALU_DEP_1) | instskip(NEXT) | instid1(VALU_DEP_1)
	v_mul_f32_e32 v6, 0x2f800000, v3
	v_trunc_f32_e32 v6, v6
	s_delay_alu instid0(VALU_DEP_1) | instskip(SKIP_1) | instid1(VALU_DEP_2)
	v_fmac_f32_e32 v3, 0xcf800000, v6
	v_cvt_u32_f32_e32 v6, v6
	v_cvt_u32_f32_e32 v3, v3
	s_delay_alu instid0(VALU_DEP_2) | instskip(NEXT) | instid1(VALU_DEP_2)
	v_mul_lo_u32 v7, s0, v6
	v_mul_hi_u32 v8, s0, v3
	v_mul_lo_u32 v9, s21, v3
	s_delay_alu instid0(VALU_DEP_2) | instskip(SKIP_1) | instid1(VALU_DEP_2)
	v_add_nc_u32_e32 v7, v8, v7
	v_mul_lo_u32 v8, s0, v3
	v_add_nc_u32_e32 v7, v7, v9
	s_delay_alu instid0(VALU_DEP_2) | instskip(NEXT) | instid1(VALU_DEP_2)
	v_mul_hi_u32 v9, v3, v8
	v_mul_lo_u32 v10, v3, v7
	v_mul_hi_u32 v11, v3, v7
	v_mul_hi_u32 v12, v6, v8
	v_mul_lo_u32 v8, v6, v8
	v_mul_hi_u32 v13, v6, v7
	v_mul_lo_u32 v7, v6, v7
	v_add_co_u32 v9, vcc_lo, v9, v10
	v_add_co_ci_u32_e32 v10, vcc_lo, 0, v11, vcc_lo
	s_delay_alu instid0(VALU_DEP_2) | instskip(NEXT) | instid1(VALU_DEP_2)
	v_add_co_u32 v8, vcc_lo, v9, v8
	v_add_co_ci_u32_e32 v8, vcc_lo, v10, v12, vcc_lo
	v_add_co_ci_u32_e32 v9, vcc_lo, 0, v13, vcc_lo
	v_ashrrev_i32_e32 v12, 31, v5
	s_delay_alu instid0(VALU_DEP_3) | instskip(NEXT) | instid1(VALU_DEP_3)
	v_add_co_u32 v7, vcc_lo, v8, v7
	v_add_co_ci_u32_e32 v8, vcc_lo, 0, v9, vcc_lo
	s_delay_alu instid0(VALU_DEP_2) | instskip(NEXT) | instid1(VALU_DEP_2)
	v_add_co_u32 v3, vcc_lo, v3, v7
	v_add_co_ci_u32_e32 v6, vcc_lo, v6, v8, vcc_lo
	s_delay_alu instid0(VALU_DEP_2) | instskip(SKIP_1) | instid1(VALU_DEP_3)
	v_mul_hi_u32 v7, s0, v3
	v_mul_lo_u32 v9, s21, v3
	v_mul_lo_u32 v8, s0, v6
	s_delay_alu instid0(VALU_DEP_1) | instskip(SKIP_1) | instid1(VALU_DEP_2)
	v_add_nc_u32_e32 v7, v7, v8
	v_mul_lo_u32 v8, s0, v3
	v_add_nc_u32_e32 v7, v7, v9
	s_delay_alu instid0(VALU_DEP_2) | instskip(NEXT) | instid1(VALU_DEP_2)
	v_mul_hi_u32 v9, v3, v8
	v_mul_lo_u32 v10, v3, v7
	v_mul_hi_u32 v11, v3, v7
	v_mul_hi_u32 v13, v6, v8
	v_mul_lo_u32 v8, v6, v8
	v_mul_hi_u32 v14, v6, v7
	v_mul_lo_u32 v7, v6, v7
	v_add_co_u32 v9, vcc_lo, v9, v10
	v_add_co_ci_u32_e32 v10, vcc_lo, 0, v11, vcc_lo
	s_delay_alu instid0(VALU_DEP_2) | instskip(NEXT) | instid1(VALU_DEP_2)
	v_add_co_u32 v8, vcc_lo, v9, v8
	v_add_co_ci_u32_e32 v8, vcc_lo, v10, v13, vcc_lo
	v_add_co_ci_u32_e32 v9, vcc_lo, 0, v14, vcc_lo
	v_add_co_u32 v10, vcc_lo, v4, v12
	v_add_co_ci_u32_e32 v5, vcc_lo, v5, v12, vcc_lo
	s_delay_alu instid0(VALU_DEP_4) | instskip(NEXT) | instid1(VALU_DEP_4)
	v_add_co_u32 v7, vcc_lo, v8, v7
	v_add_co_ci_u32_e32 v8, vcc_lo, 0, v9, vcc_lo
	s_delay_alu instid0(VALU_DEP_4) | instskip(NEXT) | instid1(VALU_DEP_3)
	v_xor_b32_e32 v11, v10, v12
	v_add_co_u32 v3, vcc_lo, v3, v7
	s_delay_alu instid0(VALU_DEP_3) | instskip(SKIP_1) | instid1(VALU_DEP_3)
	v_add_co_ci_u32_e32 v13, vcc_lo, v6, v8, vcc_lo
	v_xor_b32_e32 v14, v5, v12
	v_mul_hi_u32 v15, v11, v3
	s_delay_alu instid0(VALU_DEP_3) | instskip(NEXT) | instid1(VALU_DEP_3)
	v_mad_u64_u32 v[5:6], null, v11, v13, 0
	v_mad_u64_u32 v[7:8], null, v14, v3, 0
	;; [unrolled: 1-line block ×3, first 2 shown]
	s_delay_alu instid0(VALU_DEP_3) | instskip(NEXT) | instid1(VALU_DEP_4)
	v_add_co_u32 v3, vcc_lo, v15, v5
	v_add_co_ci_u32_e32 v5, vcc_lo, 0, v6, vcc_lo
	s_delay_alu instid0(VALU_DEP_2) | instskip(NEXT) | instid1(VALU_DEP_2)
	v_add_co_u32 v3, vcc_lo, v3, v7
	v_add_co_ci_u32_e32 v3, vcc_lo, v5, v8, vcc_lo
	v_add_co_ci_u32_e32 v5, vcc_lo, 0, v10, vcc_lo
	s_delay_alu instid0(VALU_DEP_2) | instskip(NEXT) | instid1(VALU_DEP_2)
	v_add_co_u32 v3, vcc_lo, v3, v9
	v_add_co_ci_u32_e32 v7, vcc_lo, 0, v5, vcc_lo
	s_delay_alu instid0(VALU_DEP_2) | instskip(SKIP_1) | instid1(VALU_DEP_3)
	v_mul_lo_u32 v8, s35, v3
	v_mad_u64_u32 v[5:6], null, s34, v3, 0
	v_mul_lo_u32 v9, s34, v7
	s_delay_alu instid0(VALU_DEP_2) | instskip(NEXT) | instid1(VALU_DEP_2)
	v_sub_co_u32 v5, vcc_lo, v11, v5
	v_add3_u32 v6, v6, v9, v8
	s_delay_alu instid0(VALU_DEP_1) | instskip(NEXT) | instid1(VALU_DEP_1)
	v_sub_nc_u32_e32 v8, v14, v6
	v_subrev_co_ci_u32_e64 v8, s0, s35, v8, vcc_lo
	v_add_co_u32 v9, s0, v3, 2
	s_delay_alu instid0(VALU_DEP_1) | instskip(SKIP_3) | instid1(VALU_DEP_3)
	v_add_co_ci_u32_e64 v10, s0, 0, v7, s0
	v_sub_co_u32 v11, s0, v5, s34
	v_sub_co_ci_u32_e32 v6, vcc_lo, v14, v6, vcc_lo
	v_subrev_co_ci_u32_e64 v8, s0, 0, v8, s0
	v_cmp_le_u32_e32 vcc_lo, s34, v11
	s_delay_alu instid0(VALU_DEP_3) | instskip(SKIP_1) | instid1(VALU_DEP_4)
	v_cmp_eq_u32_e64 s0, s35, v6
	v_cndmask_b32_e64 v11, 0, -1, vcc_lo
	v_cmp_le_u32_e32 vcc_lo, s35, v8
	v_cndmask_b32_e64 v13, 0, -1, vcc_lo
	v_cmp_le_u32_e32 vcc_lo, s34, v5
	;; [unrolled: 2-line block ×3, first 2 shown]
	v_cndmask_b32_e64 v14, 0, -1, vcc_lo
	v_cmp_eq_u32_e32 vcc_lo, s35, v8
	s_delay_alu instid0(VALU_DEP_2) | instskip(SKIP_3) | instid1(VALU_DEP_3)
	v_cndmask_b32_e64 v5, v14, v5, s0
	v_cndmask_b32_e32 v8, v13, v11, vcc_lo
	v_add_co_u32 v11, vcc_lo, v3, 1
	v_add_co_ci_u32_e32 v13, vcc_lo, 0, v7, vcc_lo
	v_cmp_ne_u32_e32 vcc_lo, 0, v8
	s_delay_alu instid0(VALU_DEP_3) | instskip(NEXT) | instid1(VALU_DEP_3)
	v_cndmask_b32_e32 v8, v11, v9, vcc_lo
	v_cndmask_b32_e32 v6, v13, v10, vcc_lo
	v_cmp_ne_u32_e32 vcc_lo, 0, v5
	v_xor_b32_e32 v5, s30, v12
	s_delay_alu instid0(VALU_DEP_4) | instskip(NEXT) | instid1(VALU_DEP_4)
	v_cndmask_b32_e32 v3, v3, v8, vcc_lo
	v_cndmask_b32_e32 v6, v7, v6, vcc_lo
	v_xor_b32_e32 v7, s31, v12
	s_delay_alu instid0(VALU_DEP_3) | instskip(NEXT) | instid1(VALU_DEP_2)
	v_xor_b32_e32 v3, v3, v5
	v_xor_b32_e32 v6, v6, v7
	s_delay_alu instid0(VALU_DEP_2) | instskip(NEXT) | instid1(VALU_DEP_2)
	v_sub_co_u32 v8, vcc_lo, v3, v5
	v_sub_co_ci_u32_e32 v9, vcc_lo, v6, v7, vcc_lo
.LBB69_9:                               ;   in Loop: Header=BB69_3 Depth=1
	s_and_not1_saveexec_b32 s0, s12
	s_cbranch_execz .LBB69_11
; %bb.10:                               ;   in Loop: Header=BB69_3 Depth=1
	v_cvt_f32_u32_e32 v3, s8
	s_sub_i32 s12, 0, s8
	v_mov_b32_e32 v9, v2
	s_delay_alu instid0(VALU_DEP_2) | instskip(SKIP_2) | instid1(VALU_DEP_1)
	v_rcp_iflag_f32_e32 v3, v3
	s_waitcnt_depctr 0xfff
	v_mul_f32_e32 v3, 0x4f7ffffe, v3
	v_cvt_u32_f32_e32 v3, v3
	s_delay_alu instid0(VALU_DEP_1) | instskip(NEXT) | instid1(VALU_DEP_1)
	v_mul_lo_u32 v5, s12, v3
	v_mul_hi_u32 v5, v3, v5
	s_delay_alu instid0(VALU_DEP_1) | instskip(NEXT) | instid1(VALU_DEP_1)
	v_add_nc_u32_e32 v3, v3, v5
	v_mul_hi_u32 v3, v4, v3
	s_delay_alu instid0(VALU_DEP_1) | instskip(SKIP_1) | instid1(VALU_DEP_2)
	v_mul_lo_u32 v5, v3, s8
	v_add_nc_u32_e32 v6, 1, v3
	v_sub_nc_u32_e32 v5, v4, v5
	s_delay_alu instid0(VALU_DEP_1) | instskip(SKIP_1) | instid1(VALU_DEP_4)
	v_cmp_le_u32_e32 vcc_lo, s8, v5
	v_subrev_nc_u32_e32 v7, s8, v5
	v_cndmask_b32_e32 v3, v3, v6, vcc_lo
	s_delay_alu instid0(VALU_DEP_1) | instskip(NEXT) | instid1(VALU_DEP_3)
	v_add_nc_u32_e32 v6, 1, v3
	v_cndmask_b32_e32 v5, v5, v7, vcc_lo
	s_delay_alu instid0(VALU_DEP_1) | instskip(NEXT) | instid1(VALU_DEP_3)
	v_cmp_le_u32_e32 vcc_lo, s8, v5
	v_cndmask_b32_e32 v8, v3, v6, vcc_lo
.LBB69_11:                              ;   in Loop: Header=BB69_3 Depth=1
	s_or_b32 exec_lo, exec_lo, s0
	v_mad_u64_u32 v[5:6], null, v4, s33, 0
	s_delay_alu instid0(VALU_DEP_2) | instskip(SKIP_1) | instid1(VALU_DEP_2)
	v_mad_u64_u32 v[6:7], null, v8, s8, 0
	s_and_not1_b32 vcc_lo, exec_lo, s45
	v_sub_co_u32 v19, null, v0, v5
	s_delay_alu instid0(VALU_DEP_2) | instskip(NEXT) | instid1(VALU_DEP_2)
	v_sub_co_u32 v20, null, v4, v6
	v_mul_lo_u32 v3, s26, v19
	v_mul_lo_u32 v10, s28, v19
	s_delay_alu instid0(VALU_DEP_2) | instskip(NEXT) | instid1(VALU_DEP_2)
	v_mad_u64_u32 v[6:7], null, s16, v20, v[3:4]
	v_mad_u64_u32 v[4:5], null, s20, v20, v[10:11]
	s_cbranch_vccnz .LBB69_40
; %bb.12:                               ;   in Loop: Header=BB69_3 Depth=1
	s_and_not1_b32 vcc_lo, exec_lo, s49
	s_mov_b32 s21, 1
	s_cbranch_vccnz .LBB69_20
; %bb.13:                               ;   in Loop: Header=BB69_3 Depth=1
	v_dual_mov_b32 v11, v9 :: v_dual_mov_b32 v10, v8
	s_mov_b32 s12, s46
.LBB69_14:                              ;   Parent Loop BB69_3 Depth=1
                                        ; =>  This Inner Loop Header: Depth=2
	s_delay_alu instid0(SALU_CYCLE_1)
	s_lshl_b64 s[34:35], s[12:13], 2
                                        ; implicit-def: $vgpr8_vgpr9
	s_mov_b32 s36, exec_lo
	s_add_u32 s30, s40, s34
	s_addc_u32 s31, s41, s35
	s_load_b32 s51, s[30:31], 0x8
	s_waitcnt lgkmcnt(0)
	s_ashr_i32 s0, s51, 31
	s_delay_alu instid0(SALU_CYCLE_1) | instskip(NEXT) | instid1(VALU_DEP_1)
	v_or_b32_e32 v3, s0, v11
	v_cmpx_ne_u64_e32 0, v[2:3]
	s_xor_b32 s52, exec_lo, s36
	s_cbranch_execz .LBB69_16
; %bb.15:                               ;   in Loop: Header=BB69_14 Depth=2
	s_add_u32 s38, s51, s0
	s_mov_b32 s36, s0
	s_mov_b32 s37, s0
	s_addc_u32 s39, s0, s0
	s_delay_alu instid0(SALU_CYCLE_1) | instskip(NEXT) | instid1(SALU_CYCLE_1)
	s_xor_b64 s[38:39], s[38:39], s[36:37]
	v_cvt_f32_u32_e32 v3, s38
	v_cvt_f32_u32_e32 v5, s39
	s_sub_u32 s0, 0, s38
	s_subb_u32 s53, 0, s39
	s_delay_alu instid0(VALU_DEP_1) | instskip(NEXT) | instid1(VALU_DEP_1)
	v_fmac_f32_e32 v3, 0x4f800000, v5
	v_rcp_f32_e32 v3, v3
	s_waitcnt_depctr 0xfff
	v_mul_f32_e32 v3, 0x5f7ffffc, v3
	s_delay_alu instid0(VALU_DEP_1) | instskip(NEXT) | instid1(VALU_DEP_1)
	v_mul_f32_e32 v5, 0x2f800000, v3
	v_trunc_f32_e32 v5, v5
	s_delay_alu instid0(VALU_DEP_1) | instskip(SKIP_1) | instid1(VALU_DEP_2)
	v_fmac_f32_e32 v3, 0xcf800000, v5
	v_cvt_u32_f32_e32 v5, v5
	v_cvt_u32_f32_e32 v3, v3
	s_delay_alu instid0(VALU_DEP_2) | instskip(NEXT) | instid1(VALU_DEP_2)
	v_mul_lo_u32 v7, s0, v5
	v_mul_hi_u32 v8, s0, v3
	v_mul_lo_u32 v9, s53, v3
	s_delay_alu instid0(VALU_DEP_2) | instskip(SKIP_1) | instid1(VALU_DEP_2)
	v_add_nc_u32_e32 v7, v8, v7
	v_mul_lo_u32 v8, s0, v3
	v_add_nc_u32_e32 v7, v7, v9
	s_delay_alu instid0(VALU_DEP_2) | instskip(NEXT) | instid1(VALU_DEP_2)
	v_mul_hi_u32 v9, v3, v8
	v_mul_lo_u32 v12, v3, v7
	v_mul_hi_u32 v13, v3, v7
	v_mul_hi_u32 v14, v5, v8
	v_mul_lo_u32 v8, v5, v8
	v_mul_hi_u32 v15, v5, v7
	v_mul_lo_u32 v7, v5, v7
	v_add_co_u32 v9, vcc_lo, v9, v12
	v_add_co_ci_u32_e32 v12, vcc_lo, 0, v13, vcc_lo
	s_delay_alu instid0(VALU_DEP_2) | instskip(NEXT) | instid1(VALU_DEP_2)
	v_add_co_u32 v8, vcc_lo, v9, v8
	v_add_co_ci_u32_e32 v8, vcc_lo, v12, v14, vcc_lo
	v_add_co_ci_u32_e32 v9, vcc_lo, 0, v15, vcc_lo
	v_ashrrev_i32_e32 v15, 31, v11
	s_delay_alu instid0(VALU_DEP_3) | instskip(NEXT) | instid1(VALU_DEP_3)
	v_add_co_u32 v7, vcc_lo, v8, v7
	v_add_co_ci_u32_e32 v8, vcc_lo, 0, v9, vcc_lo
	s_delay_alu instid0(VALU_DEP_2) | instskip(NEXT) | instid1(VALU_DEP_2)
	v_add_co_u32 v3, vcc_lo, v3, v7
	v_add_co_ci_u32_e32 v5, vcc_lo, v5, v8, vcc_lo
	s_delay_alu instid0(VALU_DEP_2) | instskip(SKIP_1) | instid1(VALU_DEP_3)
	v_mul_hi_u32 v7, s0, v3
	v_mul_lo_u32 v9, s53, v3
	v_mul_lo_u32 v8, s0, v5
	s_delay_alu instid0(VALU_DEP_1) | instskip(SKIP_1) | instid1(VALU_DEP_2)
	v_add_nc_u32_e32 v7, v7, v8
	v_mul_lo_u32 v8, s0, v3
	v_add_nc_u32_e32 v7, v7, v9
	s_delay_alu instid0(VALU_DEP_2) | instskip(NEXT) | instid1(VALU_DEP_2)
	v_mul_hi_u32 v9, v3, v8
	v_mul_lo_u32 v12, v3, v7
	v_mul_hi_u32 v13, v3, v7
	v_mul_hi_u32 v14, v5, v8
	v_mul_lo_u32 v8, v5, v8
	v_mul_hi_u32 v16, v5, v7
	v_mul_lo_u32 v7, v5, v7
	v_add_co_u32 v9, vcc_lo, v9, v12
	v_add_co_ci_u32_e32 v12, vcc_lo, 0, v13, vcc_lo
	s_delay_alu instid0(VALU_DEP_2) | instskip(NEXT) | instid1(VALU_DEP_2)
	v_add_co_u32 v8, vcc_lo, v9, v8
	v_add_co_ci_u32_e32 v8, vcc_lo, v12, v14, vcc_lo
	v_add_co_ci_u32_e32 v9, vcc_lo, 0, v16, vcc_lo
	v_add_co_u32 v12, vcc_lo, v10, v15
	v_add_co_ci_u32_e32 v11, vcc_lo, v11, v15, vcc_lo
	s_delay_alu instid0(VALU_DEP_4) | instskip(NEXT) | instid1(VALU_DEP_4)
	v_add_co_u32 v7, vcc_lo, v8, v7
	v_add_co_ci_u32_e32 v8, vcc_lo, 0, v9, vcc_lo
	s_delay_alu instid0(VALU_DEP_4) | instskip(NEXT) | instid1(VALU_DEP_3)
	v_xor_b32_e32 v9, v12, v15
	v_add_co_u32 v3, vcc_lo, v3, v7
	s_delay_alu instid0(VALU_DEP_3) | instskip(SKIP_1) | instid1(VALU_DEP_3)
	v_add_co_ci_u32_e32 v5, vcc_lo, v5, v8, vcc_lo
	v_xor_b32_e32 v16, v11, v15
	v_mul_hi_u32 v17, v9, v3
	s_delay_alu instid0(VALU_DEP_3) | instskip(NEXT) | instid1(VALU_DEP_3)
	v_mad_u64_u32 v[7:8], null, v9, v5, 0
	v_mad_u64_u32 v[11:12], null, v16, v3, 0
	v_mad_u64_u32 v[13:14], null, v16, v5, 0
	s_delay_alu instid0(VALU_DEP_3) | instskip(NEXT) | instid1(VALU_DEP_4)
	v_add_co_u32 v3, vcc_lo, v17, v7
	v_add_co_ci_u32_e32 v5, vcc_lo, 0, v8, vcc_lo
	s_delay_alu instid0(VALU_DEP_2) | instskip(NEXT) | instid1(VALU_DEP_2)
	v_add_co_u32 v3, vcc_lo, v3, v11
	v_add_co_ci_u32_e32 v3, vcc_lo, v5, v12, vcc_lo
	v_add_co_ci_u32_e32 v5, vcc_lo, 0, v14, vcc_lo
	s_delay_alu instid0(VALU_DEP_2) | instskip(NEXT) | instid1(VALU_DEP_2)
	v_add_co_u32 v3, vcc_lo, v3, v13
	v_add_co_ci_u32_e32 v5, vcc_lo, 0, v5, vcc_lo
	s_delay_alu instid0(VALU_DEP_2) | instskip(SKIP_1) | instid1(VALU_DEP_3)
	v_mul_lo_u32 v11, s39, v3
	v_mad_u64_u32 v[7:8], null, s38, v3, 0
	v_mul_lo_u32 v12, s38, v5
	s_delay_alu instid0(VALU_DEP_2) | instskip(NEXT) | instid1(VALU_DEP_2)
	v_sub_co_u32 v7, vcc_lo, v9, v7
	v_add3_u32 v8, v8, v12, v11
	s_delay_alu instid0(VALU_DEP_1) | instskip(NEXT) | instid1(VALU_DEP_1)
	v_sub_nc_u32_e32 v11, v16, v8
	v_subrev_co_ci_u32_e64 v9, s0, s39, v11, vcc_lo
	v_add_co_u32 v11, s0, v3, 2
	s_delay_alu instid0(VALU_DEP_1) | instskip(SKIP_3) | instid1(VALU_DEP_3)
	v_add_co_ci_u32_e64 v12, s0, 0, v5, s0
	v_sub_co_u32 v13, s0, v7, s38
	v_sub_co_ci_u32_e32 v8, vcc_lo, v16, v8, vcc_lo
	v_subrev_co_ci_u32_e64 v9, s0, 0, v9, s0
	v_cmp_le_u32_e32 vcc_lo, s38, v13
	s_delay_alu instid0(VALU_DEP_3) | instskip(SKIP_1) | instid1(VALU_DEP_4)
	v_cmp_eq_u32_e64 s0, s39, v8
	v_cndmask_b32_e64 v13, 0, -1, vcc_lo
	v_cmp_le_u32_e32 vcc_lo, s39, v9
	v_cndmask_b32_e64 v14, 0, -1, vcc_lo
	v_cmp_le_u32_e32 vcc_lo, s38, v7
	;; [unrolled: 2-line block ×3, first 2 shown]
	v_cndmask_b32_e64 v16, 0, -1, vcc_lo
	v_cmp_eq_u32_e32 vcc_lo, s39, v9
	s_delay_alu instid0(VALU_DEP_2) | instskip(SKIP_3) | instid1(VALU_DEP_3)
	v_cndmask_b32_e64 v7, v16, v7, s0
	v_cndmask_b32_e32 v9, v14, v13, vcc_lo
	v_add_co_u32 v13, vcc_lo, v3, 1
	v_add_co_ci_u32_e32 v14, vcc_lo, 0, v5, vcc_lo
	v_cmp_ne_u32_e32 vcc_lo, 0, v9
	s_delay_alu instid0(VALU_DEP_2) | instskip(SKIP_2) | instid1(VALU_DEP_3)
	v_dual_cndmask_b32 v8, v14, v12 :: v_dual_cndmask_b32 v9, v13, v11
	v_cmp_ne_u32_e32 vcc_lo, 0, v7
	v_xor_b32_e32 v7, s36, v15
	v_cndmask_b32_e32 v3, v3, v9, vcc_lo
	s_delay_alu instid0(VALU_DEP_4) | instskip(SKIP_1) | instid1(VALU_DEP_3)
	v_cndmask_b32_e32 v5, v5, v8, vcc_lo
	v_xor_b32_e32 v9, s37, v15
	v_xor_b32_e32 v3, v3, v7
	s_delay_alu instid0(VALU_DEP_2) | instskip(NEXT) | instid1(VALU_DEP_2)
	v_xor_b32_e32 v5, v5, v9
	v_sub_co_u32 v8, vcc_lo, v3, v7
	s_delay_alu instid0(VALU_DEP_2)
	v_sub_co_ci_u32_e32 v9, vcc_lo, v5, v9, vcc_lo
.LBB69_16:                              ;   in Loop: Header=BB69_14 Depth=2
	s_and_not1_saveexec_b32 s0, s52
	s_cbranch_execz .LBB69_18
; %bb.17:                               ;   in Loop: Header=BB69_14 Depth=2
	v_cvt_f32_u32_e32 v3, s51
	s_sub_i32 s36, 0, s51
	v_mov_b32_e32 v9, v2
	s_delay_alu instid0(VALU_DEP_2) | instskip(SKIP_2) | instid1(VALU_DEP_1)
	v_rcp_iflag_f32_e32 v3, v3
	s_waitcnt_depctr 0xfff
	v_mul_f32_e32 v3, 0x4f7ffffe, v3
	v_cvt_u32_f32_e32 v3, v3
	s_delay_alu instid0(VALU_DEP_1) | instskip(NEXT) | instid1(VALU_DEP_1)
	v_mul_lo_u32 v5, s36, v3
	v_mul_hi_u32 v5, v3, v5
	s_delay_alu instid0(VALU_DEP_1) | instskip(NEXT) | instid1(VALU_DEP_1)
	v_add_nc_u32_e32 v3, v3, v5
	v_mul_hi_u32 v3, v10, v3
	s_delay_alu instid0(VALU_DEP_1) | instskip(SKIP_1) | instid1(VALU_DEP_2)
	v_mul_lo_u32 v5, v3, s51
	v_add_nc_u32_e32 v7, 1, v3
	v_sub_nc_u32_e32 v5, v10, v5
	s_delay_alu instid0(VALU_DEP_1) | instskip(SKIP_1) | instid1(VALU_DEP_4)
	v_cmp_le_u32_e32 vcc_lo, s51, v5
	v_subrev_nc_u32_e32 v8, s51, v5
	v_cndmask_b32_e32 v3, v3, v7, vcc_lo
	s_delay_alu instid0(VALU_DEP_1) | instskip(NEXT) | instid1(VALU_DEP_3)
	v_add_nc_u32_e32 v7, 1, v3
	v_cndmask_b32_e32 v5, v5, v8, vcc_lo
	s_delay_alu instid0(VALU_DEP_1) | instskip(NEXT) | instid1(VALU_DEP_3)
	v_cmp_le_u32_e32 vcc_lo, s51, v5
	v_cndmask_b32_e32 v8, v3, v7, vcc_lo
.LBB69_18:                              ;   in Loop: Header=BB69_14 Depth=2
	s_or_b32 exec_lo, exec_lo, s0
	s_add_u32 s34, s44, s34
	s_addc_u32 s35, s1, s35
	s_clause 0x1
	s_load_b32 s0, s[30:31], 0x6c
	s_load_b32 s30, s[34:35], 0x0
	v_mul_lo_u32 v3, v8, s51
	s_add_i32 s12, s12, -1
	s_delay_alu instid0(VALU_DEP_1) | instskip(SKIP_1) | instid1(VALU_DEP_1)
	v_sub_nc_u32_e32 v3, v10, v3
	s_waitcnt lgkmcnt(0)
	v_mad_u64_u32 v[10:11], null, s0, v3, v[6:7]
	v_mad_u64_u32 v[5:6], null, s30, v3, v[4:5]
	s_xor_b32 s0, s47, s21
	s_add_i32 s21, s21, 1
	s_cmp_lg_u32 s0, 2
	s_delay_alu instid0(VALU_DEP_2) | instskip(NEXT) | instid1(VALU_DEP_2)
	v_mov_b32_e32 v6, v10
	v_mov_b32_e32 v4, v5
	s_cbranch_scc0 .LBB69_21
; %bb.19:                               ;   in Loop: Header=BB69_14 Depth=2
	v_dual_mov_b32 v11, v9 :: v_dual_mov_b32 v10, v8
	s_branch .LBB69_14
.LBB69_20:                              ;   in Loop: Header=BB69_3 Depth=1
	s_mov_b32 s12, s46
.LBB69_21:                              ;   in Loop: Header=BB69_3 Depth=1
	s_and_b32 vcc_lo, exec_lo, s50
	s_cbranch_vccz .LBB69_40
.LBB69_22:                              ;   Parent Loop BB69_3 Depth=1
                                        ; =>  This Inner Loop Header: Depth=2
	s_lshl_b64 s[30:31], s[12:13], 2
                                        ; implicit-def: $vgpr10_vgpr11
	s_mov_b32 s36, exec_lo
	s_add_u32 s34, s40, s30
	s_addc_u32 s35, s41, s31
	s_load_b32 s21, s[34:35], 0x8
	s_waitcnt lgkmcnt(0)
	s_ashr_i32 s0, s21, 31
	s_delay_alu instid0(SALU_CYCLE_1) | instskip(NEXT) | instid1(VALU_DEP_1)
	v_or_b32_e32 v3, s0, v9
	v_cmpx_ne_u64_e32 0, v[2:3]
	s_xor_b32 s51, exec_lo, s36
	s_cbranch_execz .LBB69_24
; %bb.23:                               ;   in Loop: Header=BB69_22 Depth=2
	s_add_u32 s38, s21, s0
	s_mov_b32 s36, s0
	s_mov_b32 s37, s0
	s_addc_u32 s39, s0, s0
	s_delay_alu instid0(SALU_CYCLE_1) | instskip(NEXT) | instid1(SALU_CYCLE_1)
	s_xor_b64 s[38:39], s[38:39], s[36:37]
	v_cvt_f32_u32_e32 v3, s38
	v_cvt_f32_u32_e32 v5, s39
	s_sub_u32 s0, 0, s38
	s_subb_u32 s52, 0, s39
	s_delay_alu instid0(VALU_DEP_1) | instskip(NEXT) | instid1(VALU_DEP_1)
	v_fmac_f32_e32 v3, 0x4f800000, v5
	v_rcp_f32_e32 v3, v3
	s_waitcnt_depctr 0xfff
	v_mul_f32_e32 v3, 0x5f7ffffc, v3
	s_delay_alu instid0(VALU_DEP_1) | instskip(NEXT) | instid1(VALU_DEP_1)
	v_mul_f32_e32 v5, 0x2f800000, v3
	v_trunc_f32_e32 v5, v5
	s_delay_alu instid0(VALU_DEP_1) | instskip(SKIP_1) | instid1(VALU_DEP_2)
	v_fmac_f32_e32 v3, 0xcf800000, v5
	v_cvt_u32_f32_e32 v5, v5
	v_cvt_u32_f32_e32 v3, v3
	s_delay_alu instid0(VALU_DEP_2) | instskip(NEXT) | instid1(VALU_DEP_2)
	v_mul_lo_u32 v7, s0, v5
	v_mul_hi_u32 v10, s0, v3
	v_mul_lo_u32 v11, s52, v3
	s_delay_alu instid0(VALU_DEP_2) | instskip(SKIP_1) | instid1(VALU_DEP_2)
	v_add_nc_u32_e32 v7, v10, v7
	v_mul_lo_u32 v10, s0, v3
	v_add_nc_u32_e32 v7, v7, v11
	s_delay_alu instid0(VALU_DEP_2) | instskip(NEXT) | instid1(VALU_DEP_2)
	v_mul_hi_u32 v11, v3, v10
	v_mul_lo_u32 v12, v3, v7
	v_mul_hi_u32 v13, v3, v7
	v_mul_hi_u32 v14, v5, v10
	v_mul_lo_u32 v10, v5, v10
	v_mul_hi_u32 v15, v5, v7
	v_mul_lo_u32 v7, v5, v7
	v_add_co_u32 v11, vcc_lo, v11, v12
	v_add_co_ci_u32_e32 v12, vcc_lo, 0, v13, vcc_lo
	s_delay_alu instid0(VALU_DEP_2) | instskip(NEXT) | instid1(VALU_DEP_2)
	v_add_co_u32 v10, vcc_lo, v11, v10
	v_add_co_ci_u32_e32 v10, vcc_lo, v12, v14, vcc_lo
	v_add_co_ci_u32_e32 v11, vcc_lo, 0, v15, vcc_lo
	v_ashrrev_i32_e32 v15, 31, v9
	s_delay_alu instid0(VALU_DEP_3) | instskip(NEXT) | instid1(VALU_DEP_3)
	v_add_co_u32 v7, vcc_lo, v10, v7
	v_add_co_ci_u32_e32 v10, vcc_lo, 0, v11, vcc_lo
	s_delay_alu instid0(VALU_DEP_2) | instskip(NEXT) | instid1(VALU_DEP_2)
	v_add_co_u32 v3, vcc_lo, v3, v7
	v_add_co_ci_u32_e32 v5, vcc_lo, v5, v10, vcc_lo
	s_delay_alu instid0(VALU_DEP_2) | instskip(SKIP_1) | instid1(VALU_DEP_3)
	v_mul_hi_u32 v7, s0, v3
	v_mul_lo_u32 v11, s52, v3
	v_mul_lo_u32 v10, s0, v5
	s_delay_alu instid0(VALU_DEP_1) | instskip(SKIP_1) | instid1(VALU_DEP_2)
	v_add_nc_u32_e32 v7, v7, v10
	v_mul_lo_u32 v10, s0, v3
	v_add_nc_u32_e32 v7, v7, v11
	s_delay_alu instid0(VALU_DEP_2) | instskip(NEXT) | instid1(VALU_DEP_2)
	v_mul_hi_u32 v11, v3, v10
	v_mul_lo_u32 v12, v3, v7
	v_mul_hi_u32 v13, v3, v7
	v_mul_hi_u32 v14, v5, v10
	v_mul_lo_u32 v10, v5, v10
	v_mul_hi_u32 v16, v5, v7
	v_mul_lo_u32 v7, v5, v7
	v_add_co_u32 v11, vcc_lo, v11, v12
	v_add_co_ci_u32_e32 v12, vcc_lo, 0, v13, vcc_lo
	s_delay_alu instid0(VALU_DEP_2) | instskip(NEXT) | instid1(VALU_DEP_2)
	v_add_co_u32 v10, vcc_lo, v11, v10
	v_add_co_ci_u32_e32 v10, vcc_lo, v12, v14, vcc_lo
	v_add_co_ci_u32_e32 v11, vcc_lo, 0, v16, vcc_lo
	v_add_co_u32 v12, vcc_lo, v8, v15
	v_add_co_ci_u32_e32 v9, vcc_lo, v9, v15, vcc_lo
	s_delay_alu instid0(VALU_DEP_4) | instskip(NEXT) | instid1(VALU_DEP_4)
	v_add_co_u32 v7, vcc_lo, v10, v7
	v_add_co_ci_u32_e32 v10, vcc_lo, 0, v11, vcc_lo
	s_delay_alu instid0(VALU_DEP_4) | instskip(NEXT) | instid1(VALU_DEP_3)
	v_xor_b32_e32 v16, v12, v15
	v_add_co_u32 v3, vcc_lo, v3, v7
	s_delay_alu instid0(VALU_DEP_3) | instskip(SKIP_1) | instid1(VALU_DEP_3)
	v_add_co_ci_u32_e32 v5, vcc_lo, v5, v10, vcc_lo
	v_xor_b32_e32 v7, v9, v15
	v_mul_hi_u32 v17, v16, v3
	s_delay_alu instid0(VALU_DEP_3) | instskip(NEXT) | instid1(VALU_DEP_3)
	v_mad_u64_u32 v[9:10], null, v16, v5, 0
	v_mad_u64_u32 v[11:12], null, v7, v3, 0
	;; [unrolled: 1-line block ×3, first 2 shown]
	s_delay_alu instid0(VALU_DEP_3) | instskip(NEXT) | instid1(VALU_DEP_4)
	v_add_co_u32 v3, vcc_lo, v17, v9
	v_add_co_ci_u32_e32 v5, vcc_lo, 0, v10, vcc_lo
	s_delay_alu instid0(VALU_DEP_2) | instskip(NEXT) | instid1(VALU_DEP_2)
	v_add_co_u32 v3, vcc_lo, v3, v11
	v_add_co_ci_u32_e32 v3, vcc_lo, v5, v12, vcc_lo
	v_add_co_ci_u32_e32 v5, vcc_lo, 0, v14, vcc_lo
	s_delay_alu instid0(VALU_DEP_2) | instskip(NEXT) | instid1(VALU_DEP_2)
	v_add_co_u32 v3, vcc_lo, v3, v13
	v_add_co_ci_u32_e32 v5, vcc_lo, 0, v5, vcc_lo
	s_delay_alu instid0(VALU_DEP_2) | instskip(SKIP_1) | instid1(VALU_DEP_3)
	v_mul_lo_u32 v11, s39, v3
	v_mad_u64_u32 v[9:10], null, s38, v3, 0
	v_mul_lo_u32 v12, s38, v5
	s_delay_alu instid0(VALU_DEP_2) | instskip(NEXT) | instid1(VALU_DEP_2)
	v_sub_co_u32 v9, vcc_lo, v16, v9
	v_add3_u32 v10, v10, v12, v11
	s_delay_alu instid0(VALU_DEP_1) | instskip(NEXT) | instid1(VALU_DEP_1)
	v_sub_nc_u32_e32 v11, v7, v10
	v_subrev_co_ci_u32_e64 v11, s0, s39, v11, vcc_lo
	v_add_co_u32 v12, s0, v3, 2
	s_delay_alu instid0(VALU_DEP_1) | instskip(SKIP_3) | instid1(VALU_DEP_3)
	v_add_co_ci_u32_e64 v13, s0, 0, v5, s0
	v_sub_co_u32 v14, s0, v9, s38
	v_sub_co_ci_u32_e32 v7, vcc_lo, v7, v10, vcc_lo
	v_subrev_co_ci_u32_e64 v11, s0, 0, v11, s0
	v_cmp_le_u32_e32 vcc_lo, s38, v14
	s_delay_alu instid0(VALU_DEP_3) | instskip(SKIP_1) | instid1(VALU_DEP_4)
	v_cmp_eq_u32_e64 s0, s39, v7
	v_cndmask_b32_e64 v10, 0, -1, vcc_lo
	v_cmp_le_u32_e32 vcc_lo, s39, v11
	v_cndmask_b32_e64 v14, 0, -1, vcc_lo
	v_cmp_le_u32_e32 vcc_lo, s38, v9
	;; [unrolled: 2-line block ×3, first 2 shown]
	v_cndmask_b32_e64 v16, 0, -1, vcc_lo
	v_cmp_eq_u32_e32 vcc_lo, s39, v11
	s_delay_alu instid0(VALU_DEP_2) | instskip(SKIP_3) | instid1(VALU_DEP_3)
	v_cndmask_b32_e64 v7, v16, v9, s0
	v_cndmask_b32_e32 v10, v14, v10, vcc_lo
	v_add_co_u32 v11, vcc_lo, v3, 1
	v_add_co_ci_u32_e32 v14, vcc_lo, 0, v5, vcc_lo
	v_cmp_ne_u32_e32 vcc_lo, 0, v10
	s_delay_alu instid0(VALU_DEP_2) | instskip(SKIP_2) | instid1(VALU_DEP_3)
	v_dual_cndmask_b32 v10, v11, v12 :: v_dual_cndmask_b32 v9, v14, v13
	v_cmp_ne_u32_e32 vcc_lo, 0, v7
	v_xor_b32_e32 v7, s36, v15
	v_cndmask_b32_e32 v3, v3, v10, vcc_lo
	s_delay_alu instid0(VALU_DEP_4) | instskip(SKIP_1) | instid1(VALU_DEP_3)
	v_cndmask_b32_e32 v5, v5, v9, vcc_lo
	v_xor_b32_e32 v9, s37, v15
	v_xor_b32_e32 v3, v3, v7
	s_delay_alu instid0(VALU_DEP_2) | instskip(NEXT) | instid1(VALU_DEP_2)
	v_xor_b32_e32 v5, v5, v9
	v_sub_co_u32 v10, vcc_lo, v3, v7
	s_delay_alu instid0(VALU_DEP_2)
	v_sub_co_ci_u32_e32 v11, vcc_lo, v5, v9, vcc_lo
.LBB69_24:                              ;   in Loop: Header=BB69_22 Depth=2
	s_and_not1_saveexec_b32 s0, s51
	s_cbranch_execz .LBB69_26
; %bb.25:                               ;   in Loop: Header=BB69_22 Depth=2
	v_cvt_f32_u32_e32 v3, s21
	s_sub_i32 s36, 0, s21
	v_mov_b32_e32 v11, v2
	s_delay_alu instid0(VALU_DEP_2) | instskip(SKIP_2) | instid1(VALU_DEP_1)
	v_rcp_iflag_f32_e32 v3, v3
	s_waitcnt_depctr 0xfff
	v_mul_f32_e32 v3, 0x4f7ffffe, v3
	v_cvt_u32_f32_e32 v3, v3
	s_delay_alu instid0(VALU_DEP_1) | instskip(NEXT) | instid1(VALU_DEP_1)
	v_mul_lo_u32 v5, s36, v3
	v_mul_hi_u32 v5, v3, v5
	s_delay_alu instid0(VALU_DEP_1) | instskip(NEXT) | instid1(VALU_DEP_1)
	v_add_nc_u32_e32 v3, v3, v5
	v_mul_hi_u32 v3, v8, v3
	s_delay_alu instid0(VALU_DEP_1) | instskip(SKIP_1) | instid1(VALU_DEP_2)
	v_mul_lo_u32 v5, v3, s21
	v_add_nc_u32_e32 v7, 1, v3
	v_sub_nc_u32_e32 v5, v8, v5
	s_delay_alu instid0(VALU_DEP_1) | instskip(SKIP_1) | instid1(VALU_DEP_4)
	v_cmp_le_u32_e32 vcc_lo, s21, v5
	v_subrev_nc_u32_e32 v9, s21, v5
	v_cndmask_b32_e32 v3, v3, v7, vcc_lo
	s_delay_alu instid0(VALU_DEP_1) | instskip(NEXT) | instid1(VALU_DEP_3)
	v_add_nc_u32_e32 v7, 1, v3
	v_cndmask_b32_e32 v5, v5, v9, vcc_lo
	s_delay_alu instid0(VALU_DEP_1) | instskip(NEXT) | instid1(VALU_DEP_3)
	v_cmp_le_u32_e32 vcc_lo, s21, v5
	v_cndmask_b32_e32 v10, v3, v7, vcc_lo
.LBB69_26:                              ;   in Loop: Header=BB69_22 Depth=2
	s_or_b32 exec_lo, exec_lo, s0
	s_add_u32 s38, s44, s30
	s_addc_u32 s39, s1, s31
	s_add_i32 s30, s12, -1
	s_mov_b32 s31, s13
                                        ; implicit-def: $vgpr12_vgpr13
	s_delay_alu instid0(SALU_CYCLE_1) | instskip(NEXT) | instid1(SALU_CYCLE_1)
	s_lshl_b64 s[36:37], s[30:31], 2
	s_add_u32 s30, s40, s36
	s_addc_u32 s31, s41, s37
	s_clause 0x2
	s_load_b32 s53, s[30:31], 0x8
	s_load_b32 s51, s[34:35], 0x6c
	;; [unrolled: 1-line block ×3, first 2 shown]
	s_mov_b32 s34, exec_lo
	s_waitcnt lgkmcnt(0)
	s_ashr_i32 s0, s53, 31
	s_delay_alu instid0(SALU_CYCLE_1) | instskip(NEXT) | instid1(VALU_DEP_1)
	v_or_b32_e32 v3, s0, v11
	v_cmpx_ne_u64_e32 0, v[2:3]
	s_xor_b32 s54, exec_lo, s34
	s_cbranch_execz .LBB69_28
; %bb.27:                               ;   in Loop: Header=BB69_22 Depth=2
	s_add_u32 s38, s53, s0
	s_mov_b32 s34, s0
	s_mov_b32 s35, s0
	s_addc_u32 s39, s0, s0
	v_ashrrev_i32_e32 v17, 31, v11
	s_xor_b64 s[38:39], s[38:39], s[34:35]
	s_delay_alu instid0(SALU_CYCLE_1) | instskip(SKIP_3) | instid1(VALU_DEP_1)
	v_cvt_f32_u32_e32 v3, s38
	v_cvt_f32_u32_e32 v5, s39
	s_sub_u32 s0, 0, s38
	s_subb_u32 s55, 0, s39
	v_fmac_f32_e32 v3, 0x4f800000, v5
	s_delay_alu instid0(VALU_DEP_1) | instskip(SKIP_2) | instid1(VALU_DEP_1)
	v_rcp_f32_e32 v3, v3
	s_waitcnt_depctr 0xfff
	v_mul_f32_e32 v3, 0x5f7ffffc, v3
	v_mul_f32_e32 v5, 0x2f800000, v3
	s_delay_alu instid0(VALU_DEP_1) | instskip(NEXT) | instid1(VALU_DEP_1)
	v_trunc_f32_e32 v5, v5
	v_fmac_f32_e32 v3, 0xcf800000, v5
	v_cvt_u32_f32_e32 v5, v5
	s_delay_alu instid0(VALU_DEP_2) | instskip(NEXT) | instid1(VALU_DEP_2)
	v_cvt_u32_f32_e32 v3, v3
	v_mul_lo_u32 v7, s0, v5
	s_delay_alu instid0(VALU_DEP_2) | instskip(SKIP_1) | instid1(VALU_DEP_2)
	v_mul_hi_u32 v9, s0, v3
	v_mul_lo_u32 v12, s55, v3
	v_add_nc_u32_e32 v7, v9, v7
	v_mul_lo_u32 v9, s0, v3
	s_delay_alu instid0(VALU_DEP_2) | instskip(NEXT) | instid1(VALU_DEP_2)
	v_add_nc_u32_e32 v7, v7, v12
	v_mul_hi_u32 v12, v3, v9
	s_delay_alu instid0(VALU_DEP_2)
	v_mul_lo_u32 v13, v3, v7
	v_mul_hi_u32 v14, v3, v7
	v_mul_hi_u32 v15, v5, v9
	v_mul_lo_u32 v9, v5, v9
	v_mul_hi_u32 v16, v5, v7
	v_mul_lo_u32 v7, v5, v7
	v_add_co_u32 v12, vcc_lo, v12, v13
	v_add_co_ci_u32_e32 v13, vcc_lo, 0, v14, vcc_lo
	s_delay_alu instid0(VALU_DEP_2) | instskip(NEXT) | instid1(VALU_DEP_2)
	v_add_co_u32 v9, vcc_lo, v12, v9
	v_add_co_ci_u32_e32 v9, vcc_lo, v13, v15, vcc_lo
	v_add_co_ci_u32_e32 v12, vcc_lo, 0, v16, vcc_lo
	s_delay_alu instid0(VALU_DEP_2) | instskip(NEXT) | instid1(VALU_DEP_2)
	v_add_co_u32 v7, vcc_lo, v9, v7
	v_add_co_ci_u32_e32 v9, vcc_lo, 0, v12, vcc_lo
	s_delay_alu instid0(VALU_DEP_2) | instskip(NEXT) | instid1(VALU_DEP_2)
	v_add_co_u32 v3, vcc_lo, v3, v7
	v_add_co_ci_u32_e32 v5, vcc_lo, v5, v9, vcc_lo
	s_delay_alu instid0(VALU_DEP_2) | instskip(SKIP_1) | instid1(VALU_DEP_3)
	v_mul_hi_u32 v7, s0, v3
	v_mul_lo_u32 v12, s55, v3
	v_mul_lo_u32 v9, s0, v5
	s_delay_alu instid0(VALU_DEP_1) | instskip(SKIP_1) | instid1(VALU_DEP_2)
	v_add_nc_u32_e32 v7, v7, v9
	v_mul_lo_u32 v9, s0, v3
	v_add_nc_u32_e32 v7, v7, v12
	s_delay_alu instid0(VALU_DEP_2) | instskip(NEXT) | instid1(VALU_DEP_2)
	v_mul_hi_u32 v12, v3, v9
	v_mul_lo_u32 v13, v3, v7
	v_mul_hi_u32 v14, v3, v7
	v_mul_hi_u32 v15, v5, v9
	v_mul_lo_u32 v9, v5, v9
	v_mul_hi_u32 v16, v5, v7
	v_mul_lo_u32 v7, v5, v7
	v_add_co_u32 v12, vcc_lo, v12, v13
	v_add_co_ci_u32_e32 v13, vcc_lo, 0, v14, vcc_lo
	s_delay_alu instid0(VALU_DEP_2) | instskip(NEXT) | instid1(VALU_DEP_2)
	v_add_co_u32 v9, vcc_lo, v12, v9
	v_add_co_ci_u32_e32 v9, vcc_lo, v13, v15, vcc_lo
	v_add_co_ci_u32_e32 v12, vcc_lo, 0, v16, vcc_lo
	v_add_co_u32 v13, vcc_lo, v10, v17
	v_add_co_ci_u32_e32 v11, vcc_lo, v11, v17, vcc_lo
	s_delay_alu instid0(VALU_DEP_4) | instskip(NEXT) | instid1(VALU_DEP_4)
	v_add_co_u32 v7, vcc_lo, v9, v7
	v_add_co_ci_u32_e32 v9, vcc_lo, 0, v12, vcc_lo
	s_delay_alu instid0(VALU_DEP_4) | instskip(NEXT) | instid1(VALU_DEP_3)
	v_xor_b32_e32 v21, v13, v17
	v_add_co_u32 v3, vcc_lo, v3, v7
	s_delay_alu instid0(VALU_DEP_3) | instskip(SKIP_1) | instid1(VALU_DEP_3)
	v_add_co_ci_u32_e32 v5, vcc_lo, v5, v9, vcc_lo
	v_xor_b32_e32 v7, v11, v17
	v_mul_hi_u32 v9, v21, v3
	s_delay_alu instid0(VALU_DEP_3) | instskip(NEXT) | instid1(VALU_DEP_3)
	v_mad_u64_u32 v[11:12], null, v21, v5, 0
	v_mad_u64_u32 v[13:14], null, v7, v3, 0
	;; [unrolled: 1-line block ×3, first 2 shown]
	s_delay_alu instid0(VALU_DEP_3) | instskip(NEXT) | instid1(VALU_DEP_4)
	v_add_co_u32 v3, vcc_lo, v9, v11
	v_add_co_ci_u32_e32 v5, vcc_lo, 0, v12, vcc_lo
	s_delay_alu instid0(VALU_DEP_2) | instskip(NEXT) | instid1(VALU_DEP_2)
	v_add_co_u32 v3, vcc_lo, v3, v13
	v_add_co_ci_u32_e32 v3, vcc_lo, v5, v14, vcc_lo
	v_add_co_ci_u32_e32 v5, vcc_lo, 0, v16, vcc_lo
	s_delay_alu instid0(VALU_DEP_2) | instskip(NEXT) | instid1(VALU_DEP_2)
	v_add_co_u32 v3, vcc_lo, v3, v15
	v_add_co_ci_u32_e32 v5, vcc_lo, 0, v5, vcc_lo
	s_delay_alu instid0(VALU_DEP_2) | instskip(SKIP_1) | instid1(VALU_DEP_3)
	v_mul_lo_u32 v9, s39, v3
	v_mad_u64_u32 v[11:12], null, s38, v3, 0
	v_mul_lo_u32 v13, s38, v5
	s_delay_alu instid0(VALU_DEP_2) | instskip(NEXT) | instid1(VALU_DEP_2)
	v_sub_co_u32 v11, vcc_lo, v21, v11
	v_add3_u32 v9, v12, v13, v9
	s_delay_alu instid0(VALU_DEP_1) | instskip(NEXT) | instid1(VALU_DEP_1)
	v_sub_nc_u32_e32 v12, v7, v9
	v_subrev_co_ci_u32_e64 v12, s0, s39, v12, vcc_lo
	v_add_co_u32 v13, s0, v3, 2
	s_delay_alu instid0(VALU_DEP_1) | instskip(SKIP_3) | instid1(VALU_DEP_3)
	v_add_co_ci_u32_e64 v14, s0, 0, v5, s0
	v_sub_co_u32 v15, s0, v11, s38
	v_sub_co_ci_u32_e32 v7, vcc_lo, v7, v9, vcc_lo
	v_subrev_co_ci_u32_e64 v12, s0, 0, v12, s0
	v_cmp_le_u32_e32 vcc_lo, s38, v15
	s_delay_alu instid0(VALU_DEP_3) | instskip(SKIP_1) | instid1(VALU_DEP_4)
	v_cmp_eq_u32_e64 s0, s39, v7
	v_cndmask_b32_e64 v9, 0, -1, vcc_lo
	v_cmp_le_u32_e32 vcc_lo, s39, v12
	v_cndmask_b32_e64 v15, 0, -1, vcc_lo
	v_cmp_le_u32_e32 vcc_lo, s38, v11
	;; [unrolled: 2-line block ×3, first 2 shown]
	v_cndmask_b32_e64 v16, 0, -1, vcc_lo
	v_cmp_eq_u32_e32 vcc_lo, s39, v12
	s_delay_alu instid0(VALU_DEP_2) | instskip(SKIP_3) | instid1(VALU_DEP_3)
	v_cndmask_b32_e64 v7, v16, v11, s0
	v_cndmask_b32_e32 v9, v15, v9, vcc_lo
	v_add_co_u32 v12, vcc_lo, v3, 1
	v_add_co_ci_u32_e32 v15, vcc_lo, 0, v5, vcc_lo
	v_cmp_ne_u32_e32 vcc_lo, 0, v9
	s_delay_alu instid0(VALU_DEP_2) | instskip(NEXT) | instid1(VALU_DEP_4)
	v_cndmask_b32_e32 v9, v15, v14, vcc_lo
	v_cndmask_b32_e32 v11, v12, v13, vcc_lo
	v_cmp_ne_u32_e32 vcc_lo, 0, v7
	v_xor_b32_e32 v7, s34, v17
	s_delay_alu instid0(VALU_DEP_3) | instskip(SKIP_2) | instid1(VALU_DEP_3)
	v_cndmask_b32_e32 v3, v3, v11, vcc_lo
	v_cndmask_b32_e32 v5, v5, v9, vcc_lo
	v_xor_b32_e32 v9, s35, v17
	v_xor_b32_e32 v3, v3, v7
	s_delay_alu instid0(VALU_DEP_2) | instskip(NEXT) | instid1(VALU_DEP_2)
	v_xor_b32_e32 v5, v5, v9
	v_sub_co_u32 v12, vcc_lo, v3, v7
	s_delay_alu instid0(VALU_DEP_2)
	v_sub_co_ci_u32_e32 v13, vcc_lo, v5, v9, vcc_lo
.LBB69_28:                              ;   in Loop: Header=BB69_22 Depth=2
	s_and_not1_saveexec_b32 s0, s54
	s_cbranch_execz .LBB69_30
; %bb.29:                               ;   in Loop: Header=BB69_22 Depth=2
	v_cvt_f32_u32_e32 v3, s53
	s_sub_i32 s34, 0, s53
	v_mov_b32_e32 v13, v2
	s_delay_alu instid0(VALU_DEP_2) | instskip(SKIP_2) | instid1(VALU_DEP_1)
	v_rcp_iflag_f32_e32 v3, v3
	s_waitcnt_depctr 0xfff
	v_mul_f32_e32 v3, 0x4f7ffffe, v3
	v_cvt_u32_f32_e32 v3, v3
	s_delay_alu instid0(VALU_DEP_1) | instskip(NEXT) | instid1(VALU_DEP_1)
	v_mul_lo_u32 v5, s34, v3
	v_mul_hi_u32 v5, v3, v5
	s_delay_alu instid0(VALU_DEP_1) | instskip(NEXT) | instid1(VALU_DEP_1)
	v_add_nc_u32_e32 v3, v3, v5
	v_mul_hi_u32 v3, v10, v3
	s_delay_alu instid0(VALU_DEP_1) | instskip(SKIP_1) | instid1(VALU_DEP_2)
	v_mul_lo_u32 v5, v3, s53
	v_add_nc_u32_e32 v7, 1, v3
	v_sub_nc_u32_e32 v5, v10, v5
	s_delay_alu instid0(VALU_DEP_1) | instskip(SKIP_1) | instid1(VALU_DEP_4)
	v_cmp_le_u32_e32 vcc_lo, s53, v5
	v_subrev_nc_u32_e32 v9, s53, v5
	v_cndmask_b32_e32 v3, v3, v7, vcc_lo
	s_delay_alu instid0(VALU_DEP_1) | instskip(NEXT) | instid1(VALU_DEP_3)
	v_add_nc_u32_e32 v7, 1, v3
	v_cndmask_b32_e32 v5, v5, v9, vcc_lo
	s_delay_alu instid0(VALU_DEP_1) | instskip(NEXT) | instid1(VALU_DEP_3)
	v_cmp_le_u32_e32 vcc_lo, s53, v5
	v_cndmask_b32_e32 v12, v3, v7, vcc_lo
.LBB69_30:                              ;   in Loop: Header=BB69_22 Depth=2
	s_or_b32 exec_lo, exec_lo, s0
	s_add_u32 s38, s44, s36
	s_addc_u32 s39, s1, s37
	s_add_i32 s34, s12, -2
	s_mov_b32 s35, s13
                                        ; implicit-def: $vgpr14_vgpr15
	s_delay_alu instid0(SALU_CYCLE_1) | instskip(NEXT) | instid1(SALU_CYCLE_1)
	s_lshl_b64 s[34:35], s[34:35], 2
	s_add_u32 s36, s40, s34
	s_addc_u32 s37, s41, s35
	s_clause 0x2
	s_load_b32 s56, s[36:37], 0x8
	s_load_b32 s54, s[30:31], 0x6c
	s_load_b32 s55, s[38:39], 0x0
	s_mov_b32 s30, exec_lo
	s_waitcnt lgkmcnt(0)
	s_ashr_i32 s0, s56, 31
	s_delay_alu instid0(SALU_CYCLE_1) | instskip(NEXT) | instid1(VALU_DEP_1)
	v_or_b32_e32 v3, s0, v13
	v_cmpx_ne_u64_e32 0, v[2:3]
	s_xor_b32 s57, exec_lo, s30
	s_cbranch_execz .LBB69_32
; %bb.31:                               ;   in Loop: Header=BB69_22 Depth=2
	s_add_u32 s38, s56, s0
	s_mov_b32 s30, s0
	s_mov_b32 s31, s0
	s_addc_u32 s39, s0, s0
	s_delay_alu instid0(SALU_CYCLE_1) | instskip(NEXT) | instid1(SALU_CYCLE_1)
	s_xor_b64 s[38:39], s[38:39], s[30:31]
	v_cvt_f32_u32_e32 v3, s38
	v_cvt_f32_u32_e32 v5, s39
	s_sub_u32 s0, 0, s38
	s_subb_u32 s58, 0, s39
	s_delay_alu instid0(VALU_DEP_1) | instskip(NEXT) | instid1(VALU_DEP_1)
	v_fmac_f32_e32 v3, 0x4f800000, v5
	v_rcp_f32_e32 v3, v3
	s_waitcnt_depctr 0xfff
	v_mul_f32_e32 v3, 0x5f7ffffc, v3
	s_delay_alu instid0(VALU_DEP_1) | instskip(NEXT) | instid1(VALU_DEP_1)
	v_mul_f32_e32 v5, 0x2f800000, v3
	v_trunc_f32_e32 v5, v5
	s_delay_alu instid0(VALU_DEP_1) | instskip(SKIP_1) | instid1(VALU_DEP_2)
	v_fmac_f32_e32 v3, 0xcf800000, v5
	v_cvt_u32_f32_e32 v5, v5
	v_cvt_u32_f32_e32 v3, v3
	s_delay_alu instid0(VALU_DEP_2) | instskip(NEXT) | instid1(VALU_DEP_2)
	v_mul_lo_u32 v7, s0, v5
	v_mul_hi_u32 v9, s0, v3
	v_mul_lo_u32 v11, s58, v3
	s_delay_alu instid0(VALU_DEP_2) | instskip(SKIP_1) | instid1(VALU_DEP_2)
	v_add_nc_u32_e32 v7, v9, v7
	v_mul_lo_u32 v9, s0, v3
	v_add_nc_u32_e32 v7, v7, v11
	s_delay_alu instid0(VALU_DEP_2) | instskip(NEXT) | instid1(VALU_DEP_2)
	v_mul_hi_u32 v11, v3, v9
	v_mul_lo_u32 v14, v3, v7
	v_mul_hi_u32 v15, v3, v7
	v_mul_hi_u32 v16, v5, v9
	v_mul_lo_u32 v9, v5, v9
	v_mul_hi_u32 v17, v5, v7
	v_mul_lo_u32 v7, v5, v7
	v_add_co_u32 v11, vcc_lo, v11, v14
	v_add_co_ci_u32_e32 v14, vcc_lo, 0, v15, vcc_lo
	s_delay_alu instid0(VALU_DEP_2) | instskip(NEXT) | instid1(VALU_DEP_2)
	v_add_co_u32 v9, vcc_lo, v11, v9
	v_add_co_ci_u32_e32 v9, vcc_lo, v14, v16, vcc_lo
	v_add_co_ci_u32_e32 v11, vcc_lo, 0, v17, vcc_lo
	v_ashrrev_i32_e32 v17, 31, v13
	s_delay_alu instid0(VALU_DEP_3) | instskip(NEXT) | instid1(VALU_DEP_3)
	v_add_co_u32 v7, vcc_lo, v9, v7
	v_add_co_ci_u32_e32 v9, vcc_lo, 0, v11, vcc_lo
	s_delay_alu instid0(VALU_DEP_2) | instskip(NEXT) | instid1(VALU_DEP_2)
	v_add_co_u32 v3, vcc_lo, v3, v7
	v_add_co_ci_u32_e32 v5, vcc_lo, v5, v9, vcc_lo
	s_delay_alu instid0(VALU_DEP_2) | instskip(SKIP_1) | instid1(VALU_DEP_3)
	v_mul_hi_u32 v7, s0, v3
	v_mul_lo_u32 v11, s58, v3
	v_mul_lo_u32 v9, s0, v5
	s_delay_alu instid0(VALU_DEP_1) | instskip(SKIP_1) | instid1(VALU_DEP_2)
	v_add_nc_u32_e32 v7, v7, v9
	v_mul_lo_u32 v9, s0, v3
	v_add_nc_u32_e32 v7, v7, v11
	s_delay_alu instid0(VALU_DEP_2) | instskip(NEXT) | instid1(VALU_DEP_2)
	v_mul_hi_u32 v11, v3, v9
	v_mul_lo_u32 v14, v3, v7
	v_mul_hi_u32 v15, v3, v7
	v_mul_hi_u32 v16, v5, v9
	v_mul_lo_u32 v9, v5, v9
	v_mul_hi_u32 v21, v5, v7
	v_mul_lo_u32 v7, v5, v7
	v_add_co_u32 v11, vcc_lo, v11, v14
	v_add_co_ci_u32_e32 v14, vcc_lo, 0, v15, vcc_lo
	s_delay_alu instid0(VALU_DEP_2) | instskip(NEXT) | instid1(VALU_DEP_2)
	v_add_co_u32 v9, vcc_lo, v11, v9
	v_add_co_ci_u32_e32 v9, vcc_lo, v14, v16, vcc_lo
	v_add_co_ci_u32_e32 v11, vcc_lo, 0, v21, vcc_lo
	v_add_co_u32 v14, vcc_lo, v12, v17
	v_add_co_ci_u32_e32 v13, vcc_lo, v13, v17, vcc_lo
	s_delay_alu instid0(VALU_DEP_4) | instskip(NEXT) | instid1(VALU_DEP_4)
	v_add_co_u32 v7, vcc_lo, v9, v7
	v_add_co_ci_u32_e32 v9, vcc_lo, 0, v11, vcc_lo
	s_delay_alu instid0(VALU_DEP_4) | instskip(NEXT) | instid1(VALU_DEP_3)
	v_xor_b32_e32 v11, v14, v17
	v_add_co_u32 v3, vcc_lo, v3, v7
	s_delay_alu instid0(VALU_DEP_3) | instskip(SKIP_1) | instid1(VALU_DEP_3)
	v_add_co_ci_u32_e32 v5, vcc_lo, v5, v9, vcc_lo
	v_xor_b32_e32 v7, v13, v17
	v_mul_hi_u32 v9, v11, v3
	s_delay_alu instid0(VALU_DEP_3) | instskip(NEXT) | instid1(VALU_DEP_3)
	v_mad_u64_u32 v[13:14], null, v11, v5, 0
	v_mad_u64_u32 v[15:16], null, v7, v3, 0
	;; [unrolled: 1-line block ×3, first 2 shown]
	s_delay_alu instid0(VALU_DEP_3) | instskip(NEXT) | instid1(VALU_DEP_4)
	v_add_co_u32 v3, vcc_lo, v9, v13
	v_add_co_ci_u32_e32 v5, vcc_lo, 0, v14, vcc_lo
	s_delay_alu instid0(VALU_DEP_2) | instskip(NEXT) | instid1(VALU_DEP_2)
	v_add_co_u32 v3, vcc_lo, v3, v15
	v_add_co_ci_u32_e32 v3, vcc_lo, v5, v16, vcc_lo
	v_add_co_ci_u32_e32 v5, vcc_lo, 0, v22, vcc_lo
	s_delay_alu instid0(VALU_DEP_2) | instskip(NEXT) | instid1(VALU_DEP_2)
	v_add_co_u32 v3, vcc_lo, v3, v21
	v_add_co_ci_u32_e32 v5, vcc_lo, 0, v5, vcc_lo
	s_delay_alu instid0(VALU_DEP_2) | instskip(SKIP_1) | instid1(VALU_DEP_3)
	v_mul_lo_u32 v9, s39, v3
	v_mad_u64_u32 v[13:14], null, s38, v3, 0
	v_mul_lo_u32 v15, s38, v5
	s_delay_alu instid0(VALU_DEP_2) | instskip(NEXT) | instid1(VALU_DEP_2)
	v_sub_co_u32 v11, vcc_lo, v11, v13
	v_add3_u32 v9, v14, v15, v9
	s_delay_alu instid0(VALU_DEP_1) | instskip(NEXT) | instid1(VALU_DEP_1)
	v_sub_nc_u32_e32 v14, v7, v9
	v_subrev_co_ci_u32_e64 v13, s0, s39, v14, vcc_lo
	v_add_co_u32 v14, s0, v3, 2
	s_delay_alu instid0(VALU_DEP_1) | instskip(SKIP_3) | instid1(VALU_DEP_3)
	v_add_co_ci_u32_e64 v15, s0, 0, v5, s0
	v_sub_co_u32 v16, s0, v11, s38
	v_sub_co_ci_u32_e32 v7, vcc_lo, v7, v9, vcc_lo
	v_subrev_co_ci_u32_e64 v13, s0, 0, v13, s0
	v_cmp_le_u32_e32 vcc_lo, s38, v16
	s_delay_alu instid0(VALU_DEP_3) | instskip(SKIP_1) | instid1(VALU_DEP_4)
	v_cmp_eq_u32_e64 s0, s39, v7
	v_cndmask_b32_e64 v9, 0, -1, vcc_lo
	v_cmp_le_u32_e32 vcc_lo, s39, v13
	v_cndmask_b32_e64 v16, 0, -1, vcc_lo
	v_cmp_le_u32_e32 vcc_lo, s38, v11
	;; [unrolled: 2-line block ×3, first 2 shown]
	v_cndmask_b32_e64 v21, 0, -1, vcc_lo
	v_cmp_eq_u32_e32 vcc_lo, s39, v13
	s_delay_alu instid0(VALU_DEP_2) | instskip(SKIP_3) | instid1(VALU_DEP_3)
	v_cndmask_b32_e64 v7, v21, v11, s0
	v_cndmask_b32_e32 v9, v16, v9, vcc_lo
	v_add_co_u32 v13, vcc_lo, v3, 1
	v_add_co_ci_u32_e32 v16, vcc_lo, 0, v5, vcc_lo
	v_cmp_ne_u32_e32 vcc_lo, 0, v9
	s_delay_alu instid0(VALU_DEP_2) | instskip(NEXT) | instid1(VALU_DEP_4)
	v_cndmask_b32_e32 v9, v16, v15, vcc_lo
	v_cndmask_b32_e32 v11, v13, v14, vcc_lo
	v_cmp_ne_u32_e32 vcc_lo, 0, v7
	v_xor_b32_e32 v7, s30, v17
	s_delay_alu instid0(VALU_DEP_3) | instskip(SKIP_2) | instid1(VALU_DEP_3)
	v_cndmask_b32_e32 v3, v3, v11, vcc_lo
	v_cndmask_b32_e32 v5, v5, v9, vcc_lo
	v_xor_b32_e32 v9, s31, v17
	v_xor_b32_e32 v3, v3, v7
	s_delay_alu instid0(VALU_DEP_2) | instskip(NEXT) | instid1(VALU_DEP_2)
	v_xor_b32_e32 v5, v5, v9
	v_sub_co_u32 v14, vcc_lo, v3, v7
	s_delay_alu instid0(VALU_DEP_2)
	v_sub_co_ci_u32_e32 v15, vcc_lo, v5, v9, vcc_lo
.LBB69_32:                              ;   in Loop: Header=BB69_22 Depth=2
	s_and_not1_saveexec_b32 s0, s57
	s_cbranch_execz .LBB69_34
; %bb.33:                               ;   in Loop: Header=BB69_22 Depth=2
	v_cvt_f32_u32_e32 v3, s56
	s_sub_i32 s30, 0, s56
	v_mov_b32_e32 v15, v2
	s_delay_alu instid0(VALU_DEP_2) | instskip(SKIP_2) | instid1(VALU_DEP_1)
	v_rcp_iflag_f32_e32 v3, v3
	s_waitcnt_depctr 0xfff
	v_mul_f32_e32 v3, 0x4f7ffffe, v3
	v_cvt_u32_f32_e32 v3, v3
	s_delay_alu instid0(VALU_DEP_1) | instskip(NEXT) | instid1(VALU_DEP_1)
	v_mul_lo_u32 v5, s30, v3
	v_mul_hi_u32 v5, v3, v5
	s_delay_alu instid0(VALU_DEP_1) | instskip(NEXT) | instid1(VALU_DEP_1)
	v_add_nc_u32_e32 v3, v3, v5
	v_mul_hi_u32 v3, v12, v3
	s_delay_alu instid0(VALU_DEP_1) | instskip(SKIP_1) | instid1(VALU_DEP_2)
	v_mul_lo_u32 v5, v3, s56
	v_add_nc_u32_e32 v7, 1, v3
	v_sub_nc_u32_e32 v5, v12, v5
	s_delay_alu instid0(VALU_DEP_1) | instskip(SKIP_1) | instid1(VALU_DEP_4)
	v_cmp_le_u32_e32 vcc_lo, s56, v5
	v_subrev_nc_u32_e32 v9, s56, v5
	v_cndmask_b32_e32 v3, v3, v7, vcc_lo
	s_delay_alu instid0(VALU_DEP_1) | instskip(NEXT) | instid1(VALU_DEP_3)
	v_add_nc_u32_e32 v7, 1, v3
	v_cndmask_b32_e32 v5, v5, v9, vcc_lo
	s_delay_alu instid0(VALU_DEP_1) | instskip(NEXT) | instid1(VALU_DEP_3)
	v_cmp_le_u32_e32 vcc_lo, s56, v5
	v_cndmask_b32_e32 v14, v3, v7, vcc_lo
.LBB69_34:                              ;   in Loop: Header=BB69_22 Depth=2
	s_or_b32 exec_lo, exec_lo, s0
	s_add_u32 s38, s44, s34
	s_addc_u32 s39, s1, s35
	s_add_i32 s30, s12, -3
	s_mov_b32 s31, s13
                                        ; implicit-def: $vgpr16_vgpr17
	s_delay_alu instid0(SALU_CYCLE_1) | instskip(NEXT) | instid1(SALU_CYCLE_1)
	s_lshl_b64 s[34:35], s[30:31], 2
	s_add_u32 s30, s40, s34
	s_addc_u32 s31, s41, s35
	s_clause 0x2
	s_load_b32 s59, s[30:31], 0x8
	s_load_b32 s57, s[36:37], 0x6c
	;; [unrolled: 1-line block ×3, first 2 shown]
	s_mov_b32 s36, exec_lo
	s_waitcnt lgkmcnt(0)
	s_ashr_i32 s0, s59, 31
	s_delay_alu instid0(SALU_CYCLE_1) | instskip(NEXT) | instid1(VALU_DEP_1)
	v_or_b32_e32 v3, s0, v15
	v_cmpx_ne_u64_e32 0, v[2:3]
	s_xor_b32 s60, exec_lo, s36
	s_cbranch_execz .LBB69_36
; %bb.35:                               ;   in Loop: Header=BB69_22 Depth=2
	s_add_u32 s38, s59, s0
	s_mov_b32 s36, s0
	s_mov_b32 s37, s0
	s_addc_u32 s39, s0, s0
	s_delay_alu instid0(SALU_CYCLE_1) | instskip(NEXT) | instid1(SALU_CYCLE_1)
	s_xor_b64 s[38:39], s[38:39], s[36:37]
	v_cvt_f32_u32_e32 v3, s38
	v_cvt_f32_u32_e32 v5, s39
	s_sub_u32 s0, 0, s38
	s_subb_u32 s61, 0, s39
	s_delay_alu instid0(VALU_DEP_1) | instskip(NEXT) | instid1(VALU_DEP_1)
	v_fmac_f32_e32 v3, 0x4f800000, v5
	v_rcp_f32_e32 v3, v3
	s_waitcnt_depctr 0xfff
	v_mul_f32_e32 v3, 0x5f7ffffc, v3
	s_delay_alu instid0(VALU_DEP_1) | instskip(NEXT) | instid1(VALU_DEP_1)
	v_mul_f32_e32 v5, 0x2f800000, v3
	v_trunc_f32_e32 v5, v5
	s_delay_alu instid0(VALU_DEP_1) | instskip(SKIP_1) | instid1(VALU_DEP_2)
	v_fmac_f32_e32 v3, 0xcf800000, v5
	v_cvt_u32_f32_e32 v5, v5
	v_cvt_u32_f32_e32 v3, v3
	s_delay_alu instid0(VALU_DEP_2) | instskip(NEXT) | instid1(VALU_DEP_2)
	v_mul_lo_u32 v7, s0, v5
	v_mul_hi_u32 v9, s0, v3
	v_mul_lo_u32 v11, s61, v3
	s_delay_alu instid0(VALU_DEP_2) | instskip(SKIP_1) | instid1(VALU_DEP_2)
	v_add_nc_u32_e32 v7, v9, v7
	v_mul_lo_u32 v9, s0, v3
	v_add_nc_u32_e32 v7, v7, v11
	s_delay_alu instid0(VALU_DEP_2) | instskip(NEXT) | instid1(VALU_DEP_2)
	v_mul_hi_u32 v11, v3, v9
	v_mul_lo_u32 v13, v3, v7
	v_mul_hi_u32 v16, v3, v7
	v_mul_hi_u32 v17, v5, v9
	v_mul_lo_u32 v9, v5, v9
	v_mul_hi_u32 v21, v5, v7
	v_mul_lo_u32 v7, v5, v7
	v_add_co_u32 v11, vcc_lo, v11, v13
	v_add_co_ci_u32_e32 v13, vcc_lo, 0, v16, vcc_lo
	s_delay_alu instid0(VALU_DEP_2) | instskip(NEXT) | instid1(VALU_DEP_2)
	v_add_co_u32 v9, vcc_lo, v11, v9
	v_add_co_ci_u32_e32 v9, vcc_lo, v13, v17, vcc_lo
	v_add_co_ci_u32_e32 v11, vcc_lo, 0, v21, vcc_lo
	v_ashrrev_i32_e32 v17, 31, v15
	s_delay_alu instid0(VALU_DEP_3) | instskip(NEXT) | instid1(VALU_DEP_3)
	v_add_co_u32 v7, vcc_lo, v9, v7
	v_add_co_ci_u32_e32 v9, vcc_lo, 0, v11, vcc_lo
	s_delay_alu instid0(VALU_DEP_2) | instskip(NEXT) | instid1(VALU_DEP_2)
	v_add_co_u32 v3, vcc_lo, v3, v7
	v_add_co_ci_u32_e32 v5, vcc_lo, v5, v9, vcc_lo
	s_delay_alu instid0(VALU_DEP_2) | instskip(SKIP_1) | instid1(VALU_DEP_3)
	v_mul_hi_u32 v7, s0, v3
	v_mul_lo_u32 v11, s61, v3
	v_mul_lo_u32 v9, s0, v5
	s_delay_alu instid0(VALU_DEP_1) | instskip(SKIP_1) | instid1(VALU_DEP_2)
	v_add_nc_u32_e32 v7, v7, v9
	v_mul_lo_u32 v9, s0, v3
	v_add_nc_u32_e32 v7, v7, v11
	s_delay_alu instid0(VALU_DEP_2) | instskip(NEXT) | instid1(VALU_DEP_2)
	v_mul_hi_u32 v11, v3, v9
	v_mul_lo_u32 v13, v3, v7
	v_mul_hi_u32 v16, v3, v7
	v_mul_hi_u32 v21, v5, v9
	v_mul_lo_u32 v9, v5, v9
	v_mul_hi_u32 v22, v5, v7
	v_mul_lo_u32 v7, v5, v7
	v_add_co_u32 v11, vcc_lo, v11, v13
	v_add_co_ci_u32_e32 v13, vcc_lo, 0, v16, vcc_lo
	s_delay_alu instid0(VALU_DEP_2) | instskip(NEXT) | instid1(VALU_DEP_2)
	v_add_co_u32 v9, vcc_lo, v11, v9
	v_add_co_ci_u32_e32 v9, vcc_lo, v13, v21, vcc_lo
	v_add_co_ci_u32_e32 v11, vcc_lo, 0, v22, vcc_lo
	v_add_co_u32 v13, vcc_lo, v14, v17
	v_add_co_ci_u32_e32 v15, vcc_lo, v15, v17, vcc_lo
	s_delay_alu instid0(VALU_DEP_4) | instskip(NEXT) | instid1(VALU_DEP_4)
	v_add_co_u32 v7, vcc_lo, v9, v7
	v_add_co_ci_u32_e32 v9, vcc_lo, 0, v11, vcc_lo
	s_delay_alu instid0(VALU_DEP_4) | instskip(NEXT) | instid1(VALU_DEP_3)
	v_xor_b32_e32 v11, v13, v17
	v_add_co_u32 v3, vcc_lo, v3, v7
	s_delay_alu instid0(VALU_DEP_3) | instskip(SKIP_1) | instid1(VALU_DEP_3)
	v_add_co_ci_u32_e32 v5, vcc_lo, v5, v9, vcc_lo
	v_xor_b32_e32 v7, v15, v17
	v_mul_hi_u32 v9, v11, v3
	s_delay_alu instid0(VALU_DEP_3) | instskip(NEXT) | instid1(VALU_DEP_3)
	v_mad_u64_u32 v[15:16], null, v11, v5, 0
	v_mad_u64_u32 v[21:22], null, v7, v3, 0
	;; [unrolled: 1-line block ×3, first 2 shown]
	s_delay_alu instid0(VALU_DEP_3) | instskip(NEXT) | instid1(VALU_DEP_4)
	v_add_co_u32 v3, vcc_lo, v9, v15
	v_add_co_ci_u32_e32 v5, vcc_lo, 0, v16, vcc_lo
	s_delay_alu instid0(VALU_DEP_2) | instskip(NEXT) | instid1(VALU_DEP_2)
	v_add_co_u32 v3, vcc_lo, v3, v21
	v_add_co_ci_u32_e32 v3, vcc_lo, v5, v22, vcc_lo
	v_add_co_ci_u32_e32 v5, vcc_lo, 0, v24, vcc_lo
	s_delay_alu instid0(VALU_DEP_2) | instskip(NEXT) | instid1(VALU_DEP_2)
	v_add_co_u32 v3, vcc_lo, v3, v23
	v_add_co_ci_u32_e32 v5, vcc_lo, 0, v5, vcc_lo
	s_delay_alu instid0(VALU_DEP_2) | instskip(SKIP_1) | instid1(VALU_DEP_3)
	v_mul_lo_u32 v9, s39, v3
	v_mad_u64_u32 v[15:16], null, s38, v3, 0
	v_mul_lo_u32 v13, s38, v5
	s_delay_alu instid0(VALU_DEP_2) | instskip(NEXT) | instid1(VALU_DEP_2)
	v_sub_co_u32 v11, vcc_lo, v11, v15
	v_add3_u32 v9, v16, v13, v9
	s_delay_alu instid0(VALU_DEP_1) | instskip(NEXT) | instid1(VALU_DEP_1)
	v_sub_nc_u32_e32 v13, v7, v9
	v_subrev_co_ci_u32_e64 v13, s0, s39, v13, vcc_lo
	v_add_co_u32 v15, s0, v3, 2
	s_delay_alu instid0(VALU_DEP_1) | instskip(SKIP_3) | instid1(VALU_DEP_3)
	v_add_co_ci_u32_e64 v16, s0, 0, v5, s0
	v_sub_co_u32 v21, s0, v11, s38
	v_sub_co_ci_u32_e32 v7, vcc_lo, v7, v9, vcc_lo
	v_subrev_co_ci_u32_e64 v13, s0, 0, v13, s0
	v_cmp_le_u32_e32 vcc_lo, s38, v21
	s_delay_alu instid0(VALU_DEP_3) | instskip(SKIP_1) | instid1(VALU_DEP_4)
	v_cmp_eq_u32_e64 s0, s39, v7
	v_cndmask_b32_e64 v9, 0, -1, vcc_lo
	v_cmp_le_u32_e32 vcc_lo, s39, v13
	v_cndmask_b32_e64 v21, 0, -1, vcc_lo
	v_cmp_le_u32_e32 vcc_lo, s38, v11
	;; [unrolled: 2-line block ×3, first 2 shown]
	v_cndmask_b32_e64 v22, 0, -1, vcc_lo
	v_cmp_eq_u32_e32 vcc_lo, s39, v13
	s_delay_alu instid0(VALU_DEP_2) | instskip(SKIP_3) | instid1(VALU_DEP_3)
	v_cndmask_b32_e64 v7, v22, v11, s0
	v_cndmask_b32_e32 v9, v21, v9, vcc_lo
	v_add_co_u32 v13, vcc_lo, v3, 1
	v_add_co_ci_u32_e32 v21, vcc_lo, 0, v5, vcc_lo
	v_cmp_ne_u32_e32 vcc_lo, 0, v9
	s_delay_alu instid0(VALU_DEP_2) | instskip(NEXT) | instid1(VALU_DEP_4)
	v_cndmask_b32_e32 v9, v21, v16, vcc_lo
	v_cndmask_b32_e32 v11, v13, v15, vcc_lo
	v_cmp_ne_u32_e32 vcc_lo, 0, v7
	v_xor_b32_e32 v7, s36, v17
	s_delay_alu instid0(VALU_DEP_3) | instskip(SKIP_2) | instid1(VALU_DEP_3)
	v_cndmask_b32_e32 v3, v3, v11, vcc_lo
	v_cndmask_b32_e32 v5, v5, v9, vcc_lo
	v_xor_b32_e32 v9, s37, v17
	v_xor_b32_e32 v3, v3, v7
	s_delay_alu instid0(VALU_DEP_2) | instskip(NEXT) | instid1(VALU_DEP_2)
	v_xor_b32_e32 v5, v5, v9
	v_sub_co_u32 v16, vcc_lo, v3, v7
	s_delay_alu instid0(VALU_DEP_2)
	v_sub_co_ci_u32_e32 v17, vcc_lo, v5, v9, vcc_lo
.LBB69_36:                              ;   in Loop: Header=BB69_22 Depth=2
	s_and_not1_saveexec_b32 s0, s60
	s_cbranch_execz .LBB69_38
; %bb.37:                               ;   in Loop: Header=BB69_22 Depth=2
	v_cvt_f32_u32_e32 v3, s59
	s_sub_i32 s36, 0, s59
	v_mov_b32_e32 v17, v2
	s_delay_alu instid0(VALU_DEP_2) | instskip(SKIP_2) | instid1(VALU_DEP_1)
	v_rcp_iflag_f32_e32 v3, v3
	s_waitcnt_depctr 0xfff
	v_mul_f32_e32 v3, 0x4f7ffffe, v3
	v_cvt_u32_f32_e32 v3, v3
	s_delay_alu instid0(VALU_DEP_1) | instskip(NEXT) | instid1(VALU_DEP_1)
	v_mul_lo_u32 v5, s36, v3
	v_mul_hi_u32 v5, v3, v5
	s_delay_alu instid0(VALU_DEP_1) | instskip(NEXT) | instid1(VALU_DEP_1)
	v_add_nc_u32_e32 v3, v3, v5
	v_mul_hi_u32 v3, v14, v3
	s_delay_alu instid0(VALU_DEP_1) | instskip(SKIP_1) | instid1(VALU_DEP_2)
	v_mul_lo_u32 v5, v3, s59
	v_add_nc_u32_e32 v7, 1, v3
	v_sub_nc_u32_e32 v5, v14, v5
	s_delay_alu instid0(VALU_DEP_1) | instskip(SKIP_1) | instid1(VALU_DEP_4)
	v_cmp_le_u32_e32 vcc_lo, s59, v5
	v_subrev_nc_u32_e32 v9, s59, v5
	v_cndmask_b32_e32 v3, v3, v7, vcc_lo
	s_delay_alu instid0(VALU_DEP_1) | instskip(NEXT) | instid1(VALU_DEP_3)
	v_add_nc_u32_e32 v7, 1, v3
	v_cndmask_b32_e32 v5, v5, v9, vcc_lo
	s_delay_alu instid0(VALU_DEP_1) | instskip(NEXT) | instid1(VALU_DEP_3)
	v_cmp_le_u32_e32 vcc_lo, s59, v5
	v_cndmask_b32_e32 v16, v3, v7, vcc_lo
.LBB69_38:                              ;   in Loop: Header=BB69_22 Depth=2
	s_or_b32 exec_lo, exec_lo, s0
	s_add_u32 s34, s44, s34
	s_addc_u32 s35, s1, s35
	v_mul_lo_u32 v3, v10, s21
	s_clause 0x1
	s_load_b32 s0, s[30:31], 0x6c
	s_load_b32 s21, s[34:35], 0x0
	v_mul_lo_u32 v5, v12, s53
	v_mul_lo_u32 v7, v14, s56
	;; [unrolled: 1-line block ×3, first 2 shown]
	s_add_i32 s12, s12, -4
	s_delay_alu instid0(SALU_CYCLE_1) | instskip(SKIP_1) | instid1(VALU_DEP_4)
	s_cmp_eq_u32 s12, -1
	v_sub_nc_u32_e32 v3, v8, v3
	v_sub_nc_u32_e32 v5, v10, v5
	s_delay_alu instid0(VALU_DEP_4) | instskip(NEXT) | instid1(VALU_DEP_4)
	v_sub_nc_u32_e32 v7, v12, v7
	v_sub_nc_u32_e32 v8, v14, v9
	s_delay_alu instid0(VALU_DEP_4)
	v_mul_lo_u32 v9, s51, v3
	v_mul_lo_u32 v3, s52, v3
	v_mul_lo_u32 v10, s54, v5
	v_mul_lo_u32 v5, s55, v5
	v_mul_lo_u32 v11, s57, v7
	v_mul_lo_u32 v7, s58, v7
	s_waitcnt lgkmcnt(0)
	v_mul_lo_u32 v12, s0, v8
	v_mul_lo_u32 v8, s21, v8
	v_add3_u32 v6, v9, v6, v10
	v_add3_u32 v3, v3, v4, v5
	s_delay_alu instid0(VALU_DEP_2) | instskip(NEXT) | instid1(VALU_DEP_2)
	v_add3_u32 v6, v11, v6, v12
	v_add3_u32 v4, v7, v3, v8
	s_cbranch_scc1 .LBB69_40
; %bb.39:                               ;   in Loop: Header=BB69_22 Depth=2
	v_dual_mov_b32 v8, v16 :: v_dual_mov_b32 v9, v17
	s_branch .LBB69_22
.LBB69_40:                              ;   in Loop: Header=BB69_3 Depth=1
	v_sub_nc_u32_e32 v5, v19, v20
	v_mov_b32_e32 v3, 0
	s_delay_alu instid0(VALU_DEP_2) | instskip(NEXT) | instid1(VALU_DEP_1)
	v_add_nc_u32_e32 v7, 4, v5
	v_ashrrev_i32_e32 v8, 31, v7
	s_delay_alu instid0(VALU_DEP_1)
	v_cmp_le_i64_e32 vcc_lo, s[4:5], v[7:8]
	v_mov_b32_e32 v7, 0
	s_and_saveexec_b32 s0, vcc_lo
	s_cbranch_execz .LBB69_50
; %bb.41:                               ;   in Loop: Header=BB69_3 Depth=1
	v_mov_b32_e32 v3, 0
	v_mov_b32_e32 v9, 0
	s_mov_b32 s12, exec_lo
	v_cmpx_gt_i32_e64 s9, v19
	s_cbranch_execz .LBB69_49
; %bb.42:                               ;   in Loop: Header=BB69_3 Depth=1
	v_ashrrev_i32_e32 v7, 31, v6
	v_dual_mov_b32 v3, v2 :: v_dual_add_nc_u32 v10, 1, v19
	v_mov_b32_e32 v9, 0
	s_mov_b32 s21, exec_lo
	s_delay_alu instid0(VALU_DEP_3) | instskip(NEXT) | instid1(VALU_DEP_1)
	v_lshlrev_b64 v[7:8], 1, v[6:7]
	v_add_co_u32 v7, vcc_lo, s2, v7
	s_delay_alu instid0(VALU_DEP_2)
	v_add_co_ci_u32_e32 v8, vcc_lo, s3, v8, vcc_lo
	global_load_d16_b16 v3, v[7:8], off
	v_cmpx_gt_i32_e64 s9, v10
	s_xor_b32 s21, exec_lo, s21
	s_cbranch_execz .LBB69_48
; %bb.43:                               ;   in Loop: Header=BB69_3 Depth=1
	s_lshl_b64 s[30:31], s[26:27], 1
	v_mov_b32_e32 v9, 0
	v_add_co_u32 v7, vcc_lo, v7, s30
	v_add_co_ci_u32_e32 v8, vcc_lo, s31, v8, vcc_lo
	s_mov_b32 s30, exec_lo
	global_load_d16_hi_b16 v3, v[7:8], off
	v_add_nc_u32_e32 v7, 2, v19
	s_delay_alu instid0(VALU_DEP_1)
	v_cmpx_gt_i32_e64 s9, v7
	s_xor_b32 s30, exec_lo, s30
	s_cbranch_execz .LBB69_47
; %bb.44:                               ;   in Loop: Header=BB69_3 Depth=1
	v_add3_u32 v6, s26, s26, v6
	v_mov_b32_e32 v9, v2
	s_mov_b32 s31, exec_lo
	s_delay_alu instid0(VALU_DEP_2) | instskip(NEXT) | instid1(VALU_DEP_1)
	v_ashrrev_i32_e32 v7, 31, v6
	v_lshlrev_b64 v[7:8], 1, v[6:7]
	s_delay_alu instid0(VALU_DEP_1) | instskip(NEXT) | instid1(VALU_DEP_2)
	v_add_co_u32 v7, vcc_lo, s2, v7
	v_add_co_ci_u32_e32 v8, vcc_lo, s3, v8, vcc_lo
	global_load_d16_b16 v9, v[7:8], off
	v_add_nc_u32_e32 v7, 3, v19
	s_delay_alu instid0(VALU_DEP_1)
	v_cmpx_gt_i32_e64 s9, v7
	s_xor_b32 s31, exec_lo, s31
	s_cbranch_execz .LBB69_46
; %bb.45:                               ;   in Loop: Header=BB69_3 Depth=1
	v_add_nc_u32_e32 v6, s26, v6
	s_delay_alu instid0(VALU_DEP_1) | instskip(NEXT) | instid1(VALU_DEP_1)
	v_ashrrev_i32_e32 v7, 31, v6
	v_lshlrev_b64 v[6:7], 1, v[6:7]
	s_delay_alu instid0(VALU_DEP_1) | instskip(NEXT) | instid1(VALU_DEP_2)
	v_add_co_u32 v6, vcc_lo, s2, v6
	v_add_co_ci_u32_e32 v7, vcc_lo, s3, v7, vcc_lo
	global_load_d16_hi_b16 v9, v[6:7], off
.LBB69_46:                              ;   in Loop: Header=BB69_3 Depth=1
	s_or_b32 exec_lo, exec_lo, s31
.LBB69_47:                              ;   in Loop: Header=BB69_3 Depth=1
	s_delay_alu instid0(SALU_CYCLE_1)
	s_or_b32 exec_lo, exec_lo, s30
.LBB69_48:                              ;   in Loop: Header=BB69_3 Depth=1
	s_delay_alu instid0(SALU_CYCLE_1)
	s_or_b32 exec_lo, exec_lo, s21
.LBB69_49:                              ;   in Loop: Header=BB69_3 Depth=1
	s_delay_alu instid0(SALU_CYCLE_1)
	s_or_b32 exec_lo, exec_lo, s12
	s_waitcnt vmcnt(0)
	v_lshrrev_b32_e32 v14, 16, v9
	v_add_nc_u32_e32 v7, 2, v5
	v_ashrrev_i32_e32 v6, 31, v5
	v_lshrrev_b32_e32 v15, 16, v3
	s_delay_alu instid0(VALU_DEP_3) | instskip(NEXT) | instid1(VALU_DEP_1)
	v_ashrrev_i32_e32 v8, 31, v7
	v_cmp_le_i64_e32 vcc_lo, s[22:23], v[7:8]
	v_cndmask_b32_e32 v7, 0, v9, vcc_lo
	v_cmp_le_i64_e32 vcc_lo, s[14:15], v[5:6]
	v_dual_cndmask_b32 v3, 0, v3 :: v_dual_add_nc_u32 v10, 1, v5
	s_delay_alu instid0(VALU_DEP_1) | instskip(NEXT) | instid1(VALU_DEP_1)
	v_ashrrev_i32_e32 v11, 31, v10
	v_cmp_le_i64_e32 vcc_lo, s[18:19], v[10:11]
	v_dual_cndmask_b32 v5, 0, v15 :: v_dual_add_nc_u32 v12, 3, v5
	s_delay_alu instid0(VALU_DEP_1) | instskip(NEXT) | instid1(VALU_DEP_2)
	v_ashrrev_i32_e32 v13, 31, v12
	v_perm_b32 v3, v5, v3, 0x5040100
	s_delay_alu instid0(VALU_DEP_2) | instskip(SKIP_1) | instid1(VALU_DEP_1)
	v_cmp_le_i64_e32 vcc_lo, s[24:25], v[12:13]
	v_cndmask_b32_e32 v6, 0, v14, vcc_lo
	v_perm_b32 v7, v6, v7, 0x5040100
.LBB69_50:                              ;   in Loop: Header=BB69_3 Depth=1
	s_or_b32 exec_lo, exec_lo, s0
	s_delay_alu instid0(SALU_CYCLE_1)
	s_mov_b32 s0, exec_lo
	v_cmpx_gt_i32_e64 s9, v19
	s_cbranch_execz .LBB69_2
; %bb.51:                               ;   in Loop: Header=BB69_3 Depth=1
	v_ashrrev_i32_e32 v5, 31, v4
	v_add_nc_u32_e32 v8, 1, v19
	s_mov_b32 s12, exec_lo
	s_delay_alu instid0(VALU_DEP_2) | instskip(NEXT) | instid1(VALU_DEP_1)
	v_lshlrev_b64 v[5:6], 1, v[4:5]
	v_add_co_u32 v5, vcc_lo, s10, v5
	s_delay_alu instid0(VALU_DEP_2)
	v_add_co_ci_u32_e32 v6, vcc_lo, s11, v6, vcc_lo
	global_store_b16 v[5:6], v3, off
	v_cmpx_gt_i32_e64 s9, v8
	s_xor_b32 s12, exec_lo, s12
	s_cbranch_execz .LBB69_2
; %bb.52:                               ;   in Loop: Header=BB69_3 Depth=1
	s_lshl_b64 s[30:31], s[28:29], 1
	v_add_nc_u32_e32 v8, 2, v19
	v_add_co_u32 v5, vcc_lo, v5, s30
	v_add_co_ci_u32_e32 v6, vcc_lo, s31, v6, vcc_lo
	s_mov_b32 s12, exec_lo
	global_store_d16_hi_b16 v[5:6], v3, off
	v_cmpx_gt_i32_e64 s9, v8
	s_xor_b32 s12, exec_lo, s12
	s_cbranch_execz .LBB69_2
; %bb.53:                               ;   in Loop: Header=BB69_3 Depth=1
	v_add3_u32 v3, s28, s28, v4
	v_add_nc_u32_e32 v6, 3, v19
	s_mov_b32 s12, exec_lo
	s_delay_alu instid0(VALU_DEP_2) | instskip(NEXT) | instid1(VALU_DEP_1)
	v_ashrrev_i32_e32 v4, 31, v3
	v_lshlrev_b64 v[4:5], 1, v[3:4]
	s_delay_alu instid0(VALU_DEP_1) | instskip(NEXT) | instid1(VALU_DEP_2)
	v_add_co_u32 v4, vcc_lo, s10, v4
	v_add_co_ci_u32_e32 v5, vcc_lo, s11, v5, vcc_lo
	global_store_b16 v[4:5], v7, off
	v_cmpx_gt_i32_e64 s9, v6
	s_xor_b32 s12, exec_lo, s12
	s_cbranch_execz .LBB69_2
; %bb.54:                               ;   in Loop: Header=BB69_3 Depth=1
	v_add_nc_u32_e32 v3, s28, v3
	s_delay_alu instid0(VALU_DEP_1) | instskip(NEXT) | instid1(VALU_DEP_1)
	v_ashrrev_i32_e32 v4, 31, v3
	v_lshlrev_b64 v[3:4], 1, v[3:4]
	s_delay_alu instid0(VALU_DEP_1) | instskip(NEXT) | instid1(VALU_DEP_2)
	v_add_co_u32 v3, vcc_lo, s10, v3
	v_add_co_ci_u32_e32 v4, vcc_lo, s11, v4, vcc_lo
	global_store_d16_hi_b16 v[3:4], v7, off
	s_branch .LBB69_2
.LBB69_55:
	s_nop 0
	s_sendmsg sendmsg(MSG_DEALLOC_VGPRS)
	s_endpgm
	.section	.rodata,"a",@progbits
	.p2align	6, 0x0
	.amdhsa_kernel _ZN2at6native16triu_tril_kernelIsiLb1ELi4ELb0EEEvNS_4cuda6detail10TensorInfoIT_T0_EENS4_IKS5_S6_EEllS6_
		.amdhsa_group_segment_fixed_size 0
		.amdhsa_private_segment_fixed_size 0
		.amdhsa_kernarg_size 712
		.amdhsa_user_sgpr_count 15
		.amdhsa_user_sgpr_dispatch_ptr 0
		.amdhsa_user_sgpr_queue_ptr 0
		.amdhsa_user_sgpr_kernarg_segment_ptr 1
		.amdhsa_user_sgpr_dispatch_id 0
		.amdhsa_user_sgpr_private_segment_size 0
		.amdhsa_wavefront_size32 1
		.amdhsa_uses_dynamic_stack 0
		.amdhsa_enable_private_segment 0
		.amdhsa_system_sgpr_workgroup_id_x 1
		.amdhsa_system_sgpr_workgroup_id_y 0
		.amdhsa_system_sgpr_workgroup_id_z 0
		.amdhsa_system_sgpr_workgroup_info 0
		.amdhsa_system_vgpr_workitem_id 0
		.amdhsa_next_free_vgpr 25
		.amdhsa_next_free_sgpr 62
		.amdhsa_reserve_vcc 1
		.amdhsa_float_round_mode_32 0
		.amdhsa_float_round_mode_16_64 0
		.amdhsa_float_denorm_mode_32 3
		.amdhsa_float_denorm_mode_16_64 3
		.amdhsa_dx10_clamp 1
		.amdhsa_ieee_mode 1
		.amdhsa_fp16_overflow 0
		.amdhsa_workgroup_processor_mode 1
		.amdhsa_memory_ordered 1
		.amdhsa_forward_progress 0
		.amdhsa_shared_vgpr_count 0
		.amdhsa_exception_fp_ieee_invalid_op 0
		.amdhsa_exception_fp_denorm_src 0
		.amdhsa_exception_fp_ieee_div_zero 0
		.amdhsa_exception_fp_ieee_overflow 0
		.amdhsa_exception_fp_ieee_underflow 0
		.amdhsa_exception_fp_ieee_inexact 0
		.amdhsa_exception_int_div_zero 0
	.end_amdhsa_kernel
	.section	.text._ZN2at6native16triu_tril_kernelIsiLb1ELi4ELb0EEEvNS_4cuda6detail10TensorInfoIT_T0_EENS4_IKS5_S6_EEllS6_,"axG",@progbits,_ZN2at6native16triu_tril_kernelIsiLb1ELi4ELb0EEEvNS_4cuda6detail10TensorInfoIT_T0_EENS4_IKS5_S6_EEllS6_,comdat
.Lfunc_end69:
	.size	_ZN2at6native16triu_tril_kernelIsiLb1ELi4ELb0EEEvNS_4cuda6detail10TensorInfoIT_T0_EENS4_IKS5_S6_EEllS6_, .Lfunc_end69-_ZN2at6native16triu_tril_kernelIsiLb1ELi4ELb0EEEvNS_4cuda6detail10TensorInfoIT_T0_EENS4_IKS5_S6_EEllS6_
                                        ; -- End function
	.section	.AMDGPU.csdata,"",@progbits
; Kernel info:
; codeLenInByte = 8776
; NumSgprs: 64
; NumVgprs: 25
; ScratchSize: 0
; MemoryBound: 0
; FloatMode: 240
; IeeeMode: 1
; LDSByteSize: 0 bytes/workgroup (compile time only)
; SGPRBlocks: 7
; VGPRBlocks: 3
; NumSGPRsForWavesPerEU: 64
; NumVGPRsForWavesPerEU: 25
; Occupancy: 16
; WaveLimiterHint : 0
; COMPUTE_PGM_RSRC2:SCRATCH_EN: 0
; COMPUTE_PGM_RSRC2:USER_SGPR: 15
; COMPUTE_PGM_RSRC2:TRAP_HANDLER: 0
; COMPUTE_PGM_RSRC2:TGID_X_EN: 1
; COMPUTE_PGM_RSRC2:TGID_Y_EN: 0
; COMPUTE_PGM_RSRC2:TGID_Z_EN: 0
; COMPUTE_PGM_RSRC2:TIDIG_COMP_CNT: 0
	.section	.text._ZN2at6native16triu_tril_kernelIslLb1ELi4ELb1EEEvNS_4cuda6detail10TensorInfoIT_T0_EENS4_IKS5_S6_EEllS6_,"axG",@progbits,_ZN2at6native16triu_tril_kernelIslLb1ELi4ELb1EEEvNS_4cuda6detail10TensorInfoIT_T0_EENS4_IKS5_S6_EEllS6_,comdat
	.protected	_ZN2at6native16triu_tril_kernelIslLb1ELi4ELb1EEEvNS_4cuda6detail10TensorInfoIT_T0_EENS4_IKS5_S6_EEllS6_ ; -- Begin function _ZN2at6native16triu_tril_kernelIslLb1ELi4ELb1EEEvNS_4cuda6detail10TensorInfoIT_T0_EENS4_IKS5_S6_EEllS6_
	.globl	_ZN2at6native16triu_tril_kernelIslLb1ELi4ELb1EEEvNS_4cuda6detail10TensorInfoIT_T0_EENS4_IKS5_S6_EEllS6_
	.p2align	8
	.type	_ZN2at6native16triu_tril_kernelIslLb1ELi4ELb1EEEvNS_4cuda6detail10TensorInfoIT_T0_EENS4_IKS5_S6_EEllS6_,@function
_ZN2at6native16triu_tril_kernelIslLb1ELi4ELb1EEEvNS_4cuda6detail10TensorInfoIT_T0_EENS4_IKS5_S6_EEllS6_: ; @_ZN2at6native16triu_tril_kernelIslLb1ELi4ELb1EEEvNS_4cuda6detail10TensorInfoIT_T0_EENS4_IKS5_S6_EEllS6_
; %bb.0:
	s_clause 0x1
	s_load_b32 s2, s[0:1], 0x364
	s_load_b128 s[4:7], s[0:1], 0x340
	v_mov_b32_e32 v2, 0
	s_add_u32 s8, s0, 0x358
	s_addc_u32 s9, s1, 0
	s_delay_alu instid0(VALU_DEP_1) | instskip(SKIP_3) | instid1(VALU_DEP_1)
	v_mov_b32_e32 v1, v2
	s_waitcnt lgkmcnt(0)
	s_and_b32 s10, s2, 0xffff
	s_mov_b32 s2, exec_lo
	v_mad_u64_u32 v[3:4], null, s10, s15, v[0:1]
	s_delay_alu instid0(VALU_DEP_1) | instskip(NEXT) | instid1(VALU_DEP_1)
	v_lshlrev_b64 v[0:1], 2, v[3:4]
	v_cmpx_gt_i64_e64 s[6:7], v[0:1]
	s_cbranch_execz .LBB70_27
; %bb.1:
	s_clause 0x1
	s_load_b32 s24, s[0:1], 0x338
	s_load_b64 s[2:3], s[0:1], 0x350
	s_load_b32 s11, s[8:9], 0x0
	s_load_b64 s[8:9], s[0:1], 0x0
	s_mov_b32 s45, 0
	s_waitcnt lgkmcnt(0)
	s_ashr_i32 s25, s24, 31
	s_add_u32 s20, s0, 0x1a8
	s_addc_u32 s21, s1, 0
	s_lshl_b64 s[12:13], s[24:25], 3
	v_cvt_f32_u32_e32 v3, s2
	s_add_u32 s14, s12, -16
	s_addc_u32 s15, s13, -1
	s_add_u32 s22, s20, s14
	s_addc_u32 s23, s21, s15
	v_rcp_iflag_f32_e32 v3, v3
	s_add_u32 s17, s12, -8
	s_addc_u32 s18, s13, -1
	s_add_u32 s26, s0, 0xd0
	s_addc_u32 s27, s1, 0
	s_mul_i32 s16, s11, s10
	s_add_u32 s10, s26, s17
	s_addc_u32 s11, s27, s18
	s_add_u32 s12, s26, s14
	s_addc_u32 s13, s27, s15
	s_add_i32 s0, s24, -3
	s_waitcnt_depctr 0xfff
	v_mul_f32_e32 v3, 0x4f7ffffe, v3
	s_ashr_i32 s1, s0, 31
	s_add_u32 s14, s20, s17
	s_addc_u32 s15, s21, s18
	s_lshl_b64 s[18:19], s[0:1], 3
	s_lshl_b32 s33, s16, 2
	s_add_u32 s16, s26, s18
	s_addc_u32 s17, s27, s19
	v_cvt_u32_f32_e32 v3, v3
	s_add_u32 s18, s20, s18
	s_addc_u32 s19, s21, s19
	s_add_u32 s20, s0, 1
	s_addc_u32 s21, s1, 0
	s_sub_i32 s0, 0, s2
	s_load_b64 s[22:23], s[22:23], 0x0
	v_mul_lo_u32 v4, s0, v3
	v_cmp_gt_i64_e64 s44, s[24:25], 2
	s_ashr_i32 s24, s3, 31
	s_delay_alu instid0(VALU_DEP_2) | instskip(NEXT) | instid1(VALU_DEP_1)
	v_mul_hi_u32 v4, v3, v4
	v_add_nc_u32_e32 v14, v3, v4
	s_waitcnt lgkmcnt(0)
	s_ashr_i32 s26, s23, 31
	s_branch .LBB70_3
.LBB70_2:                               ;   in Loop: Header=BB70_3 Depth=1
	s_or_b32 exec_lo, exec_lo, s25
	v_add_co_u32 v0, vcc_lo, v0, s33
	v_add_co_ci_u32_e32 v1, vcc_lo, 0, v1, vcc_lo
	s_delay_alu instid0(VALU_DEP_1) | instskip(SKIP_1) | instid1(SALU_CYCLE_1)
	v_cmp_le_i64_e32 vcc_lo, s[6:7], v[0:1]
	s_or_b32 s45, vcc_lo, s45
	s_and_not1_b32 exec_lo, exec_lo, s45
	s_cbranch_execz .LBB70_27
.LBB70_3:                               ; =>This Loop Header: Depth=1
                                        ;     Child Loop BB70_23 Depth 2
	v_or_b32_e32 v3, s3, v1
                                        ; implicit-def: $vgpr8_vgpr9
	s_mov_b32 s0, exec_lo
	s_delay_alu instid0(VALU_DEP_1)
	v_cmpx_ne_u64_e32 0, v[2:3]
	s_xor_b32 s1, exec_lo, s0
	s_cbranch_execz .LBB70_5
; %bb.4:                                ;   in Loop: Header=BB70_3 Depth=1
	s_add_u32 s28, s2, s24
	s_mov_b32 s25, s24
	s_addc_u32 s29, s3, s24
	s_delay_alu instid0(SALU_CYCLE_1) | instskip(NEXT) | instid1(SALU_CYCLE_1)
	s_xor_b64 s[28:29], s[28:29], s[24:25]
	v_cvt_f32_u32_e32 v3, s28
	v_cvt_f32_u32_e32 v4, s29
	s_sub_u32 s0, 0, s28
	s_subb_u32 s25, 0, s29
	s_delay_alu instid0(VALU_DEP_1) | instskip(NEXT) | instid1(VALU_DEP_1)
	v_fmac_f32_e32 v3, 0x4f800000, v4
	v_rcp_f32_e32 v3, v3
	s_waitcnt_depctr 0xfff
	v_mul_f32_e32 v3, 0x5f7ffffc, v3
	s_delay_alu instid0(VALU_DEP_1) | instskip(NEXT) | instid1(VALU_DEP_1)
	v_mul_f32_e32 v4, 0x2f800000, v3
	v_trunc_f32_e32 v4, v4
	s_delay_alu instid0(VALU_DEP_1) | instskip(SKIP_1) | instid1(VALU_DEP_2)
	v_fmac_f32_e32 v3, 0xcf800000, v4
	v_cvt_u32_f32_e32 v4, v4
	v_cvt_u32_f32_e32 v3, v3
	s_delay_alu instid0(VALU_DEP_2) | instskip(NEXT) | instid1(VALU_DEP_2)
	v_mul_lo_u32 v5, s0, v4
	v_mul_hi_u32 v6, s0, v3
	v_mul_lo_u32 v7, s25, v3
	s_delay_alu instid0(VALU_DEP_2) | instskip(SKIP_1) | instid1(VALU_DEP_2)
	v_add_nc_u32_e32 v5, v6, v5
	v_mul_lo_u32 v6, s0, v3
	v_add_nc_u32_e32 v5, v5, v7
	s_delay_alu instid0(VALU_DEP_2) | instskip(NEXT) | instid1(VALU_DEP_2)
	v_mul_hi_u32 v7, v3, v6
	v_mul_lo_u32 v8, v3, v5
	v_mul_hi_u32 v9, v3, v5
	v_mul_hi_u32 v10, v4, v6
	v_mul_lo_u32 v6, v4, v6
	v_mul_hi_u32 v11, v4, v5
	v_mul_lo_u32 v5, v4, v5
	v_add_co_u32 v7, vcc_lo, v7, v8
	v_add_co_ci_u32_e32 v8, vcc_lo, 0, v9, vcc_lo
	s_delay_alu instid0(VALU_DEP_2) | instskip(NEXT) | instid1(VALU_DEP_2)
	v_add_co_u32 v6, vcc_lo, v7, v6
	v_add_co_ci_u32_e32 v6, vcc_lo, v8, v10, vcc_lo
	v_add_co_ci_u32_e32 v7, vcc_lo, 0, v11, vcc_lo
	v_ashrrev_i32_e32 v10, 31, v1
	s_delay_alu instid0(VALU_DEP_3) | instskip(NEXT) | instid1(VALU_DEP_3)
	v_add_co_u32 v5, vcc_lo, v6, v5
	v_add_co_ci_u32_e32 v6, vcc_lo, 0, v7, vcc_lo
	s_delay_alu instid0(VALU_DEP_2) | instskip(NEXT) | instid1(VALU_DEP_2)
	v_add_co_u32 v3, vcc_lo, v3, v5
	v_add_co_ci_u32_e32 v4, vcc_lo, v4, v6, vcc_lo
	s_delay_alu instid0(VALU_DEP_2) | instskip(SKIP_1) | instid1(VALU_DEP_3)
	v_mul_hi_u32 v5, s0, v3
	v_mul_lo_u32 v7, s25, v3
	v_mul_lo_u32 v6, s0, v4
	s_delay_alu instid0(VALU_DEP_1) | instskip(SKIP_1) | instid1(VALU_DEP_2)
	v_add_nc_u32_e32 v5, v5, v6
	v_mul_lo_u32 v6, s0, v3
	v_add_nc_u32_e32 v5, v5, v7
	s_delay_alu instid0(VALU_DEP_2) | instskip(NEXT) | instid1(VALU_DEP_2)
	v_mul_hi_u32 v7, v3, v6
	v_mul_lo_u32 v8, v3, v5
	v_mul_hi_u32 v9, v3, v5
	v_mul_hi_u32 v11, v4, v6
	v_mul_lo_u32 v6, v4, v6
	v_mul_hi_u32 v12, v4, v5
	v_mul_lo_u32 v5, v4, v5
	v_add_co_u32 v7, vcc_lo, v7, v8
	v_add_co_ci_u32_e32 v8, vcc_lo, 0, v9, vcc_lo
	s_delay_alu instid0(VALU_DEP_2) | instskip(NEXT) | instid1(VALU_DEP_2)
	v_add_co_u32 v6, vcc_lo, v7, v6
	v_add_co_ci_u32_e32 v6, vcc_lo, v8, v11, vcc_lo
	v_add_co_ci_u32_e32 v7, vcc_lo, 0, v12, vcc_lo
	v_add_co_u32 v8, vcc_lo, v0, v10
	v_add_co_ci_u32_e32 v9, vcc_lo, v1, v10, vcc_lo
	s_delay_alu instid0(VALU_DEP_4) | instskip(NEXT) | instid1(VALU_DEP_4)
	v_add_co_u32 v5, vcc_lo, v6, v5
	v_add_co_ci_u32_e32 v6, vcc_lo, 0, v7, vcc_lo
	s_delay_alu instid0(VALU_DEP_4) | instskip(NEXT) | instid1(VALU_DEP_3)
	v_xor_b32_e32 v11, v8, v10
	v_add_co_u32 v7, vcc_lo, v3, v5
	s_delay_alu instid0(VALU_DEP_3) | instskip(SKIP_1) | instid1(VALU_DEP_3)
	v_add_co_ci_u32_e32 v12, vcc_lo, v4, v6, vcc_lo
	v_xor_b32_e32 v9, v9, v10
	v_mul_hi_u32 v13, v11, v7
	s_delay_alu instid0(VALU_DEP_3) | instskip(NEXT) | instid1(VALU_DEP_3)
	v_mad_u64_u32 v[3:4], null, v11, v12, 0
	v_mad_u64_u32 v[5:6], null, v9, v7, 0
	;; [unrolled: 1-line block ×3, first 2 shown]
	s_delay_alu instid0(VALU_DEP_3) | instskip(NEXT) | instid1(VALU_DEP_4)
	v_add_co_u32 v3, vcc_lo, v13, v3
	v_add_co_ci_u32_e32 v4, vcc_lo, 0, v4, vcc_lo
	s_delay_alu instid0(VALU_DEP_2) | instskip(NEXT) | instid1(VALU_DEP_2)
	v_add_co_u32 v3, vcc_lo, v3, v5
	v_add_co_ci_u32_e32 v3, vcc_lo, v4, v6, vcc_lo
	v_add_co_ci_u32_e32 v4, vcc_lo, 0, v8, vcc_lo
	s_delay_alu instid0(VALU_DEP_2) | instskip(NEXT) | instid1(VALU_DEP_2)
	v_add_co_u32 v5, vcc_lo, v3, v7
	v_add_co_ci_u32_e32 v6, vcc_lo, 0, v4, vcc_lo
	s_delay_alu instid0(VALU_DEP_2) | instskip(SKIP_1) | instid1(VALU_DEP_3)
	v_mul_lo_u32 v7, s29, v5
	v_mad_u64_u32 v[3:4], null, s28, v5, 0
	v_mul_lo_u32 v8, s28, v6
	s_delay_alu instid0(VALU_DEP_2) | instskip(NEXT) | instid1(VALU_DEP_2)
	v_sub_co_u32 v3, vcc_lo, v11, v3
	v_add3_u32 v4, v4, v8, v7
	s_delay_alu instid0(VALU_DEP_1) | instskip(NEXT) | instid1(VALU_DEP_1)
	v_sub_nc_u32_e32 v7, v9, v4
	v_subrev_co_ci_u32_e64 v7, s0, s29, v7, vcc_lo
	v_add_co_u32 v8, s0, v5, 2
	s_delay_alu instid0(VALU_DEP_1) | instskip(SKIP_3) | instid1(VALU_DEP_3)
	v_add_co_ci_u32_e64 v11, s0, 0, v6, s0
	v_sub_co_u32 v12, s0, v3, s28
	v_sub_co_ci_u32_e32 v4, vcc_lo, v9, v4, vcc_lo
	v_subrev_co_ci_u32_e64 v7, s0, 0, v7, s0
	v_cmp_le_u32_e32 vcc_lo, s28, v12
	s_delay_alu instid0(VALU_DEP_3) | instskip(SKIP_1) | instid1(VALU_DEP_4)
	v_cmp_eq_u32_e64 s0, s29, v4
	v_cndmask_b32_e64 v9, 0, -1, vcc_lo
	v_cmp_le_u32_e32 vcc_lo, s29, v7
	v_cndmask_b32_e64 v12, 0, -1, vcc_lo
	v_cmp_le_u32_e32 vcc_lo, s28, v3
	;; [unrolled: 2-line block ×3, first 2 shown]
	v_cndmask_b32_e64 v13, 0, -1, vcc_lo
	v_cmp_eq_u32_e32 vcc_lo, s29, v7
	s_delay_alu instid0(VALU_DEP_2) | instskip(SKIP_3) | instid1(VALU_DEP_3)
	v_cndmask_b32_e64 v3, v13, v3, s0
	v_cndmask_b32_e32 v7, v12, v9, vcc_lo
	v_add_co_u32 v9, vcc_lo, v5, 1
	v_add_co_ci_u32_e32 v12, vcc_lo, 0, v6, vcc_lo
	v_cmp_ne_u32_e32 vcc_lo, 0, v7
	s_delay_alu instid0(VALU_DEP_2) | instskip(SKIP_2) | instid1(VALU_DEP_3)
	v_dual_cndmask_b32 v4, v12, v11 :: v_dual_cndmask_b32 v7, v9, v8
	v_cmp_ne_u32_e32 vcc_lo, 0, v3
	v_xor_b32_e32 v3, s24, v10
	v_dual_cndmask_b32 v5, v5, v7 :: v_dual_cndmask_b32 v4, v6, v4
	s_delay_alu instid0(VALU_DEP_1) | instskip(NEXT) | instid1(VALU_DEP_2)
	v_xor_b32_e32 v5, v5, v3
	v_xor_b32_e32 v4, v4, v3
	s_delay_alu instid0(VALU_DEP_2) | instskip(NEXT) | instid1(VALU_DEP_2)
	v_sub_co_u32 v8, vcc_lo, v5, v3
	v_sub_co_ci_u32_e32 v9, vcc_lo, v4, v3, vcc_lo
.LBB70_5:                               ;   in Loop: Header=BB70_3 Depth=1
	s_and_not1_saveexec_b32 s0, s1
; %bb.6:                                ;   in Loop: Header=BB70_3 Depth=1
	v_mul_hi_u32 v3, v0, v14
	v_mov_b32_e32 v9, v2
	s_delay_alu instid0(VALU_DEP_2) | instskip(NEXT) | instid1(VALU_DEP_1)
	v_mul_lo_u32 v4, v3, s2
	v_sub_nc_u32_e32 v4, v0, v4
	s_delay_alu instid0(VALU_DEP_1) | instskip(SKIP_1) | instid1(VALU_DEP_2)
	v_subrev_nc_u32_e32 v6, s2, v4
	v_cmp_le_u32_e32 vcc_lo, s2, v4
	v_dual_cndmask_b32 v4, v4, v6 :: v_dual_add_nc_u32 v5, 1, v3
	s_delay_alu instid0(VALU_DEP_1) | instskip(NEXT) | instid1(VALU_DEP_2)
	v_cndmask_b32_e32 v3, v3, v5, vcc_lo
	v_cmp_le_u32_e32 vcc_lo, s2, v4
	s_delay_alu instid0(VALU_DEP_2) | instskip(NEXT) | instid1(VALU_DEP_1)
	v_add_nc_u32_e32 v5, 1, v3
	v_cndmask_b32_e32 v8, v3, v5, vcc_lo
; %bb.7:                                ;   in Loop: Header=BB70_3 Depth=1
	s_or_b32 exec_lo, exec_lo, s0
	v_or_b32_e32 v3, s23, v9
                                        ; implicit-def: $vgpr6_vgpr7
	s_mov_b32 s0, exec_lo
	s_delay_alu instid0(VALU_DEP_1)
	v_cmpx_ne_u64_e32 0, v[2:3]
	s_xor_b32 s1, exec_lo, s0
	s_cbranch_execz .LBB70_9
; %bb.8:                                ;   in Loop: Header=BB70_3 Depth=1
	s_add_u32 s28, s22, s26
	s_mov_b32 s27, s26
	s_addc_u32 s29, s23, s26
	s_delay_alu instid0(SALU_CYCLE_1) | instskip(NEXT) | instid1(SALU_CYCLE_1)
	s_xor_b64 s[28:29], s[28:29], s[26:27]
	v_cvt_f32_u32_e32 v3, s28
	v_cvt_f32_u32_e32 v4, s29
	s_sub_u32 s0, 0, s28
	s_subb_u32 s25, 0, s29
	s_delay_alu instid0(VALU_DEP_1) | instskip(NEXT) | instid1(VALU_DEP_1)
	v_fmac_f32_e32 v3, 0x4f800000, v4
	v_rcp_f32_e32 v3, v3
	s_waitcnt_depctr 0xfff
	v_mul_f32_e32 v3, 0x5f7ffffc, v3
	s_delay_alu instid0(VALU_DEP_1) | instskip(NEXT) | instid1(VALU_DEP_1)
	v_mul_f32_e32 v4, 0x2f800000, v3
	v_trunc_f32_e32 v4, v4
	s_delay_alu instid0(VALU_DEP_1) | instskip(SKIP_1) | instid1(VALU_DEP_2)
	v_fmac_f32_e32 v3, 0xcf800000, v4
	v_cvt_u32_f32_e32 v4, v4
	v_cvt_u32_f32_e32 v3, v3
	s_delay_alu instid0(VALU_DEP_2) | instskip(NEXT) | instid1(VALU_DEP_2)
	v_mul_lo_u32 v5, s0, v4
	v_mul_hi_u32 v6, s0, v3
	v_mul_lo_u32 v7, s25, v3
	s_delay_alu instid0(VALU_DEP_2) | instskip(SKIP_1) | instid1(VALU_DEP_2)
	v_add_nc_u32_e32 v5, v6, v5
	v_mul_lo_u32 v6, s0, v3
	v_add_nc_u32_e32 v5, v5, v7
	s_delay_alu instid0(VALU_DEP_2) | instskip(NEXT) | instid1(VALU_DEP_2)
	v_mul_hi_u32 v7, v3, v6
	v_mul_lo_u32 v10, v3, v5
	v_mul_hi_u32 v11, v3, v5
	v_mul_hi_u32 v12, v4, v6
	v_mul_lo_u32 v6, v4, v6
	v_mul_hi_u32 v13, v4, v5
	v_mul_lo_u32 v5, v4, v5
	v_add_co_u32 v7, vcc_lo, v7, v10
	v_add_co_ci_u32_e32 v10, vcc_lo, 0, v11, vcc_lo
	s_delay_alu instid0(VALU_DEP_2) | instskip(NEXT) | instid1(VALU_DEP_2)
	v_add_co_u32 v6, vcc_lo, v7, v6
	v_add_co_ci_u32_e32 v6, vcc_lo, v10, v12, vcc_lo
	v_add_co_ci_u32_e32 v7, vcc_lo, 0, v13, vcc_lo
	v_ashrrev_i32_e32 v12, 31, v9
	s_delay_alu instid0(VALU_DEP_3) | instskip(NEXT) | instid1(VALU_DEP_3)
	v_add_co_u32 v5, vcc_lo, v6, v5
	v_add_co_ci_u32_e32 v6, vcc_lo, 0, v7, vcc_lo
	s_delay_alu instid0(VALU_DEP_2) | instskip(NEXT) | instid1(VALU_DEP_2)
	v_add_co_u32 v3, vcc_lo, v3, v5
	v_add_co_ci_u32_e32 v4, vcc_lo, v4, v6, vcc_lo
	s_delay_alu instid0(VALU_DEP_2) | instskip(SKIP_1) | instid1(VALU_DEP_3)
	v_mul_hi_u32 v5, s0, v3
	v_mul_lo_u32 v7, s25, v3
	v_mul_lo_u32 v6, s0, v4
	s_delay_alu instid0(VALU_DEP_1) | instskip(SKIP_1) | instid1(VALU_DEP_2)
	v_add_nc_u32_e32 v5, v5, v6
	v_mul_lo_u32 v6, s0, v3
	v_add_nc_u32_e32 v5, v5, v7
	s_delay_alu instid0(VALU_DEP_2) | instskip(NEXT) | instid1(VALU_DEP_2)
	v_mul_hi_u32 v7, v3, v6
	v_mul_lo_u32 v10, v3, v5
	v_mul_hi_u32 v11, v3, v5
	v_mul_hi_u32 v13, v4, v6
	v_mul_lo_u32 v6, v4, v6
	v_mul_hi_u32 v15, v4, v5
	v_mul_lo_u32 v5, v4, v5
	v_add_co_u32 v7, vcc_lo, v7, v10
	v_add_co_ci_u32_e32 v10, vcc_lo, 0, v11, vcc_lo
	s_delay_alu instid0(VALU_DEP_2) | instskip(NEXT) | instid1(VALU_DEP_2)
	v_add_co_u32 v6, vcc_lo, v7, v6
	v_add_co_ci_u32_e32 v6, vcc_lo, v10, v13, vcc_lo
	v_add_co_ci_u32_e32 v7, vcc_lo, 0, v15, vcc_lo
	v_add_co_u32 v10, vcc_lo, v8, v12
	v_add_co_ci_u32_e32 v11, vcc_lo, v9, v12, vcc_lo
	s_delay_alu instid0(VALU_DEP_4) | instskip(NEXT) | instid1(VALU_DEP_4)
	v_add_co_u32 v5, vcc_lo, v6, v5
	v_add_co_ci_u32_e32 v6, vcc_lo, 0, v7, vcc_lo
	s_delay_alu instid0(VALU_DEP_4) | instskip(NEXT) | instid1(VALU_DEP_3)
	v_xor_b32_e32 v7, v10, v12
	v_add_co_u32 v10, vcc_lo, v3, v5
	s_delay_alu instid0(VALU_DEP_3) | instskip(SKIP_1) | instid1(VALU_DEP_3)
	v_add_co_ci_u32_e32 v13, vcc_lo, v4, v6, vcc_lo
	v_xor_b32_e32 v15, v11, v12
	v_mul_hi_u32 v16, v7, v10
	s_delay_alu instid0(VALU_DEP_3) | instskip(NEXT) | instid1(VALU_DEP_3)
	v_mad_u64_u32 v[3:4], null, v7, v13, 0
	v_mad_u64_u32 v[5:6], null, v15, v10, 0
	v_mad_u64_u32 v[10:11], null, v15, v13, 0
	s_delay_alu instid0(VALU_DEP_3) | instskip(NEXT) | instid1(VALU_DEP_4)
	v_add_co_u32 v3, vcc_lo, v16, v3
	v_add_co_ci_u32_e32 v4, vcc_lo, 0, v4, vcc_lo
	s_delay_alu instid0(VALU_DEP_2) | instskip(NEXT) | instid1(VALU_DEP_2)
	v_add_co_u32 v3, vcc_lo, v3, v5
	v_add_co_ci_u32_e32 v3, vcc_lo, v4, v6, vcc_lo
	v_add_co_ci_u32_e32 v4, vcc_lo, 0, v11, vcc_lo
	s_delay_alu instid0(VALU_DEP_2) | instskip(NEXT) | instid1(VALU_DEP_2)
	v_add_co_u32 v5, vcc_lo, v3, v10
	v_add_co_ci_u32_e32 v6, vcc_lo, 0, v4, vcc_lo
	s_delay_alu instid0(VALU_DEP_2) | instskip(SKIP_1) | instid1(VALU_DEP_3)
	v_mul_lo_u32 v10, s29, v5
	v_mad_u64_u32 v[3:4], null, s28, v5, 0
	v_mul_lo_u32 v11, s28, v6
	s_delay_alu instid0(VALU_DEP_2) | instskip(NEXT) | instid1(VALU_DEP_2)
	v_sub_co_u32 v3, vcc_lo, v7, v3
	v_add3_u32 v4, v4, v11, v10
	s_delay_alu instid0(VALU_DEP_1) | instskip(NEXT) | instid1(VALU_DEP_1)
	v_sub_nc_u32_e32 v10, v15, v4
	v_subrev_co_ci_u32_e64 v7, s0, s29, v10, vcc_lo
	v_add_co_u32 v10, s0, v5, 2
	s_delay_alu instid0(VALU_DEP_1) | instskip(SKIP_3) | instid1(VALU_DEP_3)
	v_add_co_ci_u32_e64 v11, s0, 0, v6, s0
	v_sub_co_u32 v13, s0, v3, s28
	v_sub_co_ci_u32_e32 v4, vcc_lo, v15, v4, vcc_lo
	v_subrev_co_ci_u32_e64 v7, s0, 0, v7, s0
	v_cmp_le_u32_e32 vcc_lo, s28, v13
	s_delay_alu instid0(VALU_DEP_3) | instskip(SKIP_1) | instid1(VALU_DEP_4)
	v_cmp_eq_u32_e64 s0, s29, v4
	v_cndmask_b32_e64 v13, 0, -1, vcc_lo
	v_cmp_le_u32_e32 vcc_lo, s29, v7
	v_cndmask_b32_e64 v15, 0, -1, vcc_lo
	v_cmp_le_u32_e32 vcc_lo, s28, v3
	;; [unrolled: 2-line block ×3, first 2 shown]
	v_cndmask_b32_e64 v16, 0, -1, vcc_lo
	v_cmp_eq_u32_e32 vcc_lo, s29, v7
	s_delay_alu instid0(VALU_DEP_2) | instskip(SKIP_3) | instid1(VALU_DEP_3)
	v_cndmask_b32_e64 v3, v16, v3, s0
	v_cndmask_b32_e32 v7, v15, v13, vcc_lo
	v_add_co_u32 v13, vcc_lo, v5, 1
	v_add_co_ci_u32_e32 v15, vcc_lo, 0, v6, vcc_lo
	v_cmp_ne_u32_e32 vcc_lo, 0, v7
	s_delay_alu instid0(VALU_DEP_2) | instskip(SKIP_2) | instid1(VALU_DEP_3)
	v_dual_cndmask_b32 v4, v15, v11 :: v_dual_cndmask_b32 v7, v13, v10
	v_cmp_ne_u32_e32 vcc_lo, 0, v3
	v_xor_b32_e32 v3, s26, v12
	v_dual_cndmask_b32 v5, v5, v7 :: v_dual_cndmask_b32 v4, v6, v4
	s_delay_alu instid0(VALU_DEP_1) | instskip(NEXT) | instid1(VALU_DEP_2)
	v_xor_b32_e32 v5, v5, v3
	v_xor_b32_e32 v4, v4, v3
	s_delay_alu instid0(VALU_DEP_2) | instskip(NEXT) | instid1(VALU_DEP_2)
	v_sub_co_u32 v6, vcc_lo, v5, v3
	v_sub_co_ci_u32_e32 v7, vcc_lo, v4, v3, vcc_lo
.LBB70_9:                               ;   in Loop: Header=BB70_3 Depth=1
	s_and_not1_saveexec_b32 s0, s1
	s_cbranch_execz .LBB70_11
; %bb.10:                               ;   in Loop: Header=BB70_3 Depth=1
	v_cvt_f32_u32_e32 v3, s22
	s_sub_i32 s1, 0, s22
	v_mov_b32_e32 v7, v2
	s_delay_alu instid0(VALU_DEP_2) | instskip(SKIP_2) | instid1(VALU_DEP_1)
	v_rcp_iflag_f32_e32 v3, v3
	s_waitcnt_depctr 0xfff
	v_mul_f32_e32 v3, 0x4f7ffffe, v3
	v_cvt_u32_f32_e32 v3, v3
	s_delay_alu instid0(VALU_DEP_1) | instskip(NEXT) | instid1(VALU_DEP_1)
	v_mul_lo_u32 v4, s1, v3
	v_mul_hi_u32 v4, v3, v4
	s_delay_alu instid0(VALU_DEP_1) | instskip(NEXT) | instid1(VALU_DEP_1)
	v_add_nc_u32_e32 v3, v3, v4
	v_mul_hi_u32 v3, v8, v3
	s_delay_alu instid0(VALU_DEP_1) | instskip(SKIP_1) | instid1(VALU_DEP_2)
	v_mul_lo_u32 v4, v3, s22
	v_add_nc_u32_e32 v5, 1, v3
	v_sub_nc_u32_e32 v4, v8, v4
	s_delay_alu instid0(VALU_DEP_1) | instskip(SKIP_1) | instid1(VALU_DEP_2)
	v_subrev_nc_u32_e32 v6, s22, v4
	v_cmp_le_u32_e32 vcc_lo, s22, v4
	v_dual_cndmask_b32 v4, v4, v6 :: v_dual_cndmask_b32 v3, v3, v5
	s_delay_alu instid0(VALU_DEP_1) | instskip(NEXT) | instid1(VALU_DEP_2)
	v_cmp_le_u32_e32 vcc_lo, s22, v4
	v_add_nc_u32_e32 v5, 1, v3
	s_delay_alu instid0(VALU_DEP_1)
	v_cndmask_b32_e32 v6, v3, v5, vcc_lo
.LBB70_11:                              ;   in Loop: Header=BB70_3 Depth=1
	s_or_b32 exec_lo, exec_lo, s0
	v_mul_lo_u32 v5, v9, s2
	v_mul_lo_u32 v12, v8, s3
	v_mad_u64_u32 v[3:4], null, v8, s2, 0
	v_mul_lo_u32 v13, v7, s22
	v_mul_lo_u32 v15, v6, s23
	v_mad_u64_u32 v[10:11], null, v6, s22, 0
	s_mov_b32 s25, exec_lo
	s_delay_alu instid0(VALU_DEP_4) | instskip(SKIP_1) | instid1(VALU_DEP_3)
	v_add3_u32 v5, v4, v12, v5
	v_sub_co_u32 v4, vcc_lo, v0, v3
	v_add3_u32 v11, v11, v15, v13
	s_delay_alu instid0(VALU_DEP_3) | instskip(SKIP_1) | instid1(VALU_DEP_3)
	v_sub_co_ci_u32_e32 v5, vcc_lo, v1, v5, vcc_lo
	v_sub_co_u32 v15, vcc_lo, v8, v10
	v_sub_co_ci_u32_e32 v16, vcc_lo, v9, v11, vcc_lo
	s_delay_alu instid0(VALU_DEP_2) | instskip(NEXT) | instid1(VALU_DEP_2)
	v_sub_co_u32 v8, vcc_lo, v4, v15
	v_sub_co_ci_u32_e32 v9, vcc_lo, v5, v16, vcc_lo
	s_delay_alu instid0(VALU_DEP_1)
	v_cmpx_gt_i64_e64 s[4:5], v[8:9]
	s_cbranch_execz .LBB70_2
; %bb.12:                               ;   in Loop: Header=BB70_3 Depth=1
	s_clause 0x1
	s_load_b64 s[28:29], s[10:11], 0x0
	s_load_b64 s[0:1], s[12:13], 0x0
	s_and_b32 vcc_lo, exec_lo, s44
	s_mov_b64 s[30:31], s[20:21]
	s_mov_b64 s[34:35], s[18:19]
	;; [unrolled: 1-line block ×3, first 2 shown]
	s_waitcnt lgkmcnt(0)
	v_mul_lo_u32 v3, s29, v4
	v_mul_lo_u32 v10, s28, v5
	v_mad_u64_u32 v[8:9], null, s28, v4, 0
	s_delay_alu instid0(VALU_DEP_1) | instskip(SKIP_1) | instid1(VALU_DEP_2)
	v_add3_u32 v9, v9, v10, v3
	v_mul_lo_u32 v3, s0, v16
	v_mad_u64_u32 v[12:13], null, s0, v15, v[8:9]
	v_mul_lo_u32 v8, s1, v15
	s_delay_alu instid0(VALU_DEP_1) | instskip(NEXT) | instid1(VALU_DEP_1)
	v_add3_u32 v13, v8, v13, v3
	v_dual_mov_b32 v8, v12 :: v_dual_mov_b32 v9, v13
	s_cbranch_vccnz .LBB70_23
.LBB70_13:                              ;   in Loop: Header=BB70_3 Depth=1
	s_load_b64 s[0:1], s[14:15], 0x0
	s_waitcnt lgkmcnt(0)
	v_cmp_gt_i64_e32 vcc_lo, s[0:1], v[4:5]
	s_and_b32 exec_lo, exec_lo, vcc_lo
	s_cbranch_execz .LBB70_2
; %bb.14:                               ;   in Loop: Header=BB70_3 Depth=1
	v_lshlrev_b64 v[6:7], 1, v[12:13]
	v_add_co_u32 v8, vcc_lo, v4, 1
	v_add_co_ci_u32_e32 v9, vcc_lo, 0, v5, vcc_lo
	s_delay_alu instid0(VALU_DEP_3) | instskip(NEXT) | instid1(VALU_DEP_4)
	v_add_co_u32 v6, vcc_lo, s8, v6
	v_add_co_ci_u32_e32 v7, vcc_lo, s9, v7, vcc_lo
	s_delay_alu instid0(VALU_DEP_3)
	v_cmp_gt_i64_e32 vcc_lo, s[0:1], v[8:9]
	global_store_b16 v[6:7], v2, off
	s_and_b32 exec_lo, exec_lo, vcc_lo
	s_cbranch_execz .LBB70_2
; %bb.15:                               ;   in Loop: Header=BB70_3 Depth=1
	v_sub_co_u32 v8, vcc_lo, v8, v15
	v_sub_co_ci_u32_e32 v9, vcc_lo, v9, v16, vcc_lo
	s_mov_b32 s27, exec_lo
	s_delay_alu instid0(VALU_DEP_1)
	v_cmpx_gt_i64_e64 s[4:5], v[8:9]
	s_cbranch_execz .LBB70_17
; %bb.16:                               ;   in Loop: Header=BB70_3 Depth=1
	s_lshl_b64 s[30:31], s[28:29], 1
	s_delay_alu instid0(SALU_CYCLE_1)
	v_add_co_u32 v8, vcc_lo, v6, s30
	v_add_co_ci_u32_e32 v9, vcc_lo, s31, v7, vcc_lo
	global_store_b16 v[8:9], v2, off
.LBB70_17:                              ;   in Loop: Header=BB70_3 Depth=1
	s_or_b32 exec_lo, exec_lo, s27
	v_add_co_u32 v8, vcc_lo, v4, 2
	v_add_co_ci_u32_e32 v9, vcc_lo, 0, v5, vcc_lo
	s_delay_alu instid0(VALU_DEP_1)
	v_cmp_gt_i64_e32 vcc_lo, s[0:1], v[8:9]
	s_and_b32 exec_lo, exec_lo, vcc_lo
	s_cbranch_execz .LBB70_2
; %bb.18:                               ;   in Loop: Header=BB70_3 Depth=1
	v_sub_co_u32 v8, vcc_lo, v8, v15
	v_sub_co_ci_u32_e32 v9, vcc_lo, v9, v16, vcc_lo
	s_mov_b32 s27, exec_lo
	s_delay_alu instid0(VALU_DEP_1)
	v_cmpx_gt_i64_e64 s[4:5], v[8:9]
	s_cbranch_execz .LBB70_20
; %bb.19:                               ;   in Loop: Header=BB70_3 Depth=1
	s_lshl_b64 s[30:31], s[28:29], 2
	s_delay_alu instid0(SALU_CYCLE_1)
	v_add_co_u32 v8, vcc_lo, v6, s30
	v_add_co_ci_u32_e32 v9, vcc_lo, s31, v7, vcc_lo
	global_store_b16 v[8:9], v2, off
.LBB70_20:                              ;   in Loop: Header=BB70_3 Depth=1
	s_or_b32 exec_lo, exec_lo, s27
	v_add_co_u32 v3, vcc_lo, v4, 3
	v_add_co_ci_u32_e32 v4, vcc_lo, 0, v5, vcc_lo
	s_delay_alu instid0(VALU_DEP_2) | instskip(NEXT) | instid1(VALU_DEP_2)
	v_sub_co_u32 v8, vcc_lo, v3, v15
	v_sub_co_ci_u32_e32 v9, vcc_lo, v4, v16, vcc_lo
	v_cmp_gt_i64_e32 vcc_lo, s[0:1], v[3:4]
	s_delay_alu instid0(VALU_DEP_2) | instskip(NEXT) | instid1(VALU_DEP_1)
	v_cmp_gt_i64_e64 s0, s[4:5], v[8:9]
	s_and_b32 s0, vcc_lo, s0
	s_delay_alu instid0(SALU_CYCLE_1)
	s_and_b32 exec_lo, exec_lo, s0
	s_cbranch_execz .LBB70_2
; %bb.21:                               ;   in Loop: Header=BB70_3 Depth=1
	v_mad_u64_u32 v[3:4], null, s28, 6, v[6:7]
	s_delay_alu instid0(VALU_DEP_1) | instskip(NEXT) | instid1(VALU_DEP_1)
	v_mad_u64_u32 v[5:6], null, s29, 6, v[4:5]
	v_mov_b32_e32 v4, v5
	global_store_b16 v[3:4], v2, off
	s_branch .LBB70_2
.LBB70_22:                              ;   in Loop: Header=BB70_23 Depth=2
	s_or_b32 exec_lo, exec_lo, s0
	s_load_b64 s[0:1], s[36:37], 0x0
	s_delay_alu instid0(VALU_DEP_1)
	v_mul_lo_u32 v3, v11, s38
	v_mul_lo_u32 v17, v10, s39
	v_mad_u64_u32 v[12:13], null, v10, s38, 0
	s_add_u32 s36, s36, -8
	s_addc_u32 s37, s37, -1
	s_add_u32 s34, s34, -8
	s_addc_u32 s35, s35, -1
	;; [unrolled: 2-line block ×3, first 2 shown]
	s_delay_alu instid0(VALU_DEP_1) | instskip(SKIP_1) | instid1(VALU_DEP_2)
	v_add3_u32 v3, v13, v17, v3
	v_sub_co_u32 v6, vcc_lo, v6, v12
	v_sub_co_ci_u32_e32 v3, vcc_lo, v7, v3, vcc_lo
	s_waitcnt lgkmcnt(0)
	s_delay_alu instid0(VALU_DEP_2) | instskip(NEXT) | instid1(VALU_DEP_2)
	v_mul_lo_u32 v7, s1, v6
	v_mul_lo_u32 v3, s0, v3
	v_mad_u64_u32 v[12:13], null, s0, v6, v[8:9]
	v_cmp_lt_i64_e64 s0, s[30:31], 1
	s_delay_alu instid0(VALU_DEP_1) | instskip(NEXT) | instid1(VALU_DEP_2)
	s_and_b32 vcc_lo, exec_lo, s0
	v_add3_u32 v13, v7, v13, v3
	s_delay_alu instid0(VALU_DEP_3) | instskip(SKIP_1) | instid1(VALU_DEP_3)
	v_mov_b32_e32 v8, v12
	v_dual_mov_b32 v6, v10 :: v_dual_mov_b32 v7, v11
	v_mov_b32_e32 v9, v13
	s_cbranch_vccnz .LBB70_13
.LBB70_23:                              ;   Parent Loop BB70_3 Depth=1
                                        ; =>  This Inner Loop Header: Depth=2
	s_load_b64 s[38:39], s[34:35], 0x0
                                        ; implicit-def: $vgpr10_vgpr11
	s_mov_b32 s0, exec_lo
	s_waitcnt lgkmcnt(0)
	v_or_b32_e32 v3, s39, v7
	s_delay_alu instid0(VALU_DEP_1)
	v_cmpx_ne_u64_e32 0, v[2:3]
	s_xor_b32 s1, exec_lo, s0
	s_cbranch_execz .LBB70_25
; %bb.24:                               ;   in Loop: Header=BB70_23 Depth=2
	s_ashr_i32 s40, s39, 31
	s_delay_alu instid0(SALU_CYCLE_1) | instskip(SKIP_2) | instid1(SALU_CYCLE_1)
	s_add_u32 s42, s38, s40
	s_mov_b32 s41, s40
	s_addc_u32 s43, s39, s40
	s_xor_b64 s[42:43], s[42:43], s[40:41]
	s_delay_alu instid0(SALU_CYCLE_1) | instskip(SKIP_3) | instid1(VALU_DEP_1)
	v_cvt_f32_u32_e32 v3, s42
	v_cvt_f32_u32_e32 v10, s43
	s_sub_u32 s0, 0, s42
	s_subb_u32 s27, 0, s43
	v_fmac_f32_e32 v3, 0x4f800000, v10
	s_delay_alu instid0(VALU_DEP_1) | instskip(SKIP_2) | instid1(VALU_DEP_1)
	v_rcp_f32_e32 v3, v3
	s_waitcnt_depctr 0xfff
	v_mul_f32_e32 v3, 0x5f7ffffc, v3
	v_mul_f32_e32 v10, 0x2f800000, v3
	s_delay_alu instid0(VALU_DEP_1) | instskip(NEXT) | instid1(VALU_DEP_1)
	v_trunc_f32_e32 v10, v10
	v_fmac_f32_e32 v3, 0xcf800000, v10
	v_cvt_u32_f32_e32 v10, v10
	s_delay_alu instid0(VALU_DEP_2) | instskip(NEXT) | instid1(VALU_DEP_2)
	v_cvt_u32_f32_e32 v3, v3
	v_mul_lo_u32 v11, s0, v10
	s_delay_alu instid0(VALU_DEP_2) | instskip(SKIP_1) | instid1(VALU_DEP_2)
	v_mul_hi_u32 v12, s0, v3
	v_mul_lo_u32 v13, s27, v3
	v_add_nc_u32_e32 v11, v12, v11
	v_mul_lo_u32 v12, s0, v3
	s_delay_alu instid0(VALU_DEP_2) | instskip(NEXT) | instid1(VALU_DEP_2)
	v_add_nc_u32_e32 v11, v11, v13
	v_mul_hi_u32 v13, v3, v12
	s_delay_alu instid0(VALU_DEP_2)
	v_mul_lo_u32 v17, v3, v11
	v_mul_hi_u32 v18, v3, v11
	v_mul_hi_u32 v19, v10, v12
	v_mul_lo_u32 v12, v10, v12
	v_mul_hi_u32 v20, v10, v11
	v_mul_lo_u32 v11, v10, v11
	v_add_co_u32 v13, vcc_lo, v13, v17
	v_add_co_ci_u32_e32 v17, vcc_lo, 0, v18, vcc_lo
	s_delay_alu instid0(VALU_DEP_2) | instskip(NEXT) | instid1(VALU_DEP_2)
	v_add_co_u32 v12, vcc_lo, v13, v12
	v_add_co_ci_u32_e32 v12, vcc_lo, v17, v19, vcc_lo
	v_add_co_ci_u32_e32 v13, vcc_lo, 0, v20, vcc_lo
	v_ashrrev_i32_e32 v19, 31, v7
	s_delay_alu instid0(VALU_DEP_3) | instskip(NEXT) | instid1(VALU_DEP_3)
	v_add_co_u32 v11, vcc_lo, v12, v11
	v_add_co_ci_u32_e32 v12, vcc_lo, 0, v13, vcc_lo
	s_delay_alu instid0(VALU_DEP_2) | instskip(NEXT) | instid1(VALU_DEP_2)
	v_add_co_u32 v3, vcc_lo, v3, v11
	v_add_co_ci_u32_e32 v10, vcc_lo, v10, v12, vcc_lo
	s_delay_alu instid0(VALU_DEP_2) | instskip(SKIP_1) | instid1(VALU_DEP_3)
	v_mul_hi_u32 v11, s0, v3
	v_mul_lo_u32 v13, s27, v3
	v_mul_lo_u32 v12, s0, v10
	s_delay_alu instid0(VALU_DEP_1) | instskip(SKIP_1) | instid1(VALU_DEP_2)
	v_add_nc_u32_e32 v11, v11, v12
	v_mul_lo_u32 v12, s0, v3
	v_add_nc_u32_e32 v11, v11, v13
	s_delay_alu instid0(VALU_DEP_2) | instskip(NEXT) | instid1(VALU_DEP_2)
	v_mul_hi_u32 v13, v3, v12
	v_mul_lo_u32 v17, v3, v11
	v_mul_hi_u32 v18, v3, v11
	v_mul_hi_u32 v20, v10, v12
	v_mul_lo_u32 v12, v10, v12
	v_mul_hi_u32 v21, v10, v11
	v_mul_lo_u32 v11, v10, v11
	v_add_co_u32 v13, vcc_lo, v13, v17
	v_add_co_ci_u32_e32 v17, vcc_lo, 0, v18, vcc_lo
	s_delay_alu instid0(VALU_DEP_2) | instskip(NEXT) | instid1(VALU_DEP_2)
	v_add_co_u32 v12, vcc_lo, v13, v12
	v_add_co_ci_u32_e32 v12, vcc_lo, v17, v20, vcc_lo
	v_add_co_ci_u32_e32 v13, vcc_lo, 0, v21, vcc_lo
	v_add_co_u32 v17, vcc_lo, v6, v19
	v_add_co_ci_u32_e32 v18, vcc_lo, v7, v19, vcc_lo
	s_delay_alu instid0(VALU_DEP_4) | instskip(NEXT) | instid1(VALU_DEP_4)
	v_add_co_u32 v11, vcc_lo, v12, v11
	v_add_co_ci_u32_e32 v12, vcc_lo, 0, v13, vcc_lo
	s_delay_alu instid0(VALU_DEP_4) | instskip(NEXT) | instid1(VALU_DEP_3)
	v_xor_b32_e32 v20, v17, v19
	v_add_co_u32 v3, vcc_lo, v3, v11
	s_delay_alu instid0(VALU_DEP_3) | instskip(SKIP_1) | instid1(VALU_DEP_3)
	v_add_co_ci_u32_e32 v21, vcc_lo, v10, v12, vcc_lo
	v_xor_b32_e32 v22, v18, v19
	v_mul_hi_u32 v23, v20, v3
	s_delay_alu instid0(VALU_DEP_3) | instskip(NEXT) | instid1(VALU_DEP_3)
	v_mad_u64_u32 v[10:11], null, v20, v21, 0
	v_mad_u64_u32 v[12:13], null, v22, v3, 0
	;; [unrolled: 1-line block ×3, first 2 shown]
	s_delay_alu instid0(VALU_DEP_3) | instskip(NEXT) | instid1(VALU_DEP_4)
	v_add_co_u32 v3, vcc_lo, v23, v10
	v_add_co_ci_u32_e32 v10, vcc_lo, 0, v11, vcc_lo
	s_delay_alu instid0(VALU_DEP_2) | instskip(NEXT) | instid1(VALU_DEP_2)
	v_add_co_u32 v3, vcc_lo, v3, v12
	v_add_co_ci_u32_e32 v3, vcc_lo, v10, v13, vcc_lo
	v_add_co_ci_u32_e32 v10, vcc_lo, 0, v18, vcc_lo
	s_delay_alu instid0(VALU_DEP_2) | instskip(NEXT) | instid1(VALU_DEP_2)
	v_add_co_u32 v3, vcc_lo, v3, v17
	v_add_co_ci_u32_e32 v12, vcc_lo, 0, v10, vcc_lo
	s_delay_alu instid0(VALU_DEP_2) | instskip(SKIP_1) | instid1(VALU_DEP_3)
	v_mul_lo_u32 v13, s43, v3
	v_mad_u64_u32 v[10:11], null, s42, v3, 0
	v_mul_lo_u32 v17, s42, v12
	s_delay_alu instid0(VALU_DEP_2) | instskip(NEXT) | instid1(VALU_DEP_2)
	v_sub_co_u32 v10, vcc_lo, v20, v10
	v_add3_u32 v11, v11, v17, v13
	s_delay_alu instid0(VALU_DEP_1) | instskip(NEXT) | instid1(VALU_DEP_1)
	v_sub_nc_u32_e32 v13, v22, v11
	v_subrev_co_ci_u32_e64 v13, s0, s43, v13, vcc_lo
	v_add_co_u32 v17, s0, v3, 2
	s_delay_alu instid0(VALU_DEP_1) | instskip(SKIP_3) | instid1(VALU_DEP_3)
	v_add_co_ci_u32_e64 v18, s0, 0, v12, s0
	v_sub_co_u32 v20, s0, v10, s42
	v_sub_co_ci_u32_e32 v11, vcc_lo, v22, v11, vcc_lo
	v_subrev_co_ci_u32_e64 v13, s0, 0, v13, s0
	v_cmp_le_u32_e32 vcc_lo, s42, v20
	s_delay_alu instid0(VALU_DEP_3) | instskip(SKIP_1) | instid1(VALU_DEP_4)
	v_cmp_eq_u32_e64 s0, s43, v11
	v_cndmask_b32_e64 v20, 0, -1, vcc_lo
	v_cmp_le_u32_e32 vcc_lo, s43, v13
	v_cndmask_b32_e64 v21, 0, -1, vcc_lo
	v_cmp_le_u32_e32 vcc_lo, s42, v10
	;; [unrolled: 2-line block ×3, first 2 shown]
	v_cndmask_b32_e64 v22, 0, -1, vcc_lo
	v_cmp_eq_u32_e32 vcc_lo, s43, v13
	s_delay_alu instid0(VALU_DEP_2) | instskip(SKIP_3) | instid1(VALU_DEP_3)
	v_cndmask_b32_e64 v10, v22, v10, s0
	v_cndmask_b32_e32 v13, v21, v20, vcc_lo
	v_add_co_u32 v20, vcc_lo, v3, 1
	v_add_co_ci_u32_e32 v21, vcc_lo, 0, v12, vcc_lo
	v_cmp_ne_u32_e32 vcc_lo, 0, v13
	s_delay_alu instid0(VALU_DEP_2) | instskip(NEXT) | instid1(VALU_DEP_4)
	v_cndmask_b32_e32 v11, v21, v18, vcc_lo
	v_cndmask_b32_e32 v13, v20, v17, vcc_lo
	v_cmp_ne_u32_e32 vcc_lo, 0, v10
	v_xor_b32_e32 v17, s40, v19
	s_delay_alu instid0(VALU_DEP_3) | instskip(NEXT) | instid1(VALU_DEP_1)
	v_dual_cndmask_b32 v3, v3, v13 :: v_dual_cndmask_b32 v10, v12, v11
	v_xor_b32_e32 v3, v3, v17
	s_delay_alu instid0(VALU_DEP_2) | instskip(NEXT) | instid1(VALU_DEP_2)
	v_xor_b32_e32 v11, v10, v17
	v_sub_co_u32 v10, vcc_lo, v3, v17
	s_delay_alu instid0(VALU_DEP_2)
	v_sub_co_ci_u32_e32 v11, vcc_lo, v11, v17, vcc_lo
.LBB70_25:                              ;   in Loop: Header=BB70_23 Depth=2
	s_and_not1_saveexec_b32 s0, s1
	s_cbranch_execz .LBB70_22
; %bb.26:                               ;   in Loop: Header=BB70_23 Depth=2
	v_cvt_f32_u32_e32 v3, s38
	s_sub_i32 s1, 0, s38
	s_delay_alu instid0(VALU_DEP_1) | instskip(SKIP_2) | instid1(VALU_DEP_1)
	v_rcp_iflag_f32_e32 v3, v3
	s_waitcnt_depctr 0xfff
	v_mul_f32_e32 v3, 0x4f7ffffe, v3
	v_cvt_u32_f32_e32 v3, v3
	s_delay_alu instid0(VALU_DEP_1) | instskip(NEXT) | instid1(VALU_DEP_1)
	v_mul_lo_u32 v10, s1, v3
	v_mul_hi_u32 v10, v3, v10
	s_delay_alu instid0(VALU_DEP_1) | instskip(NEXT) | instid1(VALU_DEP_1)
	v_add_nc_u32_e32 v3, v3, v10
	v_mul_hi_u32 v3, v6, v3
	s_delay_alu instid0(VALU_DEP_1) | instskip(SKIP_1) | instid1(VALU_DEP_2)
	v_mul_lo_u32 v10, v3, s38
	v_add_nc_u32_e32 v11, 1, v3
	v_sub_nc_u32_e32 v10, v6, v10
	s_delay_alu instid0(VALU_DEP_1) | instskip(SKIP_1) | instid1(VALU_DEP_2)
	v_subrev_nc_u32_e32 v12, s38, v10
	v_cmp_le_u32_e32 vcc_lo, s38, v10
	v_dual_cndmask_b32 v10, v10, v12 :: v_dual_cndmask_b32 v3, v3, v11
	s_delay_alu instid0(VALU_DEP_1) | instskip(NEXT) | instid1(VALU_DEP_2)
	v_cmp_le_u32_e32 vcc_lo, s38, v10
	v_add_nc_u32_e32 v11, 1, v3
	s_delay_alu instid0(VALU_DEP_1)
	v_dual_cndmask_b32 v10, v3, v11 :: v_dual_mov_b32 v11, v2
	s_branch .LBB70_22
.LBB70_27:
	s_nop 0
	s_sendmsg sendmsg(MSG_DEALLOC_VGPRS)
	s_endpgm
	.section	.rodata,"a",@progbits
	.p2align	6, 0x0
	.amdhsa_kernel _ZN2at6native16triu_tril_kernelIslLb1ELi4ELb1EEEvNS_4cuda6detail10TensorInfoIT_T0_EENS4_IKS5_S6_EEllS6_
		.amdhsa_group_segment_fixed_size 0
		.amdhsa_private_segment_fixed_size 0
		.amdhsa_kernarg_size 1112
		.amdhsa_user_sgpr_count 15
		.amdhsa_user_sgpr_dispatch_ptr 0
		.amdhsa_user_sgpr_queue_ptr 0
		.amdhsa_user_sgpr_kernarg_segment_ptr 1
		.amdhsa_user_sgpr_dispatch_id 0
		.amdhsa_user_sgpr_private_segment_size 0
		.amdhsa_wavefront_size32 1
		.amdhsa_uses_dynamic_stack 0
		.amdhsa_enable_private_segment 0
		.amdhsa_system_sgpr_workgroup_id_x 1
		.amdhsa_system_sgpr_workgroup_id_y 0
		.amdhsa_system_sgpr_workgroup_id_z 0
		.amdhsa_system_sgpr_workgroup_info 0
		.amdhsa_system_vgpr_workitem_id 0
		.amdhsa_next_free_vgpr 24
		.amdhsa_next_free_sgpr 46
		.amdhsa_reserve_vcc 1
		.amdhsa_float_round_mode_32 0
		.amdhsa_float_round_mode_16_64 0
		.amdhsa_float_denorm_mode_32 3
		.amdhsa_float_denorm_mode_16_64 3
		.amdhsa_dx10_clamp 1
		.amdhsa_ieee_mode 1
		.amdhsa_fp16_overflow 0
		.amdhsa_workgroup_processor_mode 1
		.amdhsa_memory_ordered 1
		.amdhsa_forward_progress 0
		.amdhsa_shared_vgpr_count 0
		.amdhsa_exception_fp_ieee_invalid_op 0
		.amdhsa_exception_fp_denorm_src 0
		.amdhsa_exception_fp_ieee_div_zero 0
		.amdhsa_exception_fp_ieee_overflow 0
		.amdhsa_exception_fp_ieee_underflow 0
		.amdhsa_exception_fp_ieee_inexact 0
		.amdhsa_exception_int_div_zero 0
	.end_amdhsa_kernel
	.section	.text._ZN2at6native16triu_tril_kernelIslLb1ELi4ELb1EEEvNS_4cuda6detail10TensorInfoIT_T0_EENS4_IKS5_S6_EEllS6_,"axG",@progbits,_ZN2at6native16triu_tril_kernelIslLb1ELi4ELb1EEEvNS_4cuda6detail10TensorInfoIT_T0_EENS4_IKS5_S6_EEllS6_,comdat
.Lfunc_end70:
	.size	_ZN2at6native16triu_tril_kernelIslLb1ELi4ELb1EEEvNS_4cuda6detail10TensorInfoIT_T0_EENS4_IKS5_S6_EEllS6_, .Lfunc_end70-_ZN2at6native16triu_tril_kernelIslLb1ELi4ELb1EEEvNS_4cuda6detail10TensorInfoIT_T0_EENS4_IKS5_S6_EEllS6_
                                        ; -- End function
	.section	.AMDGPU.csdata,"",@progbits
; Kernel info:
; codeLenInByte = 4064
; NumSgprs: 48
; NumVgprs: 24
; ScratchSize: 0
; MemoryBound: 0
; FloatMode: 240
; IeeeMode: 1
; LDSByteSize: 0 bytes/workgroup (compile time only)
; SGPRBlocks: 5
; VGPRBlocks: 2
; NumSGPRsForWavesPerEU: 48
; NumVGPRsForWavesPerEU: 24
; Occupancy: 16
; WaveLimiterHint : 0
; COMPUTE_PGM_RSRC2:SCRATCH_EN: 0
; COMPUTE_PGM_RSRC2:USER_SGPR: 15
; COMPUTE_PGM_RSRC2:TRAP_HANDLER: 0
; COMPUTE_PGM_RSRC2:TGID_X_EN: 1
; COMPUTE_PGM_RSRC2:TGID_Y_EN: 0
; COMPUTE_PGM_RSRC2:TGID_Z_EN: 0
; COMPUTE_PGM_RSRC2:TIDIG_COMP_CNT: 0
	.section	.text._ZN2at6native16triu_tril_kernelIslLb1ELi4ELb0EEEvNS_4cuda6detail10TensorInfoIT_T0_EENS4_IKS5_S6_EEllS6_,"axG",@progbits,_ZN2at6native16triu_tril_kernelIslLb1ELi4ELb0EEEvNS_4cuda6detail10TensorInfoIT_T0_EENS4_IKS5_S6_EEllS6_,comdat
	.protected	_ZN2at6native16triu_tril_kernelIslLb1ELi4ELb0EEEvNS_4cuda6detail10TensorInfoIT_T0_EENS4_IKS5_S6_EEllS6_ ; -- Begin function _ZN2at6native16triu_tril_kernelIslLb1ELi4ELb0EEEvNS_4cuda6detail10TensorInfoIT_T0_EENS4_IKS5_S6_EEllS6_
	.globl	_ZN2at6native16triu_tril_kernelIslLb1ELi4ELb0EEEvNS_4cuda6detail10TensorInfoIT_T0_EENS4_IKS5_S6_EEllS6_
	.p2align	8
	.type	_ZN2at6native16triu_tril_kernelIslLb1ELi4ELb0EEEvNS_4cuda6detail10TensorInfoIT_T0_EENS4_IKS5_S6_EEllS6_,@function
_ZN2at6native16triu_tril_kernelIslLb1ELi4ELb0EEEvNS_4cuda6detail10TensorInfoIT_T0_EENS4_IKS5_S6_EEllS6_: ; @_ZN2at6native16triu_tril_kernelIslLb1ELi4ELb0EEEvNS_4cuda6detail10TensorInfoIT_T0_EENS4_IKS5_S6_EEllS6_
; %bb.0:
	s_clause 0x1
	s_load_b32 s2, s[0:1], 0x364
	s_load_b128 s[4:7], s[0:1], 0x340
	v_mov_b32_e32 v2, 0
	s_add_u32 s8, s0, 0x358
	s_addc_u32 s9, s1, 0
	s_delay_alu instid0(VALU_DEP_1) | instskip(SKIP_3) | instid1(VALU_DEP_1)
	v_mov_b32_e32 v1, v2
	s_waitcnt lgkmcnt(0)
	s_and_b32 s36, s2, 0xffff
	s_mov_b32 s2, exec_lo
	v_mad_u64_u32 v[3:4], null, s36, s15, v[0:1]
	s_delay_alu instid0(VALU_DEP_1) | instskip(NEXT) | instid1(VALU_DEP_1)
	v_lshlrev_b64 v[0:1], 2, v[3:4]
	v_cmpx_gt_i64_e64 s[6:7], v[0:1]
	s_cbranch_execz .LBB71_32
; %bb.1:
	s_clause 0x1
	s_load_b32 s34, s[0:1], 0x338
	s_load_b64 s[2:3], s[0:1], 0x350
	s_add_u32 s10, s0, 0x1a0
	s_addc_u32 s11, s1, 0
	s_load_b32 s37, s[8:9], 0x0
	s_clause 0x1
	s_load_b64 s[20:21], s[0:1], 0x1a0
	s_load_b64 s[22:23], s[0:1], 0x0
	s_mov_b32 s33, 0
	s_mov_b32 s24, s4
	;; [unrolled: 1-line block ×9, first 2 shown]
	s_waitcnt lgkmcnt(0)
	s_ashr_i32 s35, s34, 31
	s_add_u32 s44, s0, 0x1a8
	s_addc_u32 s45, s1, 0
	s_lshl_b64 s[8:9], s[34:35], 3
	v_cvt_f32_u32_e32 v3, s2
	s_add_u32 s16, s8, -16
	s_addc_u32 s17, s9, -1
	s_add_u32 s8, s44, s16
	s_addc_u32 s9, s45, s17
	s_add_u32 s12, s10, s16
	s_addc_u32 s13, s11, s17
	;; [unrolled: 2-line block ×3, first 2 shown]
	s_add_u32 s0, s38, s16
	s_clause 0x1
	s_load_b128 s[8:11], s[8:9], 0x0
	s_load_b128 s[12:15], s[12:13], 0xd0
	s_addc_u32 s1, s39, s17
	v_rcp_iflag_f32_e32 v3, v3
	s_load_b128 s[16:19], s[0:1], 0x0
	s_add_i32 s42, s34, -3
	s_mul_i32 s37, s37, s36
	s_ashr_i32 s43, s42, 31
	v_cmp_gt_i64_e64 s1, s[34:35], 2
	s_lshl_b64 s[40:41], s[42:43], 3
	s_lshl_b32 s56, s37, 2
	s_waitcnt_depctr 0xfff
	v_mul_f32_e32 v3, 0x4f7ffffe, v3
	s_delay_alu instid0(VALU_DEP_1)
	v_cvt_u32_f32_e32 v18, v3
	s_waitcnt lgkmcnt(0)
	s_mul_i32 s0, s15, 6
	s_mul_hi_u32 s36, s14, 6
	s_lshl_b64 s[34:35], s[14:15], 2
	s_add_i32 s58, s36, s0
	s_mul_i32 s0, s19, 6
	s_mul_hi_u32 s46, s18, 6
	s_lshl_b64 s[36:37], s[18:19], 2
	s_add_i32 s60, s46, s0
	s_add_u32 s38, s38, s40
	s_addc_u32 s39, s39, s41
	s_add_u32 s40, s44, s40
	s_addc_u32 s41, s45, s41
	s_add_u32 s42, s42, 1
	s_mul_i32 s57, s14, 6
	s_mul_i32 s59, s18, 6
	s_addc_u32 s43, s43, 0
	s_branch .LBB71_3
.LBB71_2:                               ;   in Loop: Header=BB71_3 Depth=1
	s_or_b32 exec_lo, exec_lo, s0
	v_add_co_u32 v0, vcc_lo, v0, s56
	v_add_co_ci_u32_e32 v1, vcc_lo, 0, v1, vcc_lo
	s_delay_alu instid0(VALU_DEP_1) | instskip(SKIP_1) | instid1(SALU_CYCLE_1)
	v_cmp_le_i64_e32 vcc_lo, s[6:7], v[0:1]
	s_or_b32 s33, vcc_lo, s33
	s_and_not1_b32 exec_lo, exec_lo, s33
	s_cbranch_execz .LBB71_32
.LBB71_3:                               ; =>This Loop Header: Depth=1
                                        ;     Child Loop BB71_28 Depth 2
	v_or_b32_e32 v3, s3, v1
                                        ; implicit-def: $vgpr8_vgpr9
	s_mov_b32 s0, exec_lo
	s_delay_alu instid0(VALU_DEP_1)
	v_cmpx_ne_u64_e32 0, v[2:3]
	s_xor_b32 s48, exec_lo, s0
	s_cbranch_execz .LBB71_5
; %bb.4:                                ;   in Loop: Header=BB71_3 Depth=1
	s_ashr_i32 s44, s3, 31
	s_delay_alu instid0(SALU_CYCLE_1) | instskip(SKIP_2) | instid1(SALU_CYCLE_1)
	s_add_u32 s46, s2, s44
	s_mov_b32 s45, s44
	s_addc_u32 s47, s3, s44
	s_xor_b64 s[46:47], s[46:47], s[44:45]
	s_delay_alu instid0(SALU_CYCLE_1) | instskip(SKIP_3) | instid1(VALU_DEP_1)
	v_cvt_f32_u32_e32 v3, s46
	v_cvt_f32_u32_e32 v4, s47
	s_sub_u32 s0, 0, s46
	s_subb_u32 s45, 0, s47
	v_fmac_f32_e32 v3, 0x4f800000, v4
	s_delay_alu instid0(VALU_DEP_1) | instskip(SKIP_2) | instid1(VALU_DEP_1)
	v_rcp_f32_e32 v3, v3
	s_waitcnt_depctr 0xfff
	v_mul_f32_e32 v3, 0x5f7ffffc, v3
	v_mul_f32_e32 v4, 0x2f800000, v3
	s_delay_alu instid0(VALU_DEP_1) | instskip(NEXT) | instid1(VALU_DEP_1)
	v_trunc_f32_e32 v4, v4
	v_fmac_f32_e32 v3, 0xcf800000, v4
	v_cvt_u32_f32_e32 v4, v4
	s_delay_alu instid0(VALU_DEP_2) | instskip(NEXT) | instid1(VALU_DEP_2)
	v_cvt_u32_f32_e32 v3, v3
	v_mul_lo_u32 v5, s0, v4
	s_delay_alu instid0(VALU_DEP_2) | instskip(SKIP_1) | instid1(VALU_DEP_2)
	v_mul_hi_u32 v6, s0, v3
	v_mul_lo_u32 v7, s45, v3
	v_add_nc_u32_e32 v5, v6, v5
	v_mul_lo_u32 v6, s0, v3
	s_delay_alu instid0(VALU_DEP_2) | instskip(NEXT) | instid1(VALU_DEP_2)
	v_add_nc_u32_e32 v5, v5, v7
	v_mul_hi_u32 v7, v3, v6
	s_delay_alu instid0(VALU_DEP_2)
	v_mul_lo_u32 v8, v3, v5
	v_mul_hi_u32 v9, v3, v5
	v_mul_hi_u32 v10, v4, v6
	v_mul_lo_u32 v6, v4, v6
	v_mul_hi_u32 v11, v4, v5
	v_mul_lo_u32 v5, v4, v5
	v_add_co_u32 v7, vcc_lo, v7, v8
	v_add_co_ci_u32_e32 v8, vcc_lo, 0, v9, vcc_lo
	s_delay_alu instid0(VALU_DEP_2) | instskip(NEXT) | instid1(VALU_DEP_2)
	v_add_co_u32 v6, vcc_lo, v7, v6
	v_add_co_ci_u32_e32 v6, vcc_lo, v8, v10, vcc_lo
	v_add_co_ci_u32_e32 v7, vcc_lo, 0, v11, vcc_lo
	v_ashrrev_i32_e32 v10, 31, v1
	s_delay_alu instid0(VALU_DEP_3) | instskip(NEXT) | instid1(VALU_DEP_3)
	v_add_co_u32 v5, vcc_lo, v6, v5
	v_add_co_ci_u32_e32 v6, vcc_lo, 0, v7, vcc_lo
	s_delay_alu instid0(VALU_DEP_2) | instskip(NEXT) | instid1(VALU_DEP_2)
	v_add_co_u32 v3, vcc_lo, v3, v5
	v_add_co_ci_u32_e32 v4, vcc_lo, v4, v6, vcc_lo
	s_delay_alu instid0(VALU_DEP_2) | instskip(SKIP_1) | instid1(VALU_DEP_3)
	v_mul_hi_u32 v5, s0, v3
	v_mul_lo_u32 v7, s45, v3
	v_mul_lo_u32 v6, s0, v4
	s_delay_alu instid0(VALU_DEP_1) | instskip(SKIP_1) | instid1(VALU_DEP_2)
	v_add_nc_u32_e32 v5, v5, v6
	v_mul_lo_u32 v6, s0, v3
	v_add_nc_u32_e32 v5, v5, v7
	s_delay_alu instid0(VALU_DEP_2) | instskip(NEXT) | instid1(VALU_DEP_2)
	v_mul_hi_u32 v7, v3, v6
	v_mul_lo_u32 v8, v3, v5
	v_mul_hi_u32 v9, v3, v5
	v_mul_hi_u32 v11, v4, v6
	v_mul_lo_u32 v6, v4, v6
	v_mul_hi_u32 v12, v4, v5
	v_mul_lo_u32 v5, v4, v5
	v_add_co_u32 v7, vcc_lo, v7, v8
	v_add_co_ci_u32_e32 v8, vcc_lo, 0, v9, vcc_lo
	s_delay_alu instid0(VALU_DEP_2) | instskip(NEXT) | instid1(VALU_DEP_2)
	v_add_co_u32 v6, vcc_lo, v7, v6
	v_add_co_ci_u32_e32 v6, vcc_lo, v8, v11, vcc_lo
	v_add_co_ci_u32_e32 v7, vcc_lo, 0, v12, vcc_lo
	v_add_co_u32 v8, vcc_lo, v0, v10
	v_add_co_ci_u32_e32 v9, vcc_lo, v1, v10, vcc_lo
	s_delay_alu instid0(VALU_DEP_4) | instskip(NEXT) | instid1(VALU_DEP_4)
	v_add_co_u32 v5, vcc_lo, v6, v5
	v_add_co_ci_u32_e32 v6, vcc_lo, 0, v7, vcc_lo
	s_delay_alu instid0(VALU_DEP_4) | instskip(NEXT) | instid1(VALU_DEP_3)
	v_xor_b32_e32 v11, v8, v10
	v_add_co_u32 v7, vcc_lo, v3, v5
	s_delay_alu instid0(VALU_DEP_3) | instskip(SKIP_1) | instid1(VALU_DEP_3)
	v_add_co_ci_u32_e32 v12, vcc_lo, v4, v6, vcc_lo
	v_xor_b32_e32 v9, v9, v10
	v_mul_hi_u32 v13, v11, v7
	s_delay_alu instid0(VALU_DEP_3) | instskip(NEXT) | instid1(VALU_DEP_3)
	v_mad_u64_u32 v[3:4], null, v11, v12, 0
	v_mad_u64_u32 v[5:6], null, v9, v7, 0
	;; [unrolled: 1-line block ×3, first 2 shown]
	s_delay_alu instid0(VALU_DEP_3) | instskip(NEXT) | instid1(VALU_DEP_4)
	v_add_co_u32 v3, vcc_lo, v13, v3
	v_add_co_ci_u32_e32 v4, vcc_lo, 0, v4, vcc_lo
	s_delay_alu instid0(VALU_DEP_2) | instskip(NEXT) | instid1(VALU_DEP_2)
	v_add_co_u32 v3, vcc_lo, v3, v5
	v_add_co_ci_u32_e32 v3, vcc_lo, v4, v6, vcc_lo
	v_add_co_ci_u32_e32 v4, vcc_lo, 0, v8, vcc_lo
	s_delay_alu instid0(VALU_DEP_2) | instskip(NEXT) | instid1(VALU_DEP_2)
	v_add_co_u32 v5, vcc_lo, v3, v7
	v_add_co_ci_u32_e32 v6, vcc_lo, 0, v4, vcc_lo
	s_delay_alu instid0(VALU_DEP_2) | instskip(SKIP_1) | instid1(VALU_DEP_3)
	v_mul_lo_u32 v7, s47, v5
	v_mad_u64_u32 v[3:4], null, s46, v5, 0
	v_mul_lo_u32 v8, s46, v6
	s_delay_alu instid0(VALU_DEP_2) | instskip(NEXT) | instid1(VALU_DEP_2)
	v_sub_co_u32 v3, vcc_lo, v11, v3
	v_add3_u32 v4, v4, v8, v7
	s_delay_alu instid0(VALU_DEP_1) | instskip(NEXT) | instid1(VALU_DEP_1)
	v_sub_nc_u32_e32 v7, v9, v4
	v_subrev_co_ci_u32_e64 v7, s0, s47, v7, vcc_lo
	v_add_co_u32 v8, s0, v5, 2
	s_delay_alu instid0(VALU_DEP_1) | instskip(SKIP_3) | instid1(VALU_DEP_3)
	v_add_co_ci_u32_e64 v11, s0, 0, v6, s0
	v_sub_co_u32 v12, s0, v3, s46
	v_sub_co_ci_u32_e32 v4, vcc_lo, v9, v4, vcc_lo
	v_subrev_co_ci_u32_e64 v7, s0, 0, v7, s0
	v_cmp_le_u32_e32 vcc_lo, s46, v12
	s_delay_alu instid0(VALU_DEP_3) | instskip(SKIP_1) | instid1(VALU_DEP_4)
	v_cmp_eq_u32_e64 s0, s47, v4
	v_cndmask_b32_e64 v9, 0, -1, vcc_lo
	v_cmp_le_u32_e32 vcc_lo, s47, v7
	v_cndmask_b32_e64 v12, 0, -1, vcc_lo
	v_cmp_le_u32_e32 vcc_lo, s46, v3
	;; [unrolled: 2-line block ×3, first 2 shown]
	v_cndmask_b32_e64 v13, 0, -1, vcc_lo
	v_cmp_eq_u32_e32 vcc_lo, s47, v7
	s_delay_alu instid0(VALU_DEP_2) | instskip(SKIP_3) | instid1(VALU_DEP_3)
	v_cndmask_b32_e64 v3, v13, v3, s0
	v_cndmask_b32_e32 v7, v12, v9, vcc_lo
	v_add_co_u32 v9, vcc_lo, v5, 1
	v_add_co_ci_u32_e32 v12, vcc_lo, 0, v6, vcc_lo
	v_cmp_ne_u32_e32 vcc_lo, 0, v7
	s_delay_alu instid0(VALU_DEP_2) | instskip(SKIP_2) | instid1(VALU_DEP_3)
	v_dual_cndmask_b32 v4, v12, v11 :: v_dual_cndmask_b32 v7, v9, v8
	v_cmp_ne_u32_e32 vcc_lo, 0, v3
	v_xor_b32_e32 v3, s44, v10
	v_dual_cndmask_b32 v5, v5, v7 :: v_dual_cndmask_b32 v4, v6, v4
	s_delay_alu instid0(VALU_DEP_1) | instskip(NEXT) | instid1(VALU_DEP_2)
	v_xor_b32_e32 v5, v5, v3
	v_xor_b32_e32 v4, v4, v3
	s_delay_alu instid0(VALU_DEP_2) | instskip(NEXT) | instid1(VALU_DEP_2)
	v_sub_co_u32 v8, vcc_lo, v5, v3
	v_sub_co_ci_u32_e32 v9, vcc_lo, v4, v3, vcc_lo
.LBB71_5:                               ;   in Loop: Header=BB71_3 Depth=1
	s_and_not1_saveexec_b32 s0, s48
	s_cbranch_execz .LBB71_7
; %bb.6:                                ;   in Loop: Header=BB71_3 Depth=1
	s_sub_i32 s44, 0, s2
	v_mov_b32_e32 v9, v2
	v_mul_lo_u32 v3, s44, v18
	s_delay_alu instid0(VALU_DEP_1) | instskip(NEXT) | instid1(VALU_DEP_1)
	v_mul_hi_u32 v3, v18, v3
	v_add_nc_u32_e32 v3, v18, v3
	s_delay_alu instid0(VALU_DEP_1) | instskip(NEXT) | instid1(VALU_DEP_1)
	v_mul_hi_u32 v3, v0, v3
	v_mul_lo_u32 v4, v3, s2
	v_add_nc_u32_e32 v5, 1, v3
	s_delay_alu instid0(VALU_DEP_2) | instskip(NEXT) | instid1(VALU_DEP_1)
	v_sub_nc_u32_e32 v4, v0, v4
	v_subrev_nc_u32_e32 v6, s2, v4
	v_cmp_le_u32_e32 vcc_lo, s2, v4
	s_delay_alu instid0(VALU_DEP_2) | instskip(NEXT) | instid1(VALU_DEP_1)
	v_dual_cndmask_b32 v4, v4, v6 :: v_dual_cndmask_b32 v3, v3, v5
	v_cmp_le_u32_e32 vcc_lo, s2, v4
	s_delay_alu instid0(VALU_DEP_2) | instskip(NEXT) | instid1(VALU_DEP_1)
	v_add_nc_u32_e32 v5, 1, v3
	v_cndmask_b32_e32 v8, v3, v5, vcc_lo
.LBB71_7:                               ;   in Loop: Header=BB71_3 Depth=1
	s_or_b32 exec_lo, exec_lo, s0
	s_delay_alu instid0(VALU_DEP_1) | instskip(SKIP_1) | instid1(VALU_DEP_1)
	v_or_b32_e32 v3, s9, v9
                                        ; implicit-def: $vgpr6_vgpr7
	s_mov_b32 s0, exec_lo
	v_cmpx_ne_u64_e32 0, v[2:3]
	s_xor_b32 s48, exec_lo, s0
	s_cbranch_execz .LBB71_9
; %bb.8:                                ;   in Loop: Header=BB71_3 Depth=1
	s_ashr_i32 s44, s9, 31
	s_delay_alu instid0(SALU_CYCLE_1) | instskip(SKIP_2) | instid1(SALU_CYCLE_1)
	s_add_u32 s46, s8, s44
	s_mov_b32 s45, s44
	s_addc_u32 s47, s9, s44
	s_xor_b64 s[46:47], s[46:47], s[44:45]
	s_delay_alu instid0(SALU_CYCLE_1) | instskip(SKIP_3) | instid1(VALU_DEP_1)
	v_cvt_f32_u32_e32 v3, s46
	v_cvt_f32_u32_e32 v4, s47
	s_sub_u32 s0, 0, s46
	s_subb_u32 s45, 0, s47
	v_fmac_f32_e32 v3, 0x4f800000, v4
	s_delay_alu instid0(VALU_DEP_1) | instskip(SKIP_2) | instid1(VALU_DEP_1)
	v_rcp_f32_e32 v3, v3
	s_waitcnt_depctr 0xfff
	v_mul_f32_e32 v3, 0x5f7ffffc, v3
	v_mul_f32_e32 v4, 0x2f800000, v3
	s_delay_alu instid0(VALU_DEP_1) | instskip(NEXT) | instid1(VALU_DEP_1)
	v_trunc_f32_e32 v4, v4
	v_fmac_f32_e32 v3, 0xcf800000, v4
	v_cvt_u32_f32_e32 v4, v4
	s_delay_alu instid0(VALU_DEP_2) | instskip(NEXT) | instid1(VALU_DEP_2)
	v_cvt_u32_f32_e32 v3, v3
	v_mul_lo_u32 v5, s0, v4
	s_delay_alu instid0(VALU_DEP_2) | instskip(SKIP_1) | instid1(VALU_DEP_2)
	v_mul_hi_u32 v6, s0, v3
	v_mul_lo_u32 v7, s45, v3
	v_add_nc_u32_e32 v5, v6, v5
	v_mul_lo_u32 v6, s0, v3
	s_delay_alu instid0(VALU_DEP_2) | instskip(NEXT) | instid1(VALU_DEP_2)
	v_add_nc_u32_e32 v5, v5, v7
	v_mul_hi_u32 v7, v3, v6
	s_delay_alu instid0(VALU_DEP_2)
	v_mul_lo_u32 v10, v3, v5
	v_mul_hi_u32 v11, v3, v5
	v_mul_hi_u32 v12, v4, v6
	v_mul_lo_u32 v6, v4, v6
	v_mul_hi_u32 v13, v4, v5
	v_mul_lo_u32 v5, v4, v5
	v_add_co_u32 v7, vcc_lo, v7, v10
	v_add_co_ci_u32_e32 v10, vcc_lo, 0, v11, vcc_lo
	s_delay_alu instid0(VALU_DEP_2) | instskip(NEXT) | instid1(VALU_DEP_2)
	v_add_co_u32 v6, vcc_lo, v7, v6
	v_add_co_ci_u32_e32 v6, vcc_lo, v10, v12, vcc_lo
	v_add_co_ci_u32_e32 v7, vcc_lo, 0, v13, vcc_lo
	v_ashrrev_i32_e32 v12, 31, v9
	s_delay_alu instid0(VALU_DEP_3) | instskip(NEXT) | instid1(VALU_DEP_3)
	v_add_co_u32 v5, vcc_lo, v6, v5
	v_add_co_ci_u32_e32 v6, vcc_lo, 0, v7, vcc_lo
	s_delay_alu instid0(VALU_DEP_2) | instskip(NEXT) | instid1(VALU_DEP_2)
	v_add_co_u32 v3, vcc_lo, v3, v5
	v_add_co_ci_u32_e32 v4, vcc_lo, v4, v6, vcc_lo
	s_delay_alu instid0(VALU_DEP_2) | instskip(SKIP_1) | instid1(VALU_DEP_3)
	v_mul_hi_u32 v5, s0, v3
	v_mul_lo_u32 v7, s45, v3
	v_mul_lo_u32 v6, s0, v4
	s_delay_alu instid0(VALU_DEP_1) | instskip(SKIP_1) | instid1(VALU_DEP_2)
	v_add_nc_u32_e32 v5, v5, v6
	v_mul_lo_u32 v6, s0, v3
	v_add_nc_u32_e32 v5, v5, v7
	s_delay_alu instid0(VALU_DEP_2) | instskip(NEXT) | instid1(VALU_DEP_2)
	v_mul_hi_u32 v7, v3, v6
	v_mul_lo_u32 v10, v3, v5
	v_mul_hi_u32 v11, v3, v5
	v_mul_hi_u32 v13, v4, v6
	v_mul_lo_u32 v6, v4, v6
	v_mul_hi_u32 v14, v4, v5
	v_mul_lo_u32 v5, v4, v5
	v_add_co_u32 v7, vcc_lo, v7, v10
	v_add_co_ci_u32_e32 v10, vcc_lo, 0, v11, vcc_lo
	s_delay_alu instid0(VALU_DEP_2) | instskip(NEXT) | instid1(VALU_DEP_2)
	v_add_co_u32 v6, vcc_lo, v7, v6
	v_add_co_ci_u32_e32 v6, vcc_lo, v10, v13, vcc_lo
	v_add_co_ci_u32_e32 v7, vcc_lo, 0, v14, vcc_lo
	v_add_co_u32 v10, vcc_lo, v8, v12
	v_add_co_ci_u32_e32 v11, vcc_lo, v9, v12, vcc_lo
	s_delay_alu instid0(VALU_DEP_4) | instskip(NEXT) | instid1(VALU_DEP_4)
	v_add_co_u32 v5, vcc_lo, v6, v5
	v_add_co_ci_u32_e32 v6, vcc_lo, 0, v7, vcc_lo
	s_delay_alu instid0(VALU_DEP_4) | instskip(NEXT) | instid1(VALU_DEP_3)
	v_xor_b32_e32 v7, v10, v12
	v_add_co_u32 v10, vcc_lo, v3, v5
	s_delay_alu instid0(VALU_DEP_3) | instskip(SKIP_1) | instid1(VALU_DEP_3)
	v_add_co_ci_u32_e32 v13, vcc_lo, v4, v6, vcc_lo
	v_xor_b32_e32 v14, v11, v12
	v_mul_hi_u32 v15, v7, v10
	s_delay_alu instid0(VALU_DEP_3) | instskip(NEXT) | instid1(VALU_DEP_3)
	v_mad_u64_u32 v[3:4], null, v7, v13, 0
	v_mad_u64_u32 v[5:6], null, v14, v10, 0
	;; [unrolled: 1-line block ×3, first 2 shown]
	s_delay_alu instid0(VALU_DEP_3) | instskip(NEXT) | instid1(VALU_DEP_4)
	v_add_co_u32 v3, vcc_lo, v15, v3
	v_add_co_ci_u32_e32 v4, vcc_lo, 0, v4, vcc_lo
	s_delay_alu instid0(VALU_DEP_2) | instskip(NEXT) | instid1(VALU_DEP_2)
	v_add_co_u32 v3, vcc_lo, v3, v5
	v_add_co_ci_u32_e32 v3, vcc_lo, v4, v6, vcc_lo
	v_add_co_ci_u32_e32 v4, vcc_lo, 0, v11, vcc_lo
	s_delay_alu instid0(VALU_DEP_2) | instskip(NEXT) | instid1(VALU_DEP_2)
	v_add_co_u32 v5, vcc_lo, v3, v10
	v_add_co_ci_u32_e32 v6, vcc_lo, 0, v4, vcc_lo
	s_delay_alu instid0(VALU_DEP_2) | instskip(SKIP_1) | instid1(VALU_DEP_3)
	v_mul_lo_u32 v10, s47, v5
	v_mad_u64_u32 v[3:4], null, s46, v5, 0
	v_mul_lo_u32 v11, s46, v6
	s_delay_alu instid0(VALU_DEP_2) | instskip(NEXT) | instid1(VALU_DEP_2)
	v_sub_co_u32 v3, vcc_lo, v7, v3
	v_add3_u32 v4, v4, v11, v10
	s_delay_alu instid0(VALU_DEP_1) | instskip(NEXT) | instid1(VALU_DEP_1)
	v_sub_nc_u32_e32 v10, v14, v4
	v_subrev_co_ci_u32_e64 v7, s0, s47, v10, vcc_lo
	v_add_co_u32 v10, s0, v5, 2
	s_delay_alu instid0(VALU_DEP_1) | instskip(SKIP_3) | instid1(VALU_DEP_3)
	v_add_co_ci_u32_e64 v11, s0, 0, v6, s0
	v_sub_co_u32 v13, s0, v3, s46
	v_sub_co_ci_u32_e32 v4, vcc_lo, v14, v4, vcc_lo
	v_subrev_co_ci_u32_e64 v7, s0, 0, v7, s0
	v_cmp_le_u32_e32 vcc_lo, s46, v13
	s_delay_alu instid0(VALU_DEP_3) | instskip(SKIP_1) | instid1(VALU_DEP_4)
	v_cmp_eq_u32_e64 s0, s47, v4
	v_cndmask_b32_e64 v13, 0, -1, vcc_lo
	v_cmp_le_u32_e32 vcc_lo, s47, v7
	v_cndmask_b32_e64 v14, 0, -1, vcc_lo
	v_cmp_le_u32_e32 vcc_lo, s46, v3
	;; [unrolled: 2-line block ×3, first 2 shown]
	v_cndmask_b32_e64 v15, 0, -1, vcc_lo
	v_cmp_eq_u32_e32 vcc_lo, s47, v7
	s_delay_alu instid0(VALU_DEP_2) | instskip(SKIP_3) | instid1(VALU_DEP_3)
	v_cndmask_b32_e64 v3, v15, v3, s0
	v_cndmask_b32_e32 v7, v14, v13, vcc_lo
	v_add_co_u32 v13, vcc_lo, v5, 1
	v_add_co_ci_u32_e32 v14, vcc_lo, 0, v6, vcc_lo
	v_cmp_ne_u32_e32 vcc_lo, 0, v7
	s_delay_alu instid0(VALU_DEP_2) | instskip(SKIP_2) | instid1(VALU_DEP_3)
	v_dual_cndmask_b32 v4, v14, v11 :: v_dual_cndmask_b32 v7, v13, v10
	v_cmp_ne_u32_e32 vcc_lo, 0, v3
	v_xor_b32_e32 v3, s44, v12
	v_dual_cndmask_b32 v5, v5, v7 :: v_dual_cndmask_b32 v4, v6, v4
	s_delay_alu instid0(VALU_DEP_1) | instskip(NEXT) | instid1(VALU_DEP_2)
	v_xor_b32_e32 v5, v5, v3
	v_xor_b32_e32 v4, v4, v3
	s_delay_alu instid0(VALU_DEP_2) | instskip(NEXT) | instid1(VALU_DEP_2)
	v_sub_co_u32 v6, vcc_lo, v5, v3
	v_sub_co_ci_u32_e32 v7, vcc_lo, v4, v3, vcc_lo
.LBB71_9:                               ;   in Loop: Header=BB71_3 Depth=1
	s_and_not1_saveexec_b32 s0, s48
	s_cbranch_execz .LBB71_11
; %bb.10:                               ;   in Loop: Header=BB71_3 Depth=1
	v_cvt_f32_u32_e32 v3, s8
	s_sub_i32 s44, 0, s8
	v_mov_b32_e32 v7, v2
	s_delay_alu instid0(VALU_DEP_2) | instskip(SKIP_2) | instid1(VALU_DEP_1)
	v_rcp_iflag_f32_e32 v3, v3
	s_waitcnt_depctr 0xfff
	v_mul_f32_e32 v3, 0x4f7ffffe, v3
	v_cvt_u32_f32_e32 v3, v3
	s_delay_alu instid0(VALU_DEP_1) | instskip(NEXT) | instid1(VALU_DEP_1)
	v_mul_lo_u32 v4, s44, v3
	v_mul_hi_u32 v4, v3, v4
	s_delay_alu instid0(VALU_DEP_1) | instskip(NEXT) | instid1(VALU_DEP_1)
	v_add_nc_u32_e32 v3, v3, v4
	v_mul_hi_u32 v3, v8, v3
	s_delay_alu instid0(VALU_DEP_1) | instskip(SKIP_1) | instid1(VALU_DEP_2)
	v_mul_lo_u32 v4, v3, s8
	v_add_nc_u32_e32 v5, 1, v3
	v_sub_nc_u32_e32 v4, v8, v4
	s_delay_alu instid0(VALU_DEP_1) | instskip(SKIP_1) | instid1(VALU_DEP_2)
	v_subrev_nc_u32_e32 v6, s8, v4
	v_cmp_le_u32_e32 vcc_lo, s8, v4
	v_dual_cndmask_b32 v4, v4, v6 :: v_dual_cndmask_b32 v3, v3, v5
	s_delay_alu instid0(VALU_DEP_1) | instskip(NEXT) | instid1(VALU_DEP_2)
	v_cmp_le_u32_e32 vcc_lo, s8, v4
	v_add_nc_u32_e32 v5, 1, v3
	s_delay_alu instid0(VALU_DEP_1)
	v_cndmask_b32_e32 v6, v3, v5, vcc_lo
.LBB71_11:                              ;   in Loop: Header=BB71_3 Depth=1
	s_or_b32 exec_lo, exec_lo, s0
	v_mul_lo_u32 v5, v9, s2
	v_mul_lo_u32 v12, v8, s3
	v_mad_u64_u32 v[3:4], null, v8, s2, 0
	v_mul_lo_u32 v13, v7, s8
	v_mul_lo_u32 v14, v6, s9
	v_mad_u64_u32 v[10:11], null, v6, s8, 0
	s_mov_b64 s[44:45], s[42:43]
	s_mov_b64 s[46:47], s[40:41]
	s_delay_alu instid0(VALU_DEP_4) | instskip(SKIP_2) | instid1(VALU_DEP_3)
	v_add3_u32 v5, v4, v12, v5
	v_sub_co_u32 v4, vcc_lo, v0, v3
	s_mov_b64 s[48:49], s[38:39]
	v_add3_u32 v3, v11, v14, v13
	s_delay_alu instid0(VALU_DEP_3) | instskip(NEXT) | instid1(VALU_DEP_3)
	v_sub_co_ci_u32_e32 v5, vcc_lo, v1, v5, vcc_lo
	v_mul_lo_u32 v11, s15, v4
	v_mul_lo_u32 v12, s19, v4
	v_mad_u64_u32 v[14:15], null, s18, v4, 0
	s_delay_alu instid0(VALU_DEP_4)
	v_mul_lo_u32 v13, s14, v5
	v_mul_lo_u32 v16, s18, v5
	v_mad_u64_u32 v[21:22], null, s14, v4, 0
	v_sub_co_u32 v19, vcc_lo, v8, v10
	v_sub_co_ci_u32_e32 v20, vcc_lo, v9, v3, vcc_lo
	s_and_b32 vcc_lo, exec_lo, s1
	s_delay_alu instid0(VALU_DEP_4) | instskip(NEXT) | instid1(VALU_DEP_4)
	v_add3_u32 v15, v15, v16, v12
	v_add3_u32 v22, v22, v13, v11
	v_mul_lo_u32 v3, s13, v19
	v_mul_lo_u32 v8, s12, v20
	;; [unrolled: 1-line block ×3, first 2 shown]
	v_mad_u64_u32 v[12:13], null, s16, v19, v[14:15]
	v_mul_lo_u32 v10, s17, v19
	v_mad_u64_u32 v[16:17], null, s12, v19, v[21:22]
	s_delay_alu instid0(VALU_DEP_2) | instskip(NEXT) | instid1(VALU_DEP_2)
	v_add3_u32 v13, v10, v13, v9
	v_add3_u32 v17, v3, v17, v8
	v_mov_b32_e32 v8, v12
	s_delay_alu instid0(VALU_DEP_3) | instskip(NEXT) | instid1(VALU_DEP_3)
	v_dual_mov_b32 v10, v16 :: v_dual_mov_b32 v9, v13
	v_mov_b32_e32 v11, v17
	s_cbranch_vccnz .LBB71_28
.LBB71_12:                              ;   in Loop: Header=BB71_3 Depth=1
	v_sub_co_u32 v6, vcc_lo, v4, v19
	v_sub_co_ci_u32_e32 v7, vcc_lo, v5, v20, vcc_lo
	v_mov_b32_e32 v3, 0
	s_delay_alu instid0(VALU_DEP_3) | instskip(NEXT) | instid1(VALU_DEP_3)
	v_add_co_u32 v8, vcc_lo, v6, 4
	v_add_co_ci_u32_e32 v9, vcc_lo, 0, v7, vcc_lo
	s_delay_alu instid0(VALU_DEP_1)
	v_cmp_le_i64_e32 vcc_lo, s[4:5], v[8:9]
	v_mov_b32_e32 v8, 0
	s_and_saveexec_b32 s0, vcc_lo
	s_cbranch_execz .LBB71_22
; %bb.13:                               ;   in Loop: Header=BB71_3 Depth=1
	v_dual_mov_b32 v3, 0 :: v_dual_mov_b32 v10, 0
	s_mov_b32 s44, exec_lo
	v_cmpx_gt_i64_e64 s[10:11], v[4:5]
	s_cbranch_execz .LBB71_21
; %bb.14:                               ;   in Loop: Header=BB71_3 Depth=1
	v_lshlrev_b64 v[8:9], 1, v[16:17]
	v_mov_b32_e32 v3, v2
	s_delay_alu instid0(VALU_DEP_2) | instskip(NEXT) | instid1(VALU_DEP_3)
	v_add_co_u32 v8, vcc_lo, s20, v8
	v_add_co_ci_u32_e32 v9, vcc_lo, s21, v9, vcc_lo
	v_add_co_u32 v10, vcc_lo, v4, 1
	v_add_co_ci_u32_e32 v11, vcc_lo, 0, v5, vcc_lo
	s_delay_alu instid0(VALU_DEP_1) | instskip(SKIP_3) | instid1(SALU_CYCLE_1)
	v_cmp_gt_i64_e32 vcc_lo, s[10:11], v[10:11]
	v_mov_b32_e32 v10, 0
	global_load_d16_b16 v3, v[8:9], off
	s_and_saveexec_b32 s45, vcc_lo
	s_xor_b32 s45, exec_lo, s45
	s_cbranch_execz .LBB71_20
; %bb.15:                               ;   in Loop: Header=BB71_3 Depth=1
	s_lshl_b64 s[46:47], s[14:15], 1
	s_delay_alu instid0(SALU_CYCLE_1) | instskip(SKIP_4) | instid1(VALU_DEP_1)
	v_add_co_u32 v10, vcc_lo, v8, s46
	v_add_co_ci_u32_e32 v11, vcc_lo, s47, v9, vcc_lo
	global_load_d16_hi_b16 v3, v[10:11], off
	v_add_co_u32 v10, vcc_lo, v4, 2
	v_add_co_ci_u32_e32 v11, vcc_lo, 0, v5, vcc_lo
	v_cmp_gt_i64_e32 vcc_lo, s[10:11], v[10:11]
	v_mov_b32_e32 v10, 0
	s_and_saveexec_b32 s46, vcc_lo
	s_delay_alu instid0(SALU_CYCLE_1)
	s_xor_b32 s46, exec_lo, s46
	s_cbranch_execz .LBB71_19
; %bb.16:                               ;   in Loop: Header=BB71_3 Depth=1
	v_add_co_u32 v14, vcc_lo, v8, s34
	v_add_co_ci_u32_e32 v15, vcc_lo, s35, v9, vcc_lo
	v_mov_b32_e32 v10, v2
	s_mov_b32 s47, exec_lo
	global_load_d16_b16 v10, v[14:15], off
	v_add_co_u32 v14, vcc_lo, v4, 3
	v_add_co_ci_u32_e32 v15, vcc_lo, 0, v5, vcc_lo
	s_delay_alu instid0(VALU_DEP_1)
	v_cmpx_gt_i64_e64 s[10:11], v[14:15]
	s_xor_b32 s47, exec_lo, s47
	s_cbranch_execz .LBB71_18
; %bb.17:                               ;   in Loop: Header=BB71_3 Depth=1
	v_add_co_u32 v8, vcc_lo, v8, s57
	v_add_co_ci_u32_e32 v9, vcc_lo, s58, v9, vcc_lo
	global_load_d16_hi_b16 v10, v[8:9], off
.LBB71_18:                              ;   in Loop: Header=BB71_3 Depth=1
	s_or_b32 exec_lo, exec_lo, s47
.LBB71_19:                              ;   in Loop: Header=BB71_3 Depth=1
	s_delay_alu instid0(SALU_CYCLE_1)
	s_or_b32 exec_lo, exec_lo, s46
.LBB71_20:                              ;   in Loop: Header=BB71_3 Depth=1
	s_delay_alu instid0(SALU_CYCLE_1)
	s_or_b32 exec_lo, exec_lo, s45
.LBB71_21:                              ;   in Loop: Header=BB71_3 Depth=1
	s_delay_alu instid0(SALU_CYCLE_1)
	s_or_b32 exec_lo, exec_lo, s44
	v_add_co_u32 v8, vcc_lo, v6, 1
	v_add_co_ci_u32_e32 v9, vcc_lo, 0, v7, vcc_lo
	v_add_co_u32 v14, vcc_lo, v6, 2
	v_add_co_ci_u32_e32 v15, vcc_lo, 0, v7, vcc_lo
	;; [unrolled: 2-line block ×3, first 2 shown]
	s_delay_alu instid0(VALU_DEP_3)
	v_cmp_le_i64_e32 vcc_lo, s[28:29], v[14:15]
	s_waitcnt vmcnt(0)
	v_lshrrev_b32_e32 v14, 16, v3
	v_cndmask_b32_e32 v11, 0, v10, vcc_lo
	v_cmp_le_i64_e32 vcc_lo, s[24:25], v[6:7]
	v_lshrrev_b32_e32 v10, 16, v10
	v_cndmask_b32_e32 v3, 0, v3, vcc_lo
	v_cmp_le_i64_e32 vcc_lo, s[26:27], v[8:9]
	v_cndmask_b32_e32 v6, 0, v14, vcc_lo
	v_cmp_le_i64_e32 vcc_lo, s[30:31], v[16:17]
	s_delay_alu instid0(VALU_DEP_2) | instskip(SKIP_1) | instid1(VALU_DEP_1)
	v_perm_b32 v8, v6, v3, 0x5040100
	v_cndmask_b32_e32 v7, 0, v10, vcc_lo
	v_perm_b32 v3, v7, v11, 0x5040100
.LBB71_22:                              ;   in Loop: Header=BB71_3 Depth=1
	s_or_b32 exec_lo, exec_lo, s0
	s_delay_alu instid0(SALU_CYCLE_1)
	s_mov_b32 s0, exec_lo
	v_cmpx_gt_i64_e64 s[10:11], v[4:5]
	s_cbranch_execz .LBB71_2
; %bb.23:                               ;   in Loop: Header=BB71_3 Depth=1
	v_lshlrev_b64 v[6:7], 1, v[12:13]
	v_add_co_u32 v9, vcc_lo, v4, 1
	v_add_co_ci_u32_e32 v10, vcc_lo, 0, v5, vcc_lo
	s_mov_b32 s44, exec_lo
	s_delay_alu instid0(VALU_DEP_3) | instskip(NEXT) | instid1(VALU_DEP_4)
	v_add_co_u32 v6, vcc_lo, s22, v6
	v_add_co_ci_u32_e32 v7, vcc_lo, s23, v7, vcc_lo
	global_store_b16 v[6:7], v8, off
	v_cmpx_gt_i64_e64 s[10:11], v[9:10]
	s_xor_b32 s44, exec_lo, s44
	s_cbranch_execz .LBB71_2
; %bb.24:                               ;   in Loop: Header=BB71_3 Depth=1
	v_add_co_u32 v9, vcc_lo, v4, 2
	s_lshl_b64 s[44:45], s[18:19], 1
	v_add_co_ci_u32_e32 v10, vcc_lo, 0, v5, vcc_lo
	v_add_co_u32 v11, vcc_lo, v6, s44
	v_add_co_ci_u32_e32 v12, vcc_lo, s45, v7, vcc_lo
	s_mov_b32 s44, exec_lo
	global_store_d16_hi_b16 v[11:12], v8, off
	v_cmpx_gt_i64_e64 s[10:11], v[9:10]
	s_xor_b32 s44, exec_lo, s44
	s_cbranch_execz .LBB71_2
; %bb.25:                               ;   in Loop: Header=BB71_3 Depth=1
	v_add_co_u32 v4, vcc_lo, v4, 3
	v_add_co_ci_u32_e32 v5, vcc_lo, 0, v5, vcc_lo
	v_add_co_u32 v8, vcc_lo, v6, s36
	v_add_co_ci_u32_e32 v9, vcc_lo, s37, v7, vcc_lo
	s_mov_b32 s44, exec_lo
	global_store_b16 v[8:9], v3, off
	v_cmpx_gt_i64_e64 s[10:11], v[4:5]
	s_xor_b32 s44, exec_lo, s44
	s_cbranch_execz .LBB71_2
; %bb.26:                               ;   in Loop: Header=BB71_3 Depth=1
	v_add_co_u32 v4, vcc_lo, v6, s59
	v_add_co_ci_u32_e32 v5, vcc_lo, s60, v7, vcc_lo
	global_store_d16_hi_b16 v[4:5], v3, off
	s_branch .LBB71_2
.LBB71_27:                              ;   in Loop: Header=BB71_28 Depth=2
	s_or_b32 exec_lo, exec_lo, s0
	s_delay_alu instid0(VALU_DEP_1) | instskip(NEXT) | instid1(VALU_DEP_2)
	v_mul_lo_u32 v3, v15, s50
	v_mul_lo_u32 v16, v14, s51
	s_load_b64 s[52:53], s[46:47], 0xc8
	v_mad_u64_u32 v[12:13], null, v14, s50, 0
	s_load_b64 s[50:51], s[48:49], 0x0
	s_add_u32 s48, s48, -8
	s_addc_u32 s49, s49, -1
	s_add_u32 s46, s46, -8
	s_addc_u32 s47, s47, -1
	s_add_u32 s44, s44, -1
	s_delay_alu instid0(VALU_DEP_1) | instskip(SKIP_2) | instid1(VALU_DEP_2)
	v_add3_u32 v3, v13, v16, v3
	v_sub_co_u32 v6, vcc_lo, v6, v12
	s_addc_u32 s45, s45, -1
	v_sub_co_ci_u32_e32 v3, vcc_lo, v7, v3, vcc_lo
	v_cmp_lt_i64_e64 s0, s[44:45], 1
	s_waitcnt lgkmcnt(0)
	s_delay_alu instid0(VALU_DEP_2)
	v_mul_lo_u32 v7, s52, v3
	v_mul_lo_u32 v21, s53, v6
	v_mad_u64_u32 v[16:17], null, s52, v6, v[10:11]
	v_mul_lo_u32 v3, s50, v3
	v_mul_lo_u32 v10, s51, v6
	v_mad_u64_u32 v[12:13], null, s50, v6, v[8:9]
	s_and_b32 vcc_lo, exec_lo, s0
	s_delay_alu instid0(VALU_DEP_4) | instskip(SKIP_1) | instid1(VALU_DEP_3)
	v_add3_u32 v17, v21, v17, v7
	v_dual_mov_b32 v6, v14 :: v_dual_mov_b32 v7, v15
	v_add3_u32 v13, v10, v13, v3
	s_delay_alu instid0(VALU_DEP_4) | instskip(NEXT) | instid1(VALU_DEP_4)
	v_mov_b32_e32 v8, v12
	v_dual_mov_b32 v10, v16 :: v_dual_mov_b32 v11, v17
	s_delay_alu instid0(VALU_DEP_3)
	v_mov_b32_e32 v9, v13
	s_cbranch_vccnz .LBB71_12
.LBB71_28:                              ;   Parent Loop BB71_3 Depth=1
                                        ; =>  This Inner Loop Header: Depth=2
	s_load_b64 s[50:51], s[46:47], 0x0
                                        ; implicit-def: $vgpr14_vgpr15
	s_mov_b32 s0, exec_lo
	s_waitcnt lgkmcnt(0)
	v_or_b32_e32 v3, s51, v7
	s_delay_alu instid0(VALU_DEP_1)
	v_cmpx_ne_u64_e32 0, v[2:3]
	s_xor_b32 s61, exec_lo, s0
	s_cbranch_execz .LBB71_30
; %bb.29:                               ;   in Loop: Header=BB71_28 Depth=2
	s_ashr_i32 s52, s51, 31
	s_delay_alu instid0(SALU_CYCLE_1) | instskip(SKIP_2) | instid1(SALU_CYCLE_1)
	s_add_u32 s54, s50, s52
	s_mov_b32 s53, s52
	s_addc_u32 s55, s51, s52
	s_xor_b64 s[54:55], s[54:55], s[52:53]
	s_delay_alu instid0(SALU_CYCLE_1) | instskip(SKIP_3) | instid1(VALU_DEP_1)
	v_cvt_f32_u32_e32 v3, s54
	v_cvt_f32_u32_e32 v12, s55
	s_sub_u32 s0, 0, s54
	s_subb_u32 s53, 0, s55
	v_fmac_f32_e32 v3, 0x4f800000, v12
	s_delay_alu instid0(VALU_DEP_1) | instskip(SKIP_2) | instid1(VALU_DEP_1)
	v_rcp_f32_e32 v3, v3
	s_waitcnt_depctr 0xfff
	v_mul_f32_e32 v3, 0x5f7ffffc, v3
	v_mul_f32_e32 v12, 0x2f800000, v3
	s_delay_alu instid0(VALU_DEP_1) | instskip(NEXT) | instid1(VALU_DEP_1)
	v_trunc_f32_e32 v12, v12
	v_fmac_f32_e32 v3, 0xcf800000, v12
	v_cvt_u32_f32_e32 v12, v12
	s_delay_alu instid0(VALU_DEP_2) | instskip(NEXT) | instid1(VALU_DEP_2)
	v_cvt_u32_f32_e32 v3, v3
	v_mul_lo_u32 v13, s0, v12
	s_delay_alu instid0(VALU_DEP_2) | instskip(SKIP_1) | instid1(VALU_DEP_2)
	v_mul_hi_u32 v14, s0, v3
	v_mul_lo_u32 v15, s53, v3
	v_add_nc_u32_e32 v13, v14, v13
	v_mul_lo_u32 v14, s0, v3
	s_delay_alu instid0(VALU_DEP_2) | instskip(NEXT) | instid1(VALU_DEP_2)
	v_add_nc_u32_e32 v13, v13, v15
	v_mul_hi_u32 v15, v3, v14
	s_delay_alu instid0(VALU_DEP_2)
	v_mul_lo_u32 v16, v3, v13
	v_mul_hi_u32 v17, v3, v13
	v_mul_hi_u32 v21, v12, v14
	v_mul_lo_u32 v14, v12, v14
	v_mul_hi_u32 v22, v12, v13
	v_mul_lo_u32 v13, v12, v13
	v_add_co_u32 v15, vcc_lo, v15, v16
	v_add_co_ci_u32_e32 v16, vcc_lo, 0, v17, vcc_lo
	s_delay_alu instid0(VALU_DEP_2) | instskip(NEXT) | instid1(VALU_DEP_2)
	v_add_co_u32 v14, vcc_lo, v15, v14
	v_add_co_ci_u32_e32 v14, vcc_lo, v16, v21, vcc_lo
	v_add_co_ci_u32_e32 v15, vcc_lo, 0, v22, vcc_lo
	v_ashrrev_i32_e32 v21, 31, v7
	s_delay_alu instid0(VALU_DEP_3) | instskip(NEXT) | instid1(VALU_DEP_3)
	v_add_co_u32 v13, vcc_lo, v14, v13
	v_add_co_ci_u32_e32 v14, vcc_lo, 0, v15, vcc_lo
	s_delay_alu instid0(VALU_DEP_2) | instskip(NEXT) | instid1(VALU_DEP_2)
	v_add_co_u32 v3, vcc_lo, v3, v13
	v_add_co_ci_u32_e32 v12, vcc_lo, v12, v14, vcc_lo
	s_delay_alu instid0(VALU_DEP_2) | instskip(SKIP_1) | instid1(VALU_DEP_3)
	v_mul_hi_u32 v13, s0, v3
	v_mul_lo_u32 v15, s53, v3
	v_mul_lo_u32 v14, s0, v12
	s_delay_alu instid0(VALU_DEP_1) | instskip(SKIP_1) | instid1(VALU_DEP_2)
	v_add_nc_u32_e32 v13, v13, v14
	v_mul_lo_u32 v14, s0, v3
	v_add_nc_u32_e32 v13, v13, v15
	s_delay_alu instid0(VALU_DEP_2) | instskip(NEXT) | instid1(VALU_DEP_2)
	v_mul_hi_u32 v15, v3, v14
	v_mul_lo_u32 v16, v3, v13
	v_mul_hi_u32 v17, v3, v13
	v_mul_hi_u32 v22, v12, v14
	v_mul_lo_u32 v14, v12, v14
	v_mul_hi_u32 v23, v12, v13
	v_mul_lo_u32 v13, v12, v13
	v_add_co_u32 v15, vcc_lo, v15, v16
	v_add_co_ci_u32_e32 v16, vcc_lo, 0, v17, vcc_lo
	s_delay_alu instid0(VALU_DEP_2) | instskip(NEXT) | instid1(VALU_DEP_2)
	v_add_co_u32 v14, vcc_lo, v15, v14
	v_add_co_ci_u32_e32 v14, vcc_lo, v16, v22, vcc_lo
	v_add_co_ci_u32_e32 v15, vcc_lo, 0, v23, vcc_lo
	v_add_co_u32 v16, vcc_lo, v6, v21
	v_add_co_ci_u32_e32 v17, vcc_lo, v7, v21, vcc_lo
	s_delay_alu instid0(VALU_DEP_4) | instskip(NEXT) | instid1(VALU_DEP_4)
	v_add_co_u32 v13, vcc_lo, v14, v13
	v_add_co_ci_u32_e32 v14, vcc_lo, 0, v15, vcc_lo
	s_delay_alu instid0(VALU_DEP_4) | instskip(NEXT) | instid1(VALU_DEP_3)
	v_xor_b32_e32 v22, v16, v21
	v_add_co_u32 v3, vcc_lo, v3, v13
	s_delay_alu instid0(VALU_DEP_3) | instskip(SKIP_1) | instid1(VALU_DEP_3)
	v_add_co_ci_u32_e32 v23, vcc_lo, v12, v14, vcc_lo
	v_xor_b32_e32 v24, v17, v21
	v_mul_hi_u32 v25, v22, v3
	s_delay_alu instid0(VALU_DEP_3) | instskip(NEXT) | instid1(VALU_DEP_3)
	v_mad_u64_u32 v[12:13], null, v22, v23, 0
	v_mad_u64_u32 v[14:15], null, v24, v3, 0
	;; [unrolled: 1-line block ×3, first 2 shown]
	s_delay_alu instid0(VALU_DEP_3) | instskip(NEXT) | instid1(VALU_DEP_4)
	v_add_co_u32 v3, vcc_lo, v25, v12
	v_add_co_ci_u32_e32 v12, vcc_lo, 0, v13, vcc_lo
	s_delay_alu instid0(VALU_DEP_2) | instskip(NEXT) | instid1(VALU_DEP_2)
	v_add_co_u32 v3, vcc_lo, v3, v14
	v_add_co_ci_u32_e32 v3, vcc_lo, v12, v15, vcc_lo
	v_add_co_ci_u32_e32 v12, vcc_lo, 0, v17, vcc_lo
	s_delay_alu instid0(VALU_DEP_2) | instskip(NEXT) | instid1(VALU_DEP_2)
	v_add_co_u32 v3, vcc_lo, v3, v16
	v_add_co_ci_u32_e32 v14, vcc_lo, 0, v12, vcc_lo
	s_delay_alu instid0(VALU_DEP_2) | instskip(SKIP_1) | instid1(VALU_DEP_3)
	v_mul_lo_u32 v15, s55, v3
	v_mad_u64_u32 v[12:13], null, s54, v3, 0
	v_mul_lo_u32 v16, s54, v14
	s_delay_alu instid0(VALU_DEP_2) | instskip(NEXT) | instid1(VALU_DEP_2)
	v_sub_co_u32 v12, vcc_lo, v22, v12
	v_add3_u32 v13, v13, v16, v15
	s_delay_alu instid0(VALU_DEP_1) | instskip(NEXT) | instid1(VALU_DEP_1)
	v_sub_nc_u32_e32 v15, v24, v13
	v_subrev_co_ci_u32_e64 v15, s0, s55, v15, vcc_lo
	v_add_co_u32 v16, s0, v3, 2
	s_delay_alu instid0(VALU_DEP_1) | instskip(SKIP_3) | instid1(VALU_DEP_3)
	v_add_co_ci_u32_e64 v17, s0, 0, v14, s0
	v_sub_co_u32 v22, s0, v12, s54
	v_sub_co_ci_u32_e32 v13, vcc_lo, v24, v13, vcc_lo
	v_subrev_co_ci_u32_e64 v15, s0, 0, v15, s0
	v_cmp_le_u32_e32 vcc_lo, s54, v22
	s_delay_alu instid0(VALU_DEP_3) | instskip(SKIP_1) | instid1(VALU_DEP_4)
	v_cmp_eq_u32_e64 s0, s55, v13
	v_cndmask_b32_e64 v22, 0, -1, vcc_lo
	v_cmp_le_u32_e32 vcc_lo, s55, v15
	v_cndmask_b32_e64 v23, 0, -1, vcc_lo
	v_cmp_le_u32_e32 vcc_lo, s54, v12
	;; [unrolled: 2-line block ×3, first 2 shown]
	v_cndmask_b32_e64 v24, 0, -1, vcc_lo
	v_cmp_eq_u32_e32 vcc_lo, s55, v15
	s_delay_alu instid0(VALU_DEP_2) | instskip(SKIP_3) | instid1(VALU_DEP_3)
	v_cndmask_b32_e64 v12, v24, v12, s0
	v_cndmask_b32_e32 v15, v23, v22, vcc_lo
	v_add_co_u32 v22, vcc_lo, v3, 1
	v_add_co_ci_u32_e32 v23, vcc_lo, 0, v14, vcc_lo
	v_cmp_ne_u32_e32 vcc_lo, 0, v15
	s_delay_alu instid0(VALU_DEP_2) | instskip(NEXT) | instid1(VALU_DEP_4)
	v_cndmask_b32_e32 v13, v23, v17, vcc_lo
	v_cndmask_b32_e32 v15, v22, v16, vcc_lo
	v_cmp_ne_u32_e32 vcc_lo, 0, v12
	v_xor_b32_e32 v12, s52, v21
	s_delay_alu instid0(VALU_DEP_3) | instskip(SKIP_1) | instid1(VALU_DEP_2)
	v_cndmask_b32_e32 v3, v3, v15, vcc_lo
	v_cndmask_b32_e32 v13, v14, v13, vcc_lo
	v_xor_b32_e32 v3, v3, v12
	s_delay_alu instid0(VALU_DEP_2) | instskip(NEXT) | instid1(VALU_DEP_2)
	v_xor_b32_e32 v13, v13, v12
	v_sub_co_u32 v14, vcc_lo, v3, v12
	s_delay_alu instid0(VALU_DEP_2)
	v_sub_co_ci_u32_e32 v15, vcc_lo, v13, v12, vcc_lo
.LBB71_30:                              ;   in Loop: Header=BB71_28 Depth=2
	s_and_not1_saveexec_b32 s0, s61
	s_cbranch_execz .LBB71_27
; %bb.31:                               ;   in Loop: Header=BB71_28 Depth=2
	v_cvt_f32_u32_e32 v3, s50
	s_sub_i32 s52, 0, s50
	v_mov_b32_e32 v15, v2
	s_delay_alu instid0(VALU_DEP_2) | instskip(SKIP_2) | instid1(VALU_DEP_1)
	v_rcp_iflag_f32_e32 v3, v3
	s_waitcnt_depctr 0xfff
	v_mul_f32_e32 v3, 0x4f7ffffe, v3
	v_cvt_u32_f32_e32 v3, v3
	s_delay_alu instid0(VALU_DEP_1) | instskip(NEXT) | instid1(VALU_DEP_1)
	v_mul_lo_u32 v12, s52, v3
	v_mul_hi_u32 v12, v3, v12
	s_delay_alu instid0(VALU_DEP_1) | instskip(NEXT) | instid1(VALU_DEP_1)
	v_add_nc_u32_e32 v3, v3, v12
	v_mul_hi_u32 v3, v6, v3
	s_delay_alu instid0(VALU_DEP_1) | instskip(SKIP_1) | instid1(VALU_DEP_2)
	v_mul_lo_u32 v12, v3, s50
	v_add_nc_u32_e32 v13, 1, v3
	v_sub_nc_u32_e32 v12, v6, v12
	s_delay_alu instid0(VALU_DEP_1) | instskip(SKIP_1) | instid1(VALU_DEP_2)
	v_subrev_nc_u32_e32 v14, s50, v12
	v_cmp_le_u32_e32 vcc_lo, s50, v12
	v_dual_cndmask_b32 v12, v12, v14 :: v_dual_cndmask_b32 v3, v3, v13
	s_delay_alu instid0(VALU_DEP_1) | instskip(NEXT) | instid1(VALU_DEP_2)
	v_cmp_le_u32_e32 vcc_lo, s50, v12
	v_add_nc_u32_e32 v13, 1, v3
	s_delay_alu instid0(VALU_DEP_1)
	v_cndmask_b32_e32 v14, v3, v13, vcc_lo
	s_branch .LBB71_27
.LBB71_32:
	s_nop 0
	s_sendmsg sendmsg(MSG_DEALLOC_VGPRS)
	s_endpgm
	.section	.rodata,"a",@progbits
	.p2align	6, 0x0
	.amdhsa_kernel _ZN2at6native16triu_tril_kernelIslLb1ELi4ELb0EEEvNS_4cuda6detail10TensorInfoIT_T0_EENS4_IKS5_S6_EEllS6_
		.amdhsa_group_segment_fixed_size 0
		.amdhsa_private_segment_fixed_size 0
		.amdhsa_kernarg_size 1112
		.amdhsa_user_sgpr_count 15
		.amdhsa_user_sgpr_dispatch_ptr 0
		.amdhsa_user_sgpr_queue_ptr 0
		.amdhsa_user_sgpr_kernarg_segment_ptr 1
		.amdhsa_user_sgpr_dispatch_id 0
		.amdhsa_user_sgpr_private_segment_size 0
		.amdhsa_wavefront_size32 1
		.amdhsa_uses_dynamic_stack 0
		.amdhsa_enable_private_segment 0
		.amdhsa_system_sgpr_workgroup_id_x 1
		.amdhsa_system_sgpr_workgroup_id_y 0
		.amdhsa_system_sgpr_workgroup_id_z 0
		.amdhsa_system_sgpr_workgroup_info 0
		.amdhsa_system_vgpr_workitem_id 0
		.amdhsa_next_free_vgpr 26
		.amdhsa_next_free_sgpr 62
		.amdhsa_reserve_vcc 1
		.amdhsa_float_round_mode_32 0
		.amdhsa_float_round_mode_16_64 0
		.amdhsa_float_denorm_mode_32 3
		.amdhsa_float_denorm_mode_16_64 3
		.amdhsa_dx10_clamp 1
		.amdhsa_ieee_mode 1
		.amdhsa_fp16_overflow 0
		.amdhsa_workgroup_processor_mode 1
		.amdhsa_memory_ordered 1
		.amdhsa_forward_progress 0
		.amdhsa_shared_vgpr_count 0
		.amdhsa_exception_fp_ieee_invalid_op 0
		.amdhsa_exception_fp_denorm_src 0
		.amdhsa_exception_fp_ieee_div_zero 0
		.amdhsa_exception_fp_ieee_overflow 0
		.amdhsa_exception_fp_ieee_underflow 0
		.amdhsa_exception_fp_ieee_inexact 0
		.amdhsa_exception_int_div_zero 0
	.end_amdhsa_kernel
	.section	.text._ZN2at6native16triu_tril_kernelIslLb1ELi4ELb0EEEvNS_4cuda6detail10TensorInfoIT_T0_EENS4_IKS5_S6_EEllS6_,"axG",@progbits,_ZN2at6native16triu_tril_kernelIslLb1ELi4ELb0EEEvNS_4cuda6detail10TensorInfoIT_T0_EENS4_IKS5_S6_EEllS6_,comdat
.Lfunc_end71:
	.size	_ZN2at6native16triu_tril_kernelIslLb1ELi4ELb0EEEvNS_4cuda6detail10TensorInfoIT_T0_EENS4_IKS5_S6_EEllS6_, .Lfunc_end71-_ZN2at6native16triu_tril_kernelIslLb1ELi4ELb0EEEvNS_4cuda6detail10TensorInfoIT_T0_EENS4_IKS5_S6_EEllS6_
                                        ; -- End function
	.section	.AMDGPU.csdata,"",@progbits
; Kernel info:
; codeLenInByte = 4568
; NumSgprs: 64
; NumVgprs: 26
; ScratchSize: 0
; MemoryBound: 0
; FloatMode: 240
; IeeeMode: 1
; LDSByteSize: 0 bytes/workgroup (compile time only)
; SGPRBlocks: 7
; VGPRBlocks: 3
; NumSGPRsForWavesPerEU: 64
; NumVGPRsForWavesPerEU: 26
; Occupancy: 16
; WaveLimiterHint : 0
; COMPUTE_PGM_RSRC2:SCRATCH_EN: 0
; COMPUTE_PGM_RSRC2:USER_SGPR: 15
; COMPUTE_PGM_RSRC2:TRAP_HANDLER: 0
; COMPUTE_PGM_RSRC2:TGID_X_EN: 1
; COMPUTE_PGM_RSRC2:TGID_Y_EN: 0
; COMPUTE_PGM_RSRC2:TGID_Z_EN: 0
; COMPUTE_PGM_RSRC2:TIDIG_COMP_CNT: 0
	.section	.text._ZN2at6native16triu_tril_kernelIdiLb1ELi2ELb1EEEvNS_4cuda6detail10TensorInfoIT_T0_EENS4_IKS5_S6_EEllS6_,"axG",@progbits,_ZN2at6native16triu_tril_kernelIdiLb1ELi2ELb1EEEvNS_4cuda6detail10TensorInfoIT_T0_EENS4_IKS5_S6_EEllS6_,comdat
	.protected	_ZN2at6native16triu_tril_kernelIdiLb1ELi2ELb1EEEvNS_4cuda6detail10TensorInfoIT_T0_EENS4_IKS5_S6_EEllS6_ ; -- Begin function _ZN2at6native16triu_tril_kernelIdiLb1ELi2ELb1EEEvNS_4cuda6detail10TensorInfoIT_T0_EENS4_IKS5_S6_EEllS6_
	.globl	_ZN2at6native16triu_tril_kernelIdiLb1ELi2ELb1EEEvNS_4cuda6detail10TensorInfoIT_T0_EENS4_IKS5_S6_EEllS6_
	.p2align	8
	.type	_ZN2at6native16triu_tril_kernelIdiLb1ELi2ELb1EEEvNS_4cuda6detail10TensorInfoIT_T0_EENS4_IKS5_S6_EEllS6_,@function
_ZN2at6native16triu_tril_kernelIdiLb1ELi2ELb1EEEvNS_4cuda6detail10TensorInfoIT_T0_EENS4_IKS5_S6_EEllS6_: ; @_ZN2at6native16triu_tril_kernelIdiLb1ELi2ELb1EEEvNS_4cuda6detail10TensorInfoIT_T0_EENS4_IKS5_S6_EEllS6_
; %bb.0:
	s_clause 0x1
	s_load_b32 s2, s[0:1], 0x1d4
	s_load_b128 s[4:7], s[0:1], 0x1b0
	v_mov_b32_e32 v2, 0
	s_add_u32 s8, s0, 0x1c8
	s_addc_u32 s9, s1, 0
	s_delay_alu instid0(VALU_DEP_1) | instskip(SKIP_3) | instid1(VALU_DEP_1)
	v_mov_b32_e32 v1, v2
	s_waitcnt lgkmcnt(0)
	s_and_b32 s14, s2, 0xffff
	s_mov_b32 s2, exec_lo
	v_mad_u64_u32 v[3:4], null, s14, s15, v[0:1]
	s_delay_alu instid0(VALU_DEP_1) | instskip(NEXT) | instid1(VALU_DEP_1)
	v_lshlrev_b64 v[0:1], 1, v[3:4]
	v_cmpx_gt_i64_e64 s[6:7], v[0:1]
	s_cbranch_execz .LBB72_62
; %bb.1:
	s_clause 0x2
	s_load_b32 s24, s[0:1], 0x1c0
	s_load_b32 s16, s[0:1], 0x1a8
	s_load_b64 s[2:3], s[0:1], 0x0
	s_load_b32 s19, s[8:9], 0x0
	s_mov_b32 s38, 0
	s_waitcnt lgkmcnt(0)
	s_ashr_i32 s25, s24, 31
	s_ashr_i32 s17, s16, 31
	s_add_u32 s26, s0, 0xe0
	s_addc_u32 s27, s1, 0
	s_lshl_b64 s[10:11], s[16:17], 2
	v_cvt_f32_u32_e32 v3, s24
	s_add_u32 s15, s10, -8
	s_addc_u32 s18, s11, -1
	s_add_u32 s12, s26, s15
	s_addc_u32 s13, s27, s18
	v_rcp_iflag_f32_e32 v3, v3
	s_load_b32 s28, s[12:13], 0x0
	s_mul_i32 s19, s19, s14
	v_cmp_gt_i64_e64 s37, s[16:17], 2
	s_waitcnt_depctr 0xfff
	v_mul_f32_e32 v3, 0x4f7ffffe, v3
	s_delay_alu instid0(VALU_DEP_1)
	v_cvt_u32_f32_e32 v3, v3
	s_waitcnt lgkmcnt(0)
	s_ashr_i32 s29, s28, 31
	s_add_u32 s12, s10, -4
	s_addc_u32 s13, s11, -1
	s_add_u32 s30, s0, 0x6c
	s_addc_u32 s1, s1, 0
	s_add_u32 s8, s30, s12
	s_addc_u32 s9, s1, s13
	;; [unrolled: 2-line block ×3, first 2 shown]
	s_add_i32 s31, s16, -3
	s_add_u32 s12, s26, s12
	s_addc_u32 s13, s27, s13
	s_add_i32 s0, s16, 6
	s_lshl_b32 s34, s19, 1
	s_and_b32 s33, s0, 7
	s_mov_b32 s15, 0
	s_cmp_lg_u32 s33, 0
	s_cselect_b32 s35, -1, 0
	s_cmp_gt_u32 s31, 6
	s_cselect_b32 s36, -1, 0
	s_sub_i32 s0, 0, s24
	s_delay_alu instid0(SALU_CYCLE_1) | instskip(NEXT) | instid1(VALU_DEP_1)
	v_mul_lo_u32 v4, s0, v3
	v_mul_hi_u32 v4, v3, v4
	s_delay_alu instid0(VALU_DEP_1)
	v_add_nc_u32_e32 v24, v3, v4
	s_branch .LBB72_3
.LBB72_2:                               ;   in Loop: Header=BB72_3 Depth=1
	s_or_b32 exec_lo, exec_lo, s39
	v_add_co_u32 v0, vcc_lo, v0, s34
	v_add_co_ci_u32_e32 v1, vcc_lo, 0, v1, vcc_lo
	s_delay_alu instid0(VALU_DEP_1) | instskip(SKIP_1) | instid1(SALU_CYCLE_1)
	v_cmp_le_i64_e32 vcc_lo, s[6:7], v[0:1]
	s_or_b32 s38, vcc_lo, s38
	s_and_not1_b32 exec_lo, exec_lo, s38
	s_cbranch_execz .LBB72_62
.LBB72_3:                               ; =>This Loop Header: Depth=1
                                        ;     Child Loop BB72_15 Depth 2
                                        ;     Child Loop BB72_24 Depth 2
	v_or_b32_e32 v3, s25, v1
                                        ; implicit-def: $vgpr4_vgpr5
	s_mov_b32 s0, exec_lo
	s_delay_alu instid0(VALU_DEP_1)
	v_cmpx_ne_u64_e32 0, v[2:3]
	s_xor_b32 s14, exec_lo, s0
	s_cbranch_execz .LBB72_5
; %bb.4:                                ;   in Loop: Header=BB72_3 Depth=1
	s_add_u32 s18, s24, s25
	s_mov_b32 s16, s25
	s_mov_b32 s17, s25
	s_addc_u32 s19, s25, s25
	s_delay_alu instid0(SALU_CYCLE_1) | instskip(NEXT) | instid1(SALU_CYCLE_1)
	s_xor_b64 s[18:19], s[18:19], s[16:17]
	v_cvt_f32_u32_e32 v3, s18
	v_cvt_f32_u32_e32 v4, s19
	s_sub_u32 s0, 0, s18
	s_subb_u32 s20, 0, s19
	s_delay_alu instid0(VALU_DEP_1) | instskip(NEXT) | instid1(VALU_DEP_1)
	v_fmac_f32_e32 v3, 0x4f800000, v4
	v_rcp_f32_e32 v3, v3
	s_waitcnt_depctr 0xfff
	v_mul_f32_e32 v3, 0x5f7ffffc, v3
	s_delay_alu instid0(VALU_DEP_1) | instskip(NEXT) | instid1(VALU_DEP_1)
	v_mul_f32_e32 v4, 0x2f800000, v3
	v_trunc_f32_e32 v4, v4
	s_delay_alu instid0(VALU_DEP_1) | instskip(SKIP_1) | instid1(VALU_DEP_2)
	v_fmac_f32_e32 v3, 0xcf800000, v4
	v_cvt_u32_f32_e32 v4, v4
	v_cvt_u32_f32_e32 v3, v3
	s_delay_alu instid0(VALU_DEP_2) | instskip(NEXT) | instid1(VALU_DEP_2)
	v_mul_lo_u32 v5, s0, v4
	v_mul_hi_u32 v6, s0, v3
	v_mul_lo_u32 v7, s20, v3
	s_delay_alu instid0(VALU_DEP_2) | instskip(SKIP_1) | instid1(VALU_DEP_2)
	v_add_nc_u32_e32 v5, v6, v5
	v_mul_lo_u32 v6, s0, v3
	v_add_nc_u32_e32 v5, v5, v7
	s_delay_alu instid0(VALU_DEP_2) | instskip(NEXT) | instid1(VALU_DEP_2)
	v_mul_hi_u32 v7, v3, v6
	v_mul_lo_u32 v8, v3, v5
	v_mul_hi_u32 v9, v3, v5
	v_mul_hi_u32 v10, v4, v6
	v_mul_lo_u32 v6, v4, v6
	v_mul_hi_u32 v11, v4, v5
	v_mul_lo_u32 v5, v4, v5
	v_add_co_u32 v7, vcc_lo, v7, v8
	v_add_co_ci_u32_e32 v8, vcc_lo, 0, v9, vcc_lo
	s_delay_alu instid0(VALU_DEP_2) | instskip(NEXT) | instid1(VALU_DEP_2)
	v_add_co_u32 v6, vcc_lo, v7, v6
	v_add_co_ci_u32_e32 v6, vcc_lo, v8, v10, vcc_lo
	v_add_co_ci_u32_e32 v7, vcc_lo, 0, v11, vcc_lo
	v_ashrrev_i32_e32 v10, 31, v1
	s_delay_alu instid0(VALU_DEP_3) | instskip(NEXT) | instid1(VALU_DEP_3)
	v_add_co_u32 v5, vcc_lo, v6, v5
	v_add_co_ci_u32_e32 v6, vcc_lo, 0, v7, vcc_lo
	s_delay_alu instid0(VALU_DEP_2) | instskip(NEXT) | instid1(VALU_DEP_2)
	v_add_co_u32 v3, vcc_lo, v3, v5
	v_add_co_ci_u32_e32 v4, vcc_lo, v4, v6, vcc_lo
	s_delay_alu instid0(VALU_DEP_2) | instskip(SKIP_1) | instid1(VALU_DEP_3)
	v_mul_hi_u32 v5, s0, v3
	v_mul_lo_u32 v7, s20, v3
	v_mul_lo_u32 v6, s0, v4
	s_delay_alu instid0(VALU_DEP_1) | instskip(SKIP_1) | instid1(VALU_DEP_2)
	v_add_nc_u32_e32 v5, v5, v6
	v_mul_lo_u32 v6, s0, v3
	v_add_nc_u32_e32 v5, v5, v7
	s_delay_alu instid0(VALU_DEP_2) | instskip(NEXT) | instid1(VALU_DEP_2)
	v_mul_hi_u32 v7, v3, v6
	v_mul_lo_u32 v8, v3, v5
	v_mul_hi_u32 v9, v3, v5
	v_mul_hi_u32 v11, v4, v6
	v_mul_lo_u32 v6, v4, v6
	v_mul_hi_u32 v12, v4, v5
	v_mul_lo_u32 v5, v4, v5
	v_add_co_u32 v7, vcc_lo, v7, v8
	v_add_co_ci_u32_e32 v8, vcc_lo, 0, v9, vcc_lo
	s_delay_alu instid0(VALU_DEP_2) | instskip(NEXT) | instid1(VALU_DEP_2)
	v_add_co_u32 v6, vcc_lo, v7, v6
	v_add_co_ci_u32_e32 v6, vcc_lo, v8, v11, vcc_lo
	v_add_co_ci_u32_e32 v7, vcc_lo, 0, v12, vcc_lo
	v_add_co_u32 v8, vcc_lo, v0, v10
	v_add_co_ci_u32_e32 v9, vcc_lo, v1, v10, vcc_lo
	s_delay_alu instid0(VALU_DEP_4) | instskip(NEXT) | instid1(VALU_DEP_4)
	v_add_co_u32 v5, vcc_lo, v6, v5
	v_add_co_ci_u32_e32 v6, vcc_lo, 0, v7, vcc_lo
	s_delay_alu instid0(VALU_DEP_4) | instskip(NEXT) | instid1(VALU_DEP_3)
	v_xor_b32_e32 v11, v8, v10
	v_add_co_u32 v7, vcc_lo, v3, v5
	s_delay_alu instid0(VALU_DEP_3) | instskip(SKIP_1) | instid1(VALU_DEP_3)
	v_add_co_ci_u32_e32 v12, vcc_lo, v4, v6, vcc_lo
	v_xor_b32_e32 v9, v9, v10
	v_mul_hi_u32 v13, v11, v7
	s_delay_alu instid0(VALU_DEP_3) | instskip(NEXT) | instid1(VALU_DEP_3)
	v_mad_u64_u32 v[3:4], null, v11, v12, 0
	v_mad_u64_u32 v[5:6], null, v9, v7, 0
	;; [unrolled: 1-line block ×3, first 2 shown]
	s_delay_alu instid0(VALU_DEP_3) | instskip(NEXT) | instid1(VALU_DEP_4)
	v_add_co_u32 v3, vcc_lo, v13, v3
	v_add_co_ci_u32_e32 v4, vcc_lo, 0, v4, vcc_lo
	s_delay_alu instid0(VALU_DEP_2) | instskip(NEXT) | instid1(VALU_DEP_2)
	v_add_co_u32 v3, vcc_lo, v3, v5
	v_add_co_ci_u32_e32 v3, vcc_lo, v4, v6, vcc_lo
	v_add_co_ci_u32_e32 v4, vcc_lo, 0, v8, vcc_lo
	s_delay_alu instid0(VALU_DEP_2) | instskip(NEXT) | instid1(VALU_DEP_2)
	v_add_co_u32 v5, vcc_lo, v3, v7
	v_add_co_ci_u32_e32 v6, vcc_lo, 0, v4, vcc_lo
	s_delay_alu instid0(VALU_DEP_2) | instskip(SKIP_1) | instid1(VALU_DEP_3)
	v_mul_lo_u32 v7, s19, v5
	v_mad_u64_u32 v[3:4], null, s18, v5, 0
	v_mul_lo_u32 v8, s18, v6
	s_delay_alu instid0(VALU_DEP_2) | instskip(NEXT) | instid1(VALU_DEP_2)
	v_sub_co_u32 v3, vcc_lo, v11, v3
	v_add3_u32 v4, v4, v8, v7
	s_delay_alu instid0(VALU_DEP_1) | instskip(NEXT) | instid1(VALU_DEP_1)
	v_sub_nc_u32_e32 v7, v9, v4
	v_subrev_co_ci_u32_e64 v7, s0, s19, v7, vcc_lo
	v_add_co_u32 v8, s0, v5, 2
	s_delay_alu instid0(VALU_DEP_1) | instskip(SKIP_3) | instid1(VALU_DEP_3)
	v_add_co_ci_u32_e64 v11, s0, 0, v6, s0
	v_sub_co_u32 v12, s0, v3, s18
	v_sub_co_ci_u32_e32 v4, vcc_lo, v9, v4, vcc_lo
	v_subrev_co_ci_u32_e64 v7, s0, 0, v7, s0
	v_cmp_le_u32_e32 vcc_lo, s18, v12
	s_delay_alu instid0(VALU_DEP_3) | instskip(SKIP_1) | instid1(VALU_DEP_4)
	v_cmp_eq_u32_e64 s0, s19, v4
	v_cndmask_b32_e64 v9, 0, -1, vcc_lo
	v_cmp_le_u32_e32 vcc_lo, s19, v7
	v_cndmask_b32_e64 v12, 0, -1, vcc_lo
	v_cmp_le_u32_e32 vcc_lo, s18, v3
	;; [unrolled: 2-line block ×3, first 2 shown]
	v_cndmask_b32_e64 v13, 0, -1, vcc_lo
	v_cmp_eq_u32_e32 vcc_lo, s19, v7
	s_delay_alu instid0(VALU_DEP_2) | instskip(SKIP_3) | instid1(VALU_DEP_3)
	v_cndmask_b32_e64 v3, v13, v3, s0
	v_cndmask_b32_e32 v7, v12, v9, vcc_lo
	v_add_co_u32 v9, vcc_lo, v5, 1
	v_add_co_ci_u32_e32 v12, vcc_lo, 0, v6, vcc_lo
	v_cmp_ne_u32_e32 vcc_lo, 0, v7
	s_delay_alu instid0(VALU_DEP_2) | instskip(SKIP_2) | instid1(VALU_DEP_3)
	v_dual_cndmask_b32 v4, v12, v11 :: v_dual_cndmask_b32 v7, v9, v8
	v_cmp_ne_u32_e32 vcc_lo, 0, v3
	v_xor_b32_e32 v3, s16, v10
	v_dual_cndmask_b32 v5, v5, v7 :: v_dual_cndmask_b32 v4, v6, v4
	v_xor_b32_e32 v6, s17, v10
	s_delay_alu instid0(VALU_DEP_2) | instskip(NEXT) | instid1(VALU_DEP_2)
	v_xor_b32_e32 v5, v5, v3
	v_xor_b32_e32 v7, v4, v6
	s_delay_alu instid0(VALU_DEP_2) | instskip(NEXT) | instid1(VALU_DEP_2)
	v_sub_co_u32 v4, vcc_lo, v5, v3
	v_sub_co_ci_u32_e32 v5, vcc_lo, v7, v6, vcc_lo
.LBB72_5:                               ;   in Loop: Header=BB72_3 Depth=1
	s_and_not1_saveexec_b32 s0, s14
; %bb.6:                                ;   in Loop: Header=BB72_3 Depth=1
	v_mul_hi_u32 v3, v0, v24
	s_delay_alu instid0(VALU_DEP_1) | instskip(NEXT) | instid1(VALU_DEP_1)
	v_mul_lo_u32 v4, v3, s24
	v_sub_nc_u32_e32 v4, v0, v4
	s_delay_alu instid0(VALU_DEP_1) | instskip(SKIP_1) | instid1(VALU_DEP_2)
	v_subrev_nc_u32_e32 v6, s24, v4
	v_cmp_le_u32_e32 vcc_lo, s24, v4
	v_dual_cndmask_b32 v4, v4, v6 :: v_dual_add_nc_u32 v5, 1, v3
	s_delay_alu instid0(VALU_DEP_1) | instskip(NEXT) | instid1(VALU_DEP_2)
	v_cndmask_b32_e32 v3, v3, v5, vcc_lo
	v_cmp_le_u32_e32 vcc_lo, s24, v4
	s_delay_alu instid0(VALU_DEP_2) | instskip(NEXT) | instid1(VALU_DEP_1)
	v_add_nc_u32_e32 v5, 1, v3
	v_dual_cndmask_b32 v4, v3, v5 :: v_dual_mov_b32 v5, v2
; %bb.7:                                ;   in Loop: Header=BB72_3 Depth=1
	s_or_b32 exec_lo, exec_lo, s0
	s_delay_alu instid0(VALU_DEP_1) | instskip(SKIP_1) | instid1(VALU_DEP_1)
	v_or_b32_e32 v3, s29, v5
                                        ; implicit-def: $vgpr6_vgpr7
	s_mov_b32 s0, exec_lo
	v_cmpx_ne_u64_e32 0, v[2:3]
	s_xor_b32 s14, exec_lo, s0
	s_cbranch_execz .LBB72_9
; %bb.8:                                ;   in Loop: Header=BB72_3 Depth=1
	s_add_u32 s18, s28, s29
	s_mov_b32 s16, s29
	s_mov_b32 s17, s29
	s_addc_u32 s19, s29, s29
	s_delay_alu instid0(SALU_CYCLE_1) | instskip(NEXT) | instid1(SALU_CYCLE_1)
	s_xor_b64 s[18:19], s[18:19], s[16:17]
	v_cvt_f32_u32_e32 v3, s18
	v_cvt_f32_u32_e32 v6, s19
	s_sub_u32 s0, 0, s18
	s_subb_u32 s20, 0, s19
	s_delay_alu instid0(VALU_DEP_1) | instskip(NEXT) | instid1(VALU_DEP_1)
	v_fmac_f32_e32 v3, 0x4f800000, v6
	v_rcp_f32_e32 v3, v3
	s_waitcnt_depctr 0xfff
	v_mul_f32_e32 v3, 0x5f7ffffc, v3
	s_delay_alu instid0(VALU_DEP_1) | instskip(NEXT) | instid1(VALU_DEP_1)
	v_mul_f32_e32 v6, 0x2f800000, v3
	v_trunc_f32_e32 v6, v6
	s_delay_alu instid0(VALU_DEP_1) | instskip(SKIP_1) | instid1(VALU_DEP_2)
	v_fmac_f32_e32 v3, 0xcf800000, v6
	v_cvt_u32_f32_e32 v6, v6
	v_cvt_u32_f32_e32 v3, v3
	s_delay_alu instid0(VALU_DEP_2) | instskip(NEXT) | instid1(VALU_DEP_2)
	v_mul_lo_u32 v7, s0, v6
	v_mul_hi_u32 v8, s0, v3
	v_mul_lo_u32 v9, s20, v3
	s_delay_alu instid0(VALU_DEP_2) | instskip(SKIP_1) | instid1(VALU_DEP_2)
	v_add_nc_u32_e32 v7, v8, v7
	v_mul_lo_u32 v8, s0, v3
	v_add_nc_u32_e32 v7, v7, v9
	s_delay_alu instid0(VALU_DEP_2) | instskip(NEXT) | instid1(VALU_DEP_2)
	v_mul_hi_u32 v9, v3, v8
	v_mul_lo_u32 v10, v3, v7
	v_mul_hi_u32 v11, v3, v7
	v_mul_hi_u32 v12, v6, v8
	v_mul_lo_u32 v8, v6, v8
	v_mul_hi_u32 v13, v6, v7
	v_mul_lo_u32 v7, v6, v7
	v_add_co_u32 v9, vcc_lo, v9, v10
	v_add_co_ci_u32_e32 v10, vcc_lo, 0, v11, vcc_lo
	s_delay_alu instid0(VALU_DEP_2) | instskip(NEXT) | instid1(VALU_DEP_2)
	v_add_co_u32 v8, vcc_lo, v9, v8
	v_add_co_ci_u32_e32 v8, vcc_lo, v10, v12, vcc_lo
	v_add_co_ci_u32_e32 v9, vcc_lo, 0, v13, vcc_lo
	v_ashrrev_i32_e32 v12, 31, v5
	s_delay_alu instid0(VALU_DEP_3) | instskip(NEXT) | instid1(VALU_DEP_3)
	v_add_co_u32 v7, vcc_lo, v8, v7
	v_add_co_ci_u32_e32 v8, vcc_lo, 0, v9, vcc_lo
	s_delay_alu instid0(VALU_DEP_2) | instskip(NEXT) | instid1(VALU_DEP_2)
	v_add_co_u32 v3, vcc_lo, v3, v7
	v_add_co_ci_u32_e32 v6, vcc_lo, v6, v8, vcc_lo
	s_delay_alu instid0(VALU_DEP_2) | instskip(SKIP_1) | instid1(VALU_DEP_3)
	v_mul_hi_u32 v7, s0, v3
	v_mul_lo_u32 v9, s20, v3
	v_mul_lo_u32 v8, s0, v6
	s_delay_alu instid0(VALU_DEP_1) | instskip(SKIP_1) | instid1(VALU_DEP_2)
	v_add_nc_u32_e32 v7, v7, v8
	v_mul_lo_u32 v8, s0, v3
	v_add_nc_u32_e32 v7, v7, v9
	s_delay_alu instid0(VALU_DEP_2) | instskip(NEXT) | instid1(VALU_DEP_2)
	v_mul_hi_u32 v9, v3, v8
	v_mul_lo_u32 v10, v3, v7
	v_mul_hi_u32 v11, v3, v7
	v_mul_hi_u32 v13, v6, v8
	v_mul_lo_u32 v8, v6, v8
	v_mul_hi_u32 v14, v6, v7
	v_mul_lo_u32 v7, v6, v7
	v_add_co_u32 v9, vcc_lo, v9, v10
	v_add_co_ci_u32_e32 v10, vcc_lo, 0, v11, vcc_lo
	s_delay_alu instid0(VALU_DEP_2) | instskip(NEXT) | instid1(VALU_DEP_2)
	v_add_co_u32 v8, vcc_lo, v9, v8
	v_add_co_ci_u32_e32 v8, vcc_lo, v10, v13, vcc_lo
	v_add_co_ci_u32_e32 v9, vcc_lo, 0, v14, vcc_lo
	v_add_co_u32 v10, vcc_lo, v4, v12
	v_add_co_ci_u32_e32 v5, vcc_lo, v5, v12, vcc_lo
	s_delay_alu instid0(VALU_DEP_4) | instskip(NEXT) | instid1(VALU_DEP_4)
	v_add_co_u32 v7, vcc_lo, v8, v7
	v_add_co_ci_u32_e32 v8, vcc_lo, 0, v9, vcc_lo
	s_delay_alu instid0(VALU_DEP_4) | instskip(NEXT) | instid1(VALU_DEP_3)
	v_xor_b32_e32 v11, v10, v12
	v_add_co_u32 v3, vcc_lo, v3, v7
	s_delay_alu instid0(VALU_DEP_3) | instskip(SKIP_1) | instid1(VALU_DEP_3)
	v_add_co_ci_u32_e32 v13, vcc_lo, v6, v8, vcc_lo
	v_xor_b32_e32 v14, v5, v12
	v_mul_hi_u32 v15, v11, v3
	s_delay_alu instid0(VALU_DEP_3) | instskip(NEXT) | instid1(VALU_DEP_3)
	v_mad_u64_u32 v[5:6], null, v11, v13, 0
	v_mad_u64_u32 v[7:8], null, v14, v3, 0
	;; [unrolled: 1-line block ×3, first 2 shown]
	s_delay_alu instid0(VALU_DEP_3) | instskip(NEXT) | instid1(VALU_DEP_4)
	v_add_co_u32 v3, vcc_lo, v15, v5
	v_add_co_ci_u32_e32 v5, vcc_lo, 0, v6, vcc_lo
	s_delay_alu instid0(VALU_DEP_2) | instskip(NEXT) | instid1(VALU_DEP_2)
	v_add_co_u32 v3, vcc_lo, v3, v7
	v_add_co_ci_u32_e32 v3, vcc_lo, v5, v8, vcc_lo
	v_add_co_ci_u32_e32 v5, vcc_lo, 0, v10, vcc_lo
	s_delay_alu instid0(VALU_DEP_2) | instskip(NEXT) | instid1(VALU_DEP_2)
	v_add_co_u32 v3, vcc_lo, v3, v9
	v_add_co_ci_u32_e32 v7, vcc_lo, 0, v5, vcc_lo
	s_delay_alu instid0(VALU_DEP_2) | instskip(SKIP_1) | instid1(VALU_DEP_3)
	v_mul_lo_u32 v8, s19, v3
	v_mad_u64_u32 v[5:6], null, s18, v3, 0
	v_mul_lo_u32 v9, s18, v7
	s_delay_alu instid0(VALU_DEP_2) | instskip(NEXT) | instid1(VALU_DEP_2)
	v_sub_co_u32 v5, vcc_lo, v11, v5
	v_add3_u32 v6, v6, v9, v8
	s_delay_alu instid0(VALU_DEP_1) | instskip(NEXT) | instid1(VALU_DEP_1)
	v_sub_nc_u32_e32 v8, v14, v6
	v_subrev_co_ci_u32_e64 v8, s0, s19, v8, vcc_lo
	v_add_co_u32 v9, s0, v3, 2
	s_delay_alu instid0(VALU_DEP_1) | instskip(SKIP_3) | instid1(VALU_DEP_3)
	v_add_co_ci_u32_e64 v10, s0, 0, v7, s0
	v_sub_co_u32 v11, s0, v5, s18
	v_sub_co_ci_u32_e32 v6, vcc_lo, v14, v6, vcc_lo
	v_subrev_co_ci_u32_e64 v8, s0, 0, v8, s0
	v_cmp_le_u32_e32 vcc_lo, s18, v11
	s_delay_alu instid0(VALU_DEP_3) | instskip(SKIP_1) | instid1(VALU_DEP_4)
	v_cmp_eq_u32_e64 s0, s19, v6
	v_cndmask_b32_e64 v11, 0, -1, vcc_lo
	v_cmp_le_u32_e32 vcc_lo, s19, v8
	v_cndmask_b32_e64 v13, 0, -1, vcc_lo
	v_cmp_le_u32_e32 vcc_lo, s18, v5
	;; [unrolled: 2-line block ×3, first 2 shown]
	v_cndmask_b32_e64 v14, 0, -1, vcc_lo
	v_cmp_eq_u32_e32 vcc_lo, s19, v8
	s_delay_alu instid0(VALU_DEP_2) | instskip(SKIP_3) | instid1(VALU_DEP_3)
	v_cndmask_b32_e64 v5, v14, v5, s0
	v_cndmask_b32_e32 v8, v13, v11, vcc_lo
	v_add_co_u32 v11, vcc_lo, v3, 1
	v_add_co_ci_u32_e32 v13, vcc_lo, 0, v7, vcc_lo
	v_cmp_ne_u32_e32 vcc_lo, 0, v8
	s_delay_alu instid0(VALU_DEP_3) | instskip(NEXT) | instid1(VALU_DEP_3)
	v_cndmask_b32_e32 v8, v11, v9, vcc_lo
	v_cndmask_b32_e32 v6, v13, v10, vcc_lo
	v_cmp_ne_u32_e32 vcc_lo, 0, v5
	v_xor_b32_e32 v5, s16, v12
	s_delay_alu instid0(VALU_DEP_4) | instskip(NEXT) | instid1(VALU_DEP_4)
	v_cndmask_b32_e32 v3, v3, v8, vcc_lo
	v_cndmask_b32_e32 v6, v7, v6, vcc_lo
	v_xor_b32_e32 v7, s17, v12
	s_delay_alu instid0(VALU_DEP_3) | instskip(NEXT) | instid1(VALU_DEP_2)
	v_xor_b32_e32 v3, v3, v5
	v_xor_b32_e32 v8, v6, v7
	s_delay_alu instid0(VALU_DEP_2) | instskip(NEXT) | instid1(VALU_DEP_2)
	v_sub_co_u32 v6, vcc_lo, v3, v5
	v_sub_co_ci_u32_e32 v7, vcc_lo, v8, v7, vcc_lo
.LBB72_9:                               ;   in Loop: Header=BB72_3 Depth=1
	s_and_not1_saveexec_b32 s0, s14
	s_cbranch_execz .LBB72_11
; %bb.10:                               ;   in Loop: Header=BB72_3 Depth=1
	v_cvt_f32_u32_e32 v3, s28
	s_sub_i32 s14, 0, s28
	s_delay_alu instid0(VALU_DEP_1) | instskip(SKIP_2) | instid1(VALU_DEP_1)
	v_rcp_iflag_f32_e32 v3, v3
	s_waitcnt_depctr 0xfff
	v_mul_f32_e32 v3, 0x4f7ffffe, v3
	v_cvt_u32_f32_e32 v3, v3
	s_delay_alu instid0(VALU_DEP_1) | instskip(NEXT) | instid1(VALU_DEP_1)
	v_mul_lo_u32 v5, s14, v3
	v_mul_hi_u32 v5, v3, v5
	s_delay_alu instid0(VALU_DEP_1) | instskip(NEXT) | instid1(VALU_DEP_1)
	v_add_nc_u32_e32 v3, v3, v5
	v_mul_hi_u32 v3, v4, v3
	s_delay_alu instid0(VALU_DEP_1) | instskip(SKIP_1) | instid1(VALU_DEP_2)
	v_mul_lo_u32 v5, v3, s28
	v_add_nc_u32_e32 v6, 1, v3
	v_sub_nc_u32_e32 v5, v4, v5
	s_delay_alu instid0(VALU_DEP_1) | instskip(SKIP_1) | instid1(VALU_DEP_2)
	v_subrev_nc_u32_e32 v7, s28, v5
	v_cmp_le_u32_e32 vcc_lo, s28, v5
	v_cndmask_b32_e32 v5, v5, v7, vcc_lo
	v_mov_b32_e32 v7, v2
	v_cndmask_b32_e32 v3, v3, v6, vcc_lo
	s_delay_alu instid0(VALU_DEP_3) | instskip(NEXT) | instid1(VALU_DEP_2)
	v_cmp_le_u32_e32 vcc_lo, s28, v5
	v_add_nc_u32_e32 v6, 1, v3
	s_delay_alu instid0(VALU_DEP_1)
	v_cndmask_b32_e32 v6, v3, v6, vcc_lo
.LBB72_11:                              ;   in Loop: Header=BB72_3 Depth=1
	s_or_b32 exec_lo, exec_lo, s0
	v_mad_u64_u32 v[8:9], null, v4, s24, 0
	s_delay_alu instid0(VALU_DEP_2) | instskip(SKIP_1) | instid1(VALU_DEP_2)
	v_mad_u64_u32 v[9:10], null, v6, s28, 0
	s_mov_b32 s39, exec_lo
	v_sub_co_u32 v26, null, v0, v8
	s_delay_alu instid0(VALU_DEP_2) | instskip(NEXT) | instid1(VALU_DEP_1)
	v_sub_co_u32 v25, null, v4, v9
	v_sub_nc_u32_e32 v3, v26, v25
	s_delay_alu instid0(VALU_DEP_1) | instskip(NEXT) | instid1(VALU_DEP_1)
	v_ashrrev_i32_e32 v4, 31, v3
	v_cmpx_gt_i64_e64 s[4:5], v[3:4]
	s_cbranch_execz .LBB72_2
; %bb.12:                               ;   in Loop: Header=BB72_3 Depth=1
	s_clause 0x1
	s_load_b32 s40, s[8:9], 0x0
	s_load_b32 s0, s[10:11], 0x0
	s_and_not1_b32 vcc_lo, exec_lo, s37
	s_waitcnt lgkmcnt(0)
	v_mul_lo_u32 v3, s40, v26
	s_delay_alu instid0(VALU_DEP_1)
	v_mad_u64_u32 v[4:5], null, s0, v25, v[3:4]
	s_cbranch_vccnz .LBB72_58
; %bb.13:                               ;   in Loop: Header=BB72_3 Depth=1
	s_and_not1_b32 vcc_lo, exec_lo, s35
	s_cbranch_vccnz .LBB72_21
; %bb.14:                               ;   in Loop: Header=BB72_3 Depth=1
	v_dual_mov_b32 v9, v7 :: v_dual_mov_b32 v8, v6
	s_mov_b32 s22, s33
	s_mov_b32 s14, s31
.LBB72_15:                              ;   Parent Loop BB72_3 Depth=1
                                        ; =>  This Inner Loop Header: Depth=2
	s_delay_alu instid0(SALU_CYCLE_1) | instskip(NEXT) | instid1(SALU_CYCLE_1)
	s_lshl_b64 s[16:17], s[14:15], 2
                                        ; implicit-def: $vgpr6_vgpr7
	s_add_u32 s18, s26, s16
	s_addc_u32 s19, s27, s17
	s_load_b32 s23, s[18:19], 0x0
	s_mov_b32 s18, exec_lo
	s_waitcnt lgkmcnt(0)
	s_ashr_i32 s0, s23, 31
	s_delay_alu instid0(SALU_CYCLE_1) | instskip(NEXT) | instid1(VALU_DEP_1)
	v_or_b32_e32 v3, s0, v9
	v_cmpx_ne_u64_e32 0, v[2:3]
	s_xor_b32 s41, exec_lo, s18
	s_cbranch_execz .LBB72_17
; %bb.16:                               ;   in Loop: Header=BB72_15 Depth=2
	s_add_u32 s20, s23, s0
	s_mov_b32 s18, s0
	s_mov_b32 s19, s0
	s_addc_u32 s21, s0, s0
	s_delay_alu instid0(SALU_CYCLE_1) | instskip(NEXT) | instid1(SALU_CYCLE_1)
	s_xor_b64 s[20:21], s[20:21], s[18:19]
	v_cvt_f32_u32_e32 v3, s20
	v_cvt_f32_u32_e32 v5, s21
	s_sub_u32 s0, 0, s20
	s_subb_u32 s42, 0, s21
	s_delay_alu instid0(VALU_DEP_1) | instskip(NEXT) | instid1(VALU_DEP_1)
	v_fmac_f32_e32 v3, 0x4f800000, v5
	v_rcp_f32_e32 v3, v3
	s_waitcnt_depctr 0xfff
	v_mul_f32_e32 v3, 0x5f7ffffc, v3
	s_delay_alu instid0(VALU_DEP_1) | instskip(NEXT) | instid1(VALU_DEP_1)
	v_mul_f32_e32 v5, 0x2f800000, v3
	v_trunc_f32_e32 v5, v5
	s_delay_alu instid0(VALU_DEP_1) | instskip(SKIP_1) | instid1(VALU_DEP_2)
	v_fmac_f32_e32 v3, 0xcf800000, v5
	v_cvt_u32_f32_e32 v5, v5
	v_cvt_u32_f32_e32 v3, v3
	s_delay_alu instid0(VALU_DEP_2) | instskip(NEXT) | instid1(VALU_DEP_2)
	v_mul_lo_u32 v6, s0, v5
	v_mul_hi_u32 v7, s0, v3
	v_mul_lo_u32 v10, s42, v3
	s_delay_alu instid0(VALU_DEP_2) | instskip(SKIP_1) | instid1(VALU_DEP_2)
	v_add_nc_u32_e32 v6, v7, v6
	v_mul_lo_u32 v7, s0, v3
	v_add_nc_u32_e32 v6, v6, v10
	s_delay_alu instid0(VALU_DEP_2) | instskip(NEXT) | instid1(VALU_DEP_2)
	v_mul_hi_u32 v10, v3, v7
	v_mul_lo_u32 v11, v3, v6
	v_mul_hi_u32 v12, v3, v6
	v_mul_hi_u32 v13, v5, v7
	v_mul_lo_u32 v7, v5, v7
	v_mul_hi_u32 v14, v5, v6
	v_mul_lo_u32 v6, v5, v6
	v_add_co_u32 v10, vcc_lo, v10, v11
	v_add_co_ci_u32_e32 v11, vcc_lo, 0, v12, vcc_lo
	s_delay_alu instid0(VALU_DEP_2) | instskip(NEXT) | instid1(VALU_DEP_2)
	v_add_co_u32 v7, vcc_lo, v10, v7
	v_add_co_ci_u32_e32 v7, vcc_lo, v11, v13, vcc_lo
	v_add_co_ci_u32_e32 v10, vcc_lo, 0, v14, vcc_lo
	v_ashrrev_i32_e32 v13, 31, v9
	s_delay_alu instid0(VALU_DEP_3) | instskip(NEXT) | instid1(VALU_DEP_3)
	v_add_co_u32 v6, vcc_lo, v7, v6
	v_add_co_ci_u32_e32 v7, vcc_lo, 0, v10, vcc_lo
	s_delay_alu instid0(VALU_DEP_2) | instskip(NEXT) | instid1(VALU_DEP_2)
	v_add_co_u32 v3, vcc_lo, v3, v6
	v_add_co_ci_u32_e32 v5, vcc_lo, v5, v7, vcc_lo
	s_delay_alu instid0(VALU_DEP_2) | instskip(SKIP_1) | instid1(VALU_DEP_3)
	v_mul_hi_u32 v6, s0, v3
	v_mul_lo_u32 v10, s42, v3
	v_mul_lo_u32 v7, s0, v5
	s_delay_alu instid0(VALU_DEP_1) | instskip(SKIP_1) | instid1(VALU_DEP_2)
	v_add_nc_u32_e32 v6, v6, v7
	v_mul_lo_u32 v7, s0, v3
	v_add_nc_u32_e32 v6, v6, v10
	s_delay_alu instid0(VALU_DEP_2) | instskip(NEXT) | instid1(VALU_DEP_2)
	v_mul_hi_u32 v10, v3, v7
	v_mul_lo_u32 v11, v3, v6
	v_mul_hi_u32 v12, v3, v6
	v_mul_hi_u32 v14, v5, v7
	v_mul_lo_u32 v7, v5, v7
	v_mul_hi_u32 v15, v5, v6
	v_mul_lo_u32 v6, v5, v6
	v_add_co_u32 v10, vcc_lo, v10, v11
	v_add_co_ci_u32_e32 v11, vcc_lo, 0, v12, vcc_lo
	s_delay_alu instid0(VALU_DEP_2) | instskip(NEXT) | instid1(VALU_DEP_2)
	v_add_co_u32 v7, vcc_lo, v10, v7
	v_add_co_ci_u32_e32 v7, vcc_lo, v11, v14, vcc_lo
	v_add_co_ci_u32_e32 v10, vcc_lo, 0, v15, vcc_lo
	v_add_co_u32 v11, vcc_lo, v8, v13
	v_add_co_ci_u32_e32 v9, vcc_lo, v9, v13, vcc_lo
	s_delay_alu instid0(VALU_DEP_4) | instskip(NEXT) | instid1(VALU_DEP_4)
	v_add_co_u32 v6, vcc_lo, v7, v6
	v_add_co_ci_u32_e32 v7, vcc_lo, 0, v10, vcc_lo
	s_delay_alu instid0(VALU_DEP_4) | instskip(NEXT) | instid1(VALU_DEP_3)
	v_xor_b32_e32 v14, v11, v13
	v_add_co_u32 v3, vcc_lo, v3, v6
	s_delay_alu instid0(VALU_DEP_3) | instskip(SKIP_1) | instid1(VALU_DEP_3)
	v_add_co_ci_u32_e32 v7, vcc_lo, v5, v7, vcc_lo
	v_xor_b32_e32 v15, v9, v13
	v_mul_hi_u32 v16, v14, v3
	s_delay_alu instid0(VALU_DEP_3) | instskip(NEXT) | instid1(VALU_DEP_3)
	v_mad_u64_u32 v[5:6], null, v14, v7, 0
	v_mad_u64_u32 v[9:10], null, v15, v3, 0
	;; [unrolled: 1-line block ×3, first 2 shown]
	s_delay_alu instid0(VALU_DEP_3) | instskip(NEXT) | instid1(VALU_DEP_4)
	v_add_co_u32 v3, vcc_lo, v16, v5
	v_add_co_ci_u32_e32 v5, vcc_lo, 0, v6, vcc_lo
	s_delay_alu instid0(VALU_DEP_2) | instskip(NEXT) | instid1(VALU_DEP_2)
	v_add_co_u32 v3, vcc_lo, v3, v9
	v_add_co_ci_u32_e32 v3, vcc_lo, v5, v10, vcc_lo
	v_add_co_ci_u32_e32 v5, vcc_lo, 0, v12, vcc_lo
	s_delay_alu instid0(VALU_DEP_2) | instskip(NEXT) | instid1(VALU_DEP_2)
	v_add_co_u32 v3, vcc_lo, v3, v11
	v_add_co_ci_u32_e32 v7, vcc_lo, 0, v5, vcc_lo
	s_delay_alu instid0(VALU_DEP_2) | instskip(SKIP_1) | instid1(VALU_DEP_3)
	v_mul_lo_u32 v9, s21, v3
	v_mad_u64_u32 v[5:6], null, s20, v3, 0
	v_mul_lo_u32 v10, s20, v7
	s_delay_alu instid0(VALU_DEP_2) | instskip(NEXT) | instid1(VALU_DEP_2)
	v_sub_co_u32 v5, vcc_lo, v14, v5
	v_add3_u32 v6, v6, v10, v9
	s_delay_alu instid0(VALU_DEP_1) | instskip(NEXT) | instid1(VALU_DEP_1)
	v_sub_nc_u32_e32 v9, v15, v6
	v_subrev_co_ci_u32_e64 v9, s0, s21, v9, vcc_lo
	v_add_co_u32 v10, s0, v3, 2
	s_delay_alu instid0(VALU_DEP_1) | instskip(SKIP_3) | instid1(VALU_DEP_3)
	v_add_co_ci_u32_e64 v11, s0, 0, v7, s0
	v_sub_co_u32 v12, s0, v5, s20
	v_sub_co_ci_u32_e32 v6, vcc_lo, v15, v6, vcc_lo
	v_subrev_co_ci_u32_e64 v9, s0, 0, v9, s0
	v_cmp_le_u32_e32 vcc_lo, s20, v12
	s_delay_alu instid0(VALU_DEP_3) | instskip(SKIP_1) | instid1(VALU_DEP_4)
	v_cmp_eq_u32_e64 s0, s21, v6
	v_cndmask_b32_e64 v12, 0, -1, vcc_lo
	v_cmp_le_u32_e32 vcc_lo, s21, v9
	v_cndmask_b32_e64 v14, 0, -1, vcc_lo
	v_cmp_le_u32_e32 vcc_lo, s20, v5
	;; [unrolled: 2-line block ×3, first 2 shown]
	v_cndmask_b32_e64 v15, 0, -1, vcc_lo
	v_cmp_eq_u32_e32 vcc_lo, s21, v9
	s_delay_alu instid0(VALU_DEP_2) | instskip(SKIP_3) | instid1(VALU_DEP_3)
	v_cndmask_b32_e64 v5, v15, v5, s0
	v_cndmask_b32_e32 v9, v14, v12, vcc_lo
	v_add_co_u32 v12, vcc_lo, v3, 1
	v_add_co_ci_u32_e32 v14, vcc_lo, 0, v7, vcc_lo
	v_cmp_ne_u32_e32 vcc_lo, 0, v9
	s_delay_alu instid0(VALU_DEP_2) | instskip(SKIP_2) | instid1(VALU_DEP_3)
	v_dual_cndmask_b32 v6, v14, v11 :: v_dual_cndmask_b32 v9, v12, v10
	v_cmp_ne_u32_e32 vcc_lo, 0, v5
	v_xor_b32_e32 v5, s18, v13
	v_cndmask_b32_e32 v3, v3, v9, vcc_lo
	s_delay_alu instid0(VALU_DEP_4) | instskip(SKIP_1) | instid1(VALU_DEP_3)
	v_cndmask_b32_e32 v6, v7, v6, vcc_lo
	v_xor_b32_e32 v7, s19, v13
	v_xor_b32_e32 v3, v3, v5
	s_delay_alu instid0(VALU_DEP_2) | instskip(NEXT) | instid1(VALU_DEP_2)
	v_xor_b32_e32 v9, v6, v7
	v_sub_co_u32 v6, vcc_lo, v3, v5
	s_delay_alu instid0(VALU_DEP_2)
	v_sub_co_ci_u32_e32 v7, vcc_lo, v9, v7, vcc_lo
.LBB72_17:                              ;   in Loop: Header=BB72_15 Depth=2
	s_and_not1_saveexec_b32 s0, s41
	s_cbranch_execz .LBB72_19
; %bb.18:                               ;   in Loop: Header=BB72_15 Depth=2
	v_cvt_f32_u32_e32 v3, s23
	s_sub_i32 s18, 0, s23
	s_delay_alu instid0(VALU_DEP_1) | instskip(SKIP_2) | instid1(VALU_DEP_1)
	v_rcp_iflag_f32_e32 v3, v3
	s_waitcnt_depctr 0xfff
	v_mul_f32_e32 v3, 0x4f7ffffe, v3
	v_cvt_u32_f32_e32 v3, v3
	s_delay_alu instid0(VALU_DEP_1) | instskip(NEXT) | instid1(VALU_DEP_1)
	v_mul_lo_u32 v5, s18, v3
	v_mul_hi_u32 v5, v3, v5
	s_delay_alu instid0(VALU_DEP_1) | instskip(NEXT) | instid1(VALU_DEP_1)
	v_add_nc_u32_e32 v3, v3, v5
	v_mul_hi_u32 v3, v8, v3
	s_delay_alu instid0(VALU_DEP_1) | instskip(SKIP_1) | instid1(VALU_DEP_2)
	v_mul_lo_u32 v5, v3, s23
	v_add_nc_u32_e32 v6, 1, v3
	v_sub_nc_u32_e32 v5, v8, v5
	s_delay_alu instid0(VALU_DEP_1) | instskip(SKIP_1) | instid1(VALU_DEP_2)
	v_subrev_nc_u32_e32 v7, s23, v5
	v_cmp_le_u32_e32 vcc_lo, s23, v5
	v_cndmask_b32_e32 v5, v5, v7, vcc_lo
	v_mov_b32_e32 v7, v2
	v_cndmask_b32_e32 v3, v3, v6, vcc_lo
	s_delay_alu instid0(VALU_DEP_3) | instskip(NEXT) | instid1(VALU_DEP_2)
	v_cmp_le_u32_e32 vcc_lo, s23, v5
	v_add_nc_u32_e32 v6, 1, v3
	s_delay_alu instid0(VALU_DEP_1)
	v_cndmask_b32_e32 v6, v3, v6, vcc_lo
.LBB72_19:                              ;   in Loop: Header=BB72_15 Depth=2
	s_or_b32 exec_lo, exec_lo, s0
	s_add_u32 s16, s30, s16
	s_addc_u32 s17, s1, s17
	s_delay_alu instid0(VALU_DEP_1) | instskip(SKIP_4) | instid1(VALU_DEP_1)
	v_mul_lo_u32 v3, v6, s23
	s_load_b32 s0, s[16:17], 0x0
	s_add_i32 s22, s22, -1
	s_add_i32 s14, s14, -1
	s_cmp_lg_u32 s22, 0
	v_sub_nc_u32_e32 v3, v8, v3
	s_waitcnt lgkmcnt(0)
	s_delay_alu instid0(VALU_DEP_1) | instskip(NEXT) | instid1(VALU_DEP_1)
	v_mad_u64_u32 v[8:9], null, s0, v3, v[4:5]
	v_mov_b32_e32 v4, v8
	s_cbranch_scc0 .LBB72_22
; %bb.20:                               ;   in Loop: Header=BB72_15 Depth=2
	v_dual_mov_b32 v9, v7 :: v_dual_mov_b32 v8, v6
	s_branch .LBB72_15
.LBB72_21:                              ;   in Loop: Header=BB72_3 Depth=1
	s_mov_b32 s14, s31
.LBB72_22:                              ;   in Loop: Header=BB72_3 Depth=1
	s_and_not1_b32 vcc_lo, exec_lo, s36
	s_cbranch_vccnz .LBB72_58
; %bb.23:                               ;   in Loop: Header=BB72_3 Depth=1
	s_add_i32 s16, s14, -7
.LBB72_24:                              ;   Parent Loop BB72_3 Depth=1
                                        ; =>  This Inner Loop Header: Depth=2
	s_delay_alu instid0(SALU_CYCLE_1) | instskip(NEXT) | instid1(SALU_CYCLE_1)
	s_add_i32 s14, s16, 7
                                        ; implicit-def: $vgpr8_vgpr9
	s_lshl_b64 s[18:19], s[14:15], 2
	s_mov_b32 s14, exec_lo
	s_add_u32 s20, s26, s18
	s_addc_u32 s21, s27, s19
	s_load_b32 s41, s[20:21], 0x0
	s_waitcnt lgkmcnt(0)
	s_ashr_i32 s0, s41, 31
	s_delay_alu instid0(SALU_CYCLE_1) | instskip(NEXT) | instid1(VALU_DEP_1)
	v_or_b32_e32 v3, s0, v7
	v_cmpx_ne_u64_e32 0, v[2:3]
	s_xor_b32 s14, exec_lo, s14
	s_cbranch_execz .LBB72_26
; %bb.25:                               ;   in Loop: Header=BB72_24 Depth=2
	s_add_u32 s22, s41, s0
	s_mov_b32 s20, s0
	s_mov_b32 s21, s0
	s_addc_u32 s23, s0, s0
	s_delay_alu instid0(SALU_CYCLE_1) | instskip(NEXT) | instid1(SALU_CYCLE_1)
	s_xor_b64 s[22:23], s[22:23], s[20:21]
	v_cvt_f32_u32_e32 v3, s22
	v_cvt_f32_u32_e32 v5, s23
	s_sub_u32 s0, 0, s22
	s_subb_u32 s17, 0, s23
	s_delay_alu instid0(VALU_DEP_1) | instskip(NEXT) | instid1(VALU_DEP_1)
	v_fmac_f32_e32 v3, 0x4f800000, v5
	v_rcp_f32_e32 v3, v3
	s_waitcnt_depctr 0xfff
	v_mul_f32_e32 v3, 0x5f7ffffc, v3
	s_delay_alu instid0(VALU_DEP_1) | instskip(NEXT) | instid1(VALU_DEP_1)
	v_mul_f32_e32 v5, 0x2f800000, v3
	v_trunc_f32_e32 v5, v5
	s_delay_alu instid0(VALU_DEP_1) | instskip(SKIP_1) | instid1(VALU_DEP_2)
	v_fmac_f32_e32 v3, 0xcf800000, v5
	v_cvt_u32_f32_e32 v5, v5
	v_cvt_u32_f32_e32 v3, v3
	s_delay_alu instid0(VALU_DEP_2) | instskip(NEXT) | instid1(VALU_DEP_2)
	v_mul_lo_u32 v8, s0, v5
	v_mul_hi_u32 v9, s0, v3
	v_mul_lo_u32 v10, s17, v3
	s_delay_alu instid0(VALU_DEP_2) | instskip(SKIP_1) | instid1(VALU_DEP_2)
	v_add_nc_u32_e32 v8, v9, v8
	v_mul_lo_u32 v9, s0, v3
	v_add_nc_u32_e32 v8, v8, v10
	s_delay_alu instid0(VALU_DEP_2) | instskip(NEXT) | instid1(VALU_DEP_2)
	v_mul_hi_u32 v10, v3, v9
	v_mul_lo_u32 v11, v3, v8
	v_mul_hi_u32 v12, v3, v8
	v_mul_hi_u32 v13, v5, v9
	v_mul_lo_u32 v9, v5, v9
	v_mul_hi_u32 v14, v5, v8
	v_mul_lo_u32 v8, v5, v8
	v_add_co_u32 v10, vcc_lo, v10, v11
	v_add_co_ci_u32_e32 v11, vcc_lo, 0, v12, vcc_lo
	s_delay_alu instid0(VALU_DEP_2) | instskip(NEXT) | instid1(VALU_DEP_2)
	v_add_co_u32 v9, vcc_lo, v10, v9
	v_add_co_ci_u32_e32 v9, vcc_lo, v11, v13, vcc_lo
	v_add_co_ci_u32_e32 v10, vcc_lo, 0, v14, vcc_lo
	v_ashrrev_i32_e32 v13, 31, v7
	s_delay_alu instid0(VALU_DEP_3) | instskip(NEXT) | instid1(VALU_DEP_3)
	v_add_co_u32 v8, vcc_lo, v9, v8
	v_add_co_ci_u32_e32 v9, vcc_lo, 0, v10, vcc_lo
	s_delay_alu instid0(VALU_DEP_2) | instskip(NEXT) | instid1(VALU_DEP_2)
	v_add_co_u32 v3, vcc_lo, v3, v8
	v_add_co_ci_u32_e32 v5, vcc_lo, v5, v9, vcc_lo
	s_delay_alu instid0(VALU_DEP_2) | instskip(SKIP_1) | instid1(VALU_DEP_3)
	v_mul_hi_u32 v8, s0, v3
	v_mul_lo_u32 v10, s17, v3
	v_mul_lo_u32 v9, s0, v5
	s_delay_alu instid0(VALU_DEP_1) | instskip(SKIP_1) | instid1(VALU_DEP_2)
	v_add_nc_u32_e32 v8, v8, v9
	v_mul_lo_u32 v9, s0, v3
	v_add_nc_u32_e32 v8, v8, v10
	s_delay_alu instid0(VALU_DEP_2) | instskip(NEXT) | instid1(VALU_DEP_2)
	v_mul_hi_u32 v10, v3, v9
	v_mul_lo_u32 v11, v3, v8
	v_mul_hi_u32 v12, v3, v8
	v_mul_hi_u32 v14, v5, v9
	v_mul_lo_u32 v9, v5, v9
	v_mul_hi_u32 v15, v5, v8
	v_mul_lo_u32 v8, v5, v8
	v_add_co_u32 v10, vcc_lo, v10, v11
	v_add_co_ci_u32_e32 v11, vcc_lo, 0, v12, vcc_lo
	s_delay_alu instid0(VALU_DEP_2) | instskip(NEXT) | instid1(VALU_DEP_2)
	v_add_co_u32 v9, vcc_lo, v10, v9
	v_add_co_ci_u32_e32 v9, vcc_lo, v11, v14, vcc_lo
	v_add_co_ci_u32_e32 v10, vcc_lo, 0, v15, vcc_lo
	v_add_co_u32 v11, vcc_lo, v6, v13
	v_add_co_ci_u32_e32 v7, vcc_lo, v7, v13, vcc_lo
	s_delay_alu instid0(VALU_DEP_4) | instskip(NEXT) | instid1(VALU_DEP_4)
	v_add_co_u32 v8, vcc_lo, v9, v8
	v_add_co_ci_u32_e32 v9, vcc_lo, 0, v10, vcc_lo
	s_delay_alu instid0(VALU_DEP_4) | instskip(NEXT) | instid1(VALU_DEP_3)
	v_xor_b32_e32 v14, v11, v13
	v_add_co_u32 v3, vcc_lo, v3, v8
	s_delay_alu instid0(VALU_DEP_3) | instskip(SKIP_1) | instid1(VALU_DEP_3)
	v_add_co_ci_u32_e32 v5, vcc_lo, v5, v9, vcc_lo
	v_xor_b32_e32 v15, v7, v13
	v_mul_hi_u32 v16, v14, v3
	s_delay_alu instid0(VALU_DEP_3) | instskip(NEXT) | instid1(VALU_DEP_3)
	v_mad_u64_u32 v[7:8], null, v14, v5, 0
	v_mad_u64_u32 v[9:10], null, v15, v3, 0
	;; [unrolled: 1-line block ×3, first 2 shown]
	s_delay_alu instid0(VALU_DEP_3) | instskip(NEXT) | instid1(VALU_DEP_4)
	v_add_co_u32 v3, vcc_lo, v16, v7
	v_add_co_ci_u32_e32 v5, vcc_lo, 0, v8, vcc_lo
	s_delay_alu instid0(VALU_DEP_2) | instskip(NEXT) | instid1(VALU_DEP_2)
	v_add_co_u32 v3, vcc_lo, v3, v9
	v_add_co_ci_u32_e32 v3, vcc_lo, v5, v10, vcc_lo
	v_add_co_ci_u32_e32 v5, vcc_lo, 0, v12, vcc_lo
	s_delay_alu instid0(VALU_DEP_2) | instskip(NEXT) | instid1(VALU_DEP_2)
	v_add_co_u32 v3, vcc_lo, v3, v11
	v_add_co_ci_u32_e32 v5, vcc_lo, 0, v5, vcc_lo
	s_delay_alu instid0(VALU_DEP_2) | instskip(SKIP_1) | instid1(VALU_DEP_3)
	v_mul_lo_u32 v9, s23, v3
	v_mad_u64_u32 v[7:8], null, s22, v3, 0
	v_mul_lo_u32 v10, s22, v5
	s_delay_alu instid0(VALU_DEP_2) | instskip(NEXT) | instid1(VALU_DEP_2)
	v_sub_co_u32 v7, vcc_lo, v14, v7
	v_add3_u32 v8, v8, v10, v9
	s_delay_alu instid0(VALU_DEP_1) | instskip(NEXT) | instid1(VALU_DEP_1)
	v_sub_nc_u32_e32 v9, v15, v8
	v_subrev_co_ci_u32_e64 v9, s0, s23, v9, vcc_lo
	v_add_co_u32 v10, s0, v3, 2
	s_delay_alu instid0(VALU_DEP_1) | instskip(SKIP_3) | instid1(VALU_DEP_3)
	v_add_co_ci_u32_e64 v11, s0, 0, v5, s0
	v_sub_co_u32 v12, s0, v7, s22
	v_sub_co_ci_u32_e32 v8, vcc_lo, v15, v8, vcc_lo
	v_subrev_co_ci_u32_e64 v9, s0, 0, v9, s0
	v_cmp_le_u32_e32 vcc_lo, s22, v12
	s_delay_alu instid0(VALU_DEP_3) | instskip(SKIP_1) | instid1(VALU_DEP_4)
	v_cmp_eq_u32_e64 s0, s23, v8
	v_cndmask_b32_e64 v12, 0, -1, vcc_lo
	v_cmp_le_u32_e32 vcc_lo, s23, v9
	v_cndmask_b32_e64 v14, 0, -1, vcc_lo
	v_cmp_le_u32_e32 vcc_lo, s22, v7
	;; [unrolled: 2-line block ×3, first 2 shown]
	v_cndmask_b32_e64 v15, 0, -1, vcc_lo
	v_cmp_eq_u32_e32 vcc_lo, s23, v9
	s_delay_alu instid0(VALU_DEP_2) | instskip(SKIP_3) | instid1(VALU_DEP_3)
	v_cndmask_b32_e64 v7, v15, v7, s0
	v_cndmask_b32_e32 v9, v14, v12, vcc_lo
	v_add_co_u32 v12, vcc_lo, v3, 1
	v_add_co_ci_u32_e32 v14, vcc_lo, 0, v5, vcc_lo
	v_cmp_ne_u32_e32 vcc_lo, 0, v9
	s_delay_alu instid0(VALU_DEP_2) | instskip(SKIP_2) | instid1(VALU_DEP_3)
	v_dual_cndmask_b32 v8, v14, v11 :: v_dual_cndmask_b32 v9, v12, v10
	v_cmp_ne_u32_e32 vcc_lo, 0, v7
	v_xor_b32_e32 v7, s20, v13
	v_cndmask_b32_e32 v3, v3, v9, vcc_lo
	s_delay_alu instid0(VALU_DEP_4) | instskip(SKIP_1) | instid1(VALU_DEP_3)
	v_cndmask_b32_e32 v5, v5, v8, vcc_lo
	v_xor_b32_e32 v9, s21, v13
	v_xor_b32_e32 v3, v3, v7
	s_delay_alu instid0(VALU_DEP_2) | instskip(NEXT) | instid1(VALU_DEP_2)
	v_xor_b32_e32 v5, v5, v9
	v_sub_co_u32 v8, vcc_lo, v3, v7
	s_delay_alu instid0(VALU_DEP_2)
	v_sub_co_ci_u32_e32 v9, vcc_lo, v5, v9, vcc_lo
.LBB72_26:                              ;   in Loop: Header=BB72_24 Depth=2
	s_and_not1_saveexec_b32 s0, s14
	s_cbranch_execz .LBB72_28
; %bb.27:                               ;   in Loop: Header=BB72_24 Depth=2
	v_cvt_f32_u32_e32 v3, s41
	s_sub_i32 s14, 0, s41
	v_mov_b32_e32 v9, v2
	s_delay_alu instid0(VALU_DEP_2) | instskip(SKIP_2) | instid1(VALU_DEP_1)
	v_rcp_iflag_f32_e32 v3, v3
	s_waitcnt_depctr 0xfff
	v_mul_f32_e32 v3, 0x4f7ffffe, v3
	v_cvt_u32_f32_e32 v3, v3
	s_delay_alu instid0(VALU_DEP_1) | instskip(NEXT) | instid1(VALU_DEP_1)
	v_mul_lo_u32 v5, s14, v3
	v_mul_hi_u32 v5, v3, v5
	s_delay_alu instid0(VALU_DEP_1) | instskip(NEXT) | instid1(VALU_DEP_1)
	v_add_nc_u32_e32 v3, v3, v5
	v_mul_hi_u32 v3, v6, v3
	s_delay_alu instid0(VALU_DEP_1) | instskip(SKIP_1) | instid1(VALU_DEP_2)
	v_mul_lo_u32 v5, v3, s41
	v_add_nc_u32_e32 v7, 1, v3
	v_sub_nc_u32_e32 v5, v6, v5
	s_delay_alu instid0(VALU_DEP_1) | instskip(SKIP_1) | instid1(VALU_DEP_4)
	v_cmp_le_u32_e32 vcc_lo, s41, v5
	v_subrev_nc_u32_e32 v8, s41, v5
	v_cndmask_b32_e32 v3, v3, v7, vcc_lo
	s_delay_alu instid0(VALU_DEP_1) | instskip(NEXT) | instid1(VALU_DEP_3)
	v_add_nc_u32_e32 v7, 1, v3
	v_cndmask_b32_e32 v5, v5, v8, vcc_lo
	s_delay_alu instid0(VALU_DEP_1) | instskip(NEXT) | instid1(VALU_DEP_3)
	v_cmp_le_u32_e32 vcc_lo, s41, v5
	v_cndmask_b32_e32 v8, v3, v7, vcc_lo
.LBB72_28:                              ;   in Loop: Header=BB72_24 Depth=2
	s_or_b32 exec_lo, exec_lo, s0
	s_add_u32 s20, s30, s18
	s_addc_u32 s21, s1, s19
	s_add_i32 s14, s16, 6
                                        ; implicit-def: $vgpr10_vgpr11
	s_delay_alu instid0(SALU_CYCLE_1)
	s_lshl_b64 s[18:19], s[14:15], 2
	s_mov_b32 s14, exec_lo
	s_add_u32 s22, s26, s18
	s_addc_u32 s23, s27, s19
	s_clause 0x1
	s_load_b32 s43, s[22:23], 0x0
	s_load_b32 s42, s[20:21], 0x0
	s_waitcnt lgkmcnt(0)
	s_ashr_i32 s0, s43, 31
	s_delay_alu instid0(SALU_CYCLE_1) | instskip(NEXT) | instid1(VALU_DEP_1)
	v_or_b32_e32 v3, s0, v9
	v_cmpx_ne_u64_e32 0, v[2:3]
	s_xor_b32 s14, exec_lo, s14
	s_cbranch_execz .LBB72_30
; %bb.29:                               ;   in Loop: Header=BB72_24 Depth=2
	s_add_u32 s22, s43, s0
	s_mov_b32 s20, s0
	s_mov_b32 s21, s0
	s_addc_u32 s23, s0, s0
	s_delay_alu instid0(SALU_CYCLE_1) | instskip(NEXT) | instid1(SALU_CYCLE_1)
	s_xor_b64 s[22:23], s[22:23], s[20:21]
	v_cvt_f32_u32_e32 v3, s22
	v_cvt_f32_u32_e32 v5, s23
	s_sub_u32 s0, 0, s22
	s_subb_u32 s17, 0, s23
	s_delay_alu instid0(VALU_DEP_1) | instskip(NEXT) | instid1(VALU_DEP_1)
	v_fmac_f32_e32 v3, 0x4f800000, v5
	v_rcp_f32_e32 v3, v3
	s_waitcnt_depctr 0xfff
	v_mul_f32_e32 v3, 0x5f7ffffc, v3
	s_delay_alu instid0(VALU_DEP_1) | instskip(NEXT) | instid1(VALU_DEP_1)
	v_mul_f32_e32 v5, 0x2f800000, v3
	v_trunc_f32_e32 v5, v5
	s_delay_alu instid0(VALU_DEP_1) | instskip(SKIP_1) | instid1(VALU_DEP_2)
	v_fmac_f32_e32 v3, 0xcf800000, v5
	v_cvt_u32_f32_e32 v5, v5
	v_cvt_u32_f32_e32 v3, v3
	s_delay_alu instid0(VALU_DEP_2) | instskip(NEXT) | instid1(VALU_DEP_2)
	v_mul_lo_u32 v7, s0, v5
	v_mul_hi_u32 v10, s0, v3
	v_mul_lo_u32 v11, s17, v3
	s_delay_alu instid0(VALU_DEP_2) | instskip(SKIP_1) | instid1(VALU_DEP_2)
	v_add_nc_u32_e32 v7, v10, v7
	v_mul_lo_u32 v10, s0, v3
	v_add_nc_u32_e32 v7, v7, v11
	s_delay_alu instid0(VALU_DEP_2) | instskip(NEXT) | instid1(VALU_DEP_2)
	v_mul_hi_u32 v11, v3, v10
	v_mul_lo_u32 v12, v3, v7
	v_mul_hi_u32 v13, v3, v7
	v_mul_hi_u32 v14, v5, v10
	v_mul_lo_u32 v10, v5, v10
	v_mul_hi_u32 v15, v5, v7
	v_mul_lo_u32 v7, v5, v7
	v_add_co_u32 v11, vcc_lo, v11, v12
	v_add_co_ci_u32_e32 v12, vcc_lo, 0, v13, vcc_lo
	s_delay_alu instid0(VALU_DEP_2) | instskip(NEXT) | instid1(VALU_DEP_2)
	v_add_co_u32 v10, vcc_lo, v11, v10
	v_add_co_ci_u32_e32 v10, vcc_lo, v12, v14, vcc_lo
	v_add_co_ci_u32_e32 v11, vcc_lo, 0, v15, vcc_lo
	v_ashrrev_i32_e32 v15, 31, v9
	s_delay_alu instid0(VALU_DEP_3) | instskip(NEXT) | instid1(VALU_DEP_3)
	v_add_co_u32 v7, vcc_lo, v10, v7
	v_add_co_ci_u32_e32 v10, vcc_lo, 0, v11, vcc_lo
	s_delay_alu instid0(VALU_DEP_2) | instskip(NEXT) | instid1(VALU_DEP_2)
	v_add_co_u32 v3, vcc_lo, v3, v7
	v_add_co_ci_u32_e32 v5, vcc_lo, v5, v10, vcc_lo
	s_delay_alu instid0(VALU_DEP_2) | instskip(SKIP_1) | instid1(VALU_DEP_3)
	v_mul_hi_u32 v7, s0, v3
	v_mul_lo_u32 v11, s17, v3
	v_mul_lo_u32 v10, s0, v5
	s_delay_alu instid0(VALU_DEP_1) | instskip(SKIP_1) | instid1(VALU_DEP_2)
	v_add_nc_u32_e32 v7, v7, v10
	v_mul_lo_u32 v10, s0, v3
	v_add_nc_u32_e32 v7, v7, v11
	s_delay_alu instid0(VALU_DEP_2) | instskip(NEXT) | instid1(VALU_DEP_2)
	v_mul_hi_u32 v11, v3, v10
	v_mul_lo_u32 v12, v3, v7
	v_mul_hi_u32 v13, v3, v7
	v_mul_hi_u32 v14, v5, v10
	v_mul_lo_u32 v10, v5, v10
	v_mul_hi_u32 v16, v5, v7
	v_mul_lo_u32 v7, v5, v7
	v_add_co_u32 v11, vcc_lo, v11, v12
	v_add_co_ci_u32_e32 v12, vcc_lo, 0, v13, vcc_lo
	s_delay_alu instid0(VALU_DEP_2) | instskip(NEXT) | instid1(VALU_DEP_2)
	v_add_co_u32 v10, vcc_lo, v11, v10
	v_add_co_ci_u32_e32 v10, vcc_lo, v12, v14, vcc_lo
	v_add_co_ci_u32_e32 v11, vcc_lo, 0, v16, vcc_lo
	v_add_co_u32 v12, vcc_lo, v8, v15
	v_add_co_ci_u32_e32 v9, vcc_lo, v9, v15, vcc_lo
	s_delay_alu instid0(VALU_DEP_4) | instskip(NEXT) | instid1(VALU_DEP_4)
	v_add_co_u32 v7, vcc_lo, v10, v7
	v_add_co_ci_u32_e32 v10, vcc_lo, 0, v11, vcc_lo
	s_delay_alu instid0(VALU_DEP_4) | instskip(NEXT) | instid1(VALU_DEP_3)
	v_xor_b32_e32 v16, v12, v15
	v_add_co_u32 v3, vcc_lo, v3, v7
	s_delay_alu instid0(VALU_DEP_3) | instskip(SKIP_1) | instid1(VALU_DEP_3)
	v_add_co_ci_u32_e32 v5, vcc_lo, v5, v10, vcc_lo
	v_xor_b32_e32 v7, v9, v15
	v_mul_hi_u32 v17, v16, v3
	s_delay_alu instid0(VALU_DEP_3) | instskip(NEXT) | instid1(VALU_DEP_3)
	v_mad_u64_u32 v[9:10], null, v16, v5, 0
	v_mad_u64_u32 v[11:12], null, v7, v3, 0
	;; [unrolled: 1-line block ×3, first 2 shown]
	s_delay_alu instid0(VALU_DEP_3) | instskip(NEXT) | instid1(VALU_DEP_4)
	v_add_co_u32 v3, vcc_lo, v17, v9
	v_add_co_ci_u32_e32 v5, vcc_lo, 0, v10, vcc_lo
	s_delay_alu instid0(VALU_DEP_2) | instskip(NEXT) | instid1(VALU_DEP_2)
	v_add_co_u32 v3, vcc_lo, v3, v11
	v_add_co_ci_u32_e32 v3, vcc_lo, v5, v12, vcc_lo
	v_add_co_ci_u32_e32 v5, vcc_lo, 0, v14, vcc_lo
	s_delay_alu instid0(VALU_DEP_2) | instskip(NEXT) | instid1(VALU_DEP_2)
	v_add_co_u32 v3, vcc_lo, v3, v13
	v_add_co_ci_u32_e32 v5, vcc_lo, 0, v5, vcc_lo
	s_delay_alu instid0(VALU_DEP_2) | instskip(SKIP_1) | instid1(VALU_DEP_3)
	v_mul_lo_u32 v11, s23, v3
	v_mad_u64_u32 v[9:10], null, s22, v3, 0
	v_mul_lo_u32 v12, s22, v5
	s_delay_alu instid0(VALU_DEP_2) | instskip(NEXT) | instid1(VALU_DEP_2)
	v_sub_co_u32 v9, vcc_lo, v16, v9
	v_add3_u32 v10, v10, v12, v11
	s_delay_alu instid0(VALU_DEP_1) | instskip(NEXT) | instid1(VALU_DEP_1)
	v_sub_nc_u32_e32 v11, v7, v10
	v_subrev_co_ci_u32_e64 v11, s0, s23, v11, vcc_lo
	v_add_co_u32 v12, s0, v3, 2
	s_delay_alu instid0(VALU_DEP_1) | instskip(SKIP_3) | instid1(VALU_DEP_3)
	v_add_co_ci_u32_e64 v13, s0, 0, v5, s0
	v_sub_co_u32 v14, s0, v9, s22
	v_sub_co_ci_u32_e32 v7, vcc_lo, v7, v10, vcc_lo
	v_subrev_co_ci_u32_e64 v11, s0, 0, v11, s0
	v_cmp_le_u32_e32 vcc_lo, s22, v14
	s_delay_alu instid0(VALU_DEP_3) | instskip(SKIP_1) | instid1(VALU_DEP_4)
	v_cmp_eq_u32_e64 s0, s23, v7
	v_cndmask_b32_e64 v10, 0, -1, vcc_lo
	v_cmp_le_u32_e32 vcc_lo, s23, v11
	v_cndmask_b32_e64 v14, 0, -1, vcc_lo
	v_cmp_le_u32_e32 vcc_lo, s22, v9
	;; [unrolled: 2-line block ×3, first 2 shown]
	v_cndmask_b32_e64 v16, 0, -1, vcc_lo
	v_cmp_eq_u32_e32 vcc_lo, s23, v11
	s_delay_alu instid0(VALU_DEP_2) | instskip(SKIP_3) | instid1(VALU_DEP_3)
	v_cndmask_b32_e64 v7, v16, v9, s0
	v_cndmask_b32_e32 v10, v14, v10, vcc_lo
	v_add_co_u32 v11, vcc_lo, v3, 1
	v_add_co_ci_u32_e32 v14, vcc_lo, 0, v5, vcc_lo
	v_cmp_ne_u32_e32 vcc_lo, 0, v10
	s_delay_alu instid0(VALU_DEP_2) | instskip(SKIP_2) | instid1(VALU_DEP_3)
	v_dual_cndmask_b32 v10, v11, v12 :: v_dual_cndmask_b32 v9, v14, v13
	v_cmp_ne_u32_e32 vcc_lo, 0, v7
	v_xor_b32_e32 v7, s20, v15
	v_cndmask_b32_e32 v3, v3, v10, vcc_lo
	s_delay_alu instid0(VALU_DEP_4) | instskip(SKIP_1) | instid1(VALU_DEP_3)
	v_cndmask_b32_e32 v5, v5, v9, vcc_lo
	v_xor_b32_e32 v9, s21, v15
	v_xor_b32_e32 v3, v3, v7
	s_delay_alu instid0(VALU_DEP_2) | instskip(NEXT) | instid1(VALU_DEP_2)
	v_xor_b32_e32 v5, v5, v9
	v_sub_co_u32 v10, vcc_lo, v3, v7
	s_delay_alu instid0(VALU_DEP_2)
	v_sub_co_ci_u32_e32 v11, vcc_lo, v5, v9, vcc_lo
.LBB72_30:                              ;   in Loop: Header=BB72_24 Depth=2
	s_and_not1_saveexec_b32 s0, s14
	s_cbranch_execz .LBB72_32
; %bb.31:                               ;   in Loop: Header=BB72_24 Depth=2
	v_cvt_f32_u32_e32 v3, s43
	s_sub_i32 s14, 0, s43
	v_mov_b32_e32 v11, v2
	s_delay_alu instid0(VALU_DEP_2) | instskip(SKIP_2) | instid1(VALU_DEP_1)
	v_rcp_iflag_f32_e32 v3, v3
	s_waitcnt_depctr 0xfff
	v_mul_f32_e32 v3, 0x4f7ffffe, v3
	v_cvt_u32_f32_e32 v3, v3
	s_delay_alu instid0(VALU_DEP_1) | instskip(NEXT) | instid1(VALU_DEP_1)
	v_mul_lo_u32 v5, s14, v3
	v_mul_hi_u32 v5, v3, v5
	s_delay_alu instid0(VALU_DEP_1) | instskip(NEXT) | instid1(VALU_DEP_1)
	v_add_nc_u32_e32 v3, v3, v5
	v_mul_hi_u32 v3, v8, v3
	s_delay_alu instid0(VALU_DEP_1) | instskip(SKIP_1) | instid1(VALU_DEP_2)
	v_mul_lo_u32 v5, v3, s43
	v_add_nc_u32_e32 v7, 1, v3
	v_sub_nc_u32_e32 v5, v8, v5
	s_delay_alu instid0(VALU_DEP_1) | instskip(SKIP_1) | instid1(VALU_DEP_4)
	v_cmp_le_u32_e32 vcc_lo, s43, v5
	v_subrev_nc_u32_e32 v9, s43, v5
	v_cndmask_b32_e32 v3, v3, v7, vcc_lo
	s_delay_alu instid0(VALU_DEP_1) | instskip(NEXT) | instid1(VALU_DEP_3)
	v_add_nc_u32_e32 v7, 1, v3
	v_cndmask_b32_e32 v5, v5, v9, vcc_lo
	s_delay_alu instid0(VALU_DEP_1) | instskip(NEXT) | instid1(VALU_DEP_3)
	v_cmp_le_u32_e32 vcc_lo, s43, v5
	v_cndmask_b32_e32 v10, v3, v7, vcc_lo
.LBB72_32:                              ;   in Loop: Header=BB72_24 Depth=2
	s_or_b32 exec_lo, exec_lo, s0
	s_add_u32 s20, s30, s18
	s_addc_u32 s21, s1, s19
	s_add_i32 s14, s16, 5
                                        ; implicit-def: $vgpr12_vgpr13
	s_delay_alu instid0(SALU_CYCLE_1)
	s_lshl_b64 s[18:19], s[14:15], 2
	s_mov_b32 s14, exec_lo
	s_add_u32 s22, s26, s18
	s_addc_u32 s23, s27, s19
	s_clause 0x1
	s_load_b32 s45, s[22:23], 0x0
	s_load_b32 s44, s[20:21], 0x0
	s_waitcnt lgkmcnt(0)
	s_ashr_i32 s0, s45, 31
	s_delay_alu instid0(SALU_CYCLE_1) | instskip(NEXT) | instid1(VALU_DEP_1)
	v_or_b32_e32 v3, s0, v11
	v_cmpx_ne_u64_e32 0, v[2:3]
	s_xor_b32 s14, exec_lo, s14
	s_cbranch_execz .LBB72_34
; %bb.33:                               ;   in Loop: Header=BB72_24 Depth=2
	s_add_u32 s22, s45, s0
	s_mov_b32 s20, s0
	s_mov_b32 s21, s0
	s_addc_u32 s23, s0, s0
	v_ashrrev_i32_e32 v17, 31, v11
	s_xor_b64 s[22:23], s[22:23], s[20:21]
	s_delay_alu instid0(SALU_CYCLE_1) | instskip(SKIP_3) | instid1(VALU_DEP_1)
	v_cvt_f32_u32_e32 v3, s22
	v_cvt_f32_u32_e32 v5, s23
	s_sub_u32 s0, 0, s22
	s_subb_u32 s17, 0, s23
	v_fmac_f32_e32 v3, 0x4f800000, v5
	s_delay_alu instid0(VALU_DEP_1) | instskip(SKIP_2) | instid1(VALU_DEP_1)
	v_rcp_f32_e32 v3, v3
	s_waitcnt_depctr 0xfff
	v_mul_f32_e32 v3, 0x5f7ffffc, v3
	v_mul_f32_e32 v5, 0x2f800000, v3
	s_delay_alu instid0(VALU_DEP_1) | instskip(NEXT) | instid1(VALU_DEP_1)
	v_trunc_f32_e32 v5, v5
	v_fmac_f32_e32 v3, 0xcf800000, v5
	v_cvt_u32_f32_e32 v5, v5
	s_delay_alu instid0(VALU_DEP_2) | instskip(NEXT) | instid1(VALU_DEP_2)
	v_cvt_u32_f32_e32 v3, v3
	v_mul_lo_u32 v7, s0, v5
	s_delay_alu instid0(VALU_DEP_2) | instskip(SKIP_1) | instid1(VALU_DEP_2)
	v_mul_hi_u32 v9, s0, v3
	v_mul_lo_u32 v12, s17, v3
	v_add_nc_u32_e32 v7, v9, v7
	v_mul_lo_u32 v9, s0, v3
	s_delay_alu instid0(VALU_DEP_2) | instskip(NEXT) | instid1(VALU_DEP_2)
	v_add_nc_u32_e32 v7, v7, v12
	v_mul_hi_u32 v12, v3, v9
	s_delay_alu instid0(VALU_DEP_2)
	v_mul_lo_u32 v13, v3, v7
	v_mul_hi_u32 v14, v3, v7
	v_mul_hi_u32 v15, v5, v9
	v_mul_lo_u32 v9, v5, v9
	v_mul_hi_u32 v16, v5, v7
	v_mul_lo_u32 v7, v5, v7
	v_add_co_u32 v12, vcc_lo, v12, v13
	v_add_co_ci_u32_e32 v13, vcc_lo, 0, v14, vcc_lo
	s_delay_alu instid0(VALU_DEP_2) | instskip(NEXT) | instid1(VALU_DEP_2)
	v_add_co_u32 v9, vcc_lo, v12, v9
	v_add_co_ci_u32_e32 v9, vcc_lo, v13, v15, vcc_lo
	v_add_co_ci_u32_e32 v12, vcc_lo, 0, v16, vcc_lo
	s_delay_alu instid0(VALU_DEP_2) | instskip(NEXT) | instid1(VALU_DEP_2)
	v_add_co_u32 v7, vcc_lo, v9, v7
	v_add_co_ci_u32_e32 v9, vcc_lo, 0, v12, vcc_lo
	s_delay_alu instid0(VALU_DEP_2) | instskip(NEXT) | instid1(VALU_DEP_2)
	v_add_co_u32 v3, vcc_lo, v3, v7
	v_add_co_ci_u32_e32 v5, vcc_lo, v5, v9, vcc_lo
	s_delay_alu instid0(VALU_DEP_2) | instskip(SKIP_1) | instid1(VALU_DEP_3)
	v_mul_hi_u32 v7, s0, v3
	v_mul_lo_u32 v12, s17, v3
	v_mul_lo_u32 v9, s0, v5
	s_delay_alu instid0(VALU_DEP_1) | instskip(SKIP_1) | instid1(VALU_DEP_2)
	v_add_nc_u32_e32 v7, v7, v9
	v_mul_lo_u32 v9, s0, v3
	v_add_nc_u32_e32 v7, v7, v12
	s_delay_alu instid0(VALU_DEP_2) | instskip(NEXT) | instid1(VALU_DEP_2)
	v_mul_hi_u32 v12, v3, v9
	v_mul_lo_u32 v13, v3, v7
	v_mul_hi_u32 v14, v3, v7
	v_mul_hi_u32 v15, v5, v9
	v_mul_lo_u32 v9, v5, v9
	v_mul_hi_u32 v16, v5, v7
	v_mul_lo_u32 v7, v5, v7
	v_add_co_u32 v12, vcc_lo, v12, v13
	v_add_co_ci_u32_e32 v13, vcc_lo, 0, v14, vcc_lo
	s_delay_alu instid0(VALU_DEP_2) | instskip(NEXT) | instid1(VALU_DEP_2)
	v_add_co_u32 v9, vcc_lo, v12, v9
	v_add_co_ci_u32_e32 v9, vcc_lo, v13, v15, vcc_lo
	v_add_co_ci_u32_e32 v12, vcc_lo, 0, v16, vcc_lo
	v_add_co_u32 v13, vcc_lo, v10, v17
	v_add_co_ci_u32_e32 v11, vcc_lo, v11, v17, vcc_lo
	s_delay_alu instid0(VALU_DEP_4) | instskip(NEXT) | instid1(VALU_DEP_4)
	v_add_co_u32 v7, vcc_lo, v9, v7
	v_add_co_ci_u32_e32 v9, vcc_lo, 0, v12, vcc_lo
	s_delay_alu instid0(VALU_DEP_4) | instskip(NEXT) | instid1(VALU_DEP_3)
	v_xor_b32_e32 v18, v13, v17
	v_add_co_u32 v3, vcc_lo, v3, v7
	s_delay_alu instid0(VALU_DEP_3) | instskip(SKIP_1) | instid1(VALU_DEP_3)
	v_add_co_ci_u32_e32 v5, vcc_lo, v5, v9, vcc_lo
	v_xor_b32_e32 v7, v11, v17
	v_mul_hi_u32 v9, v18, v3
	s_delay_alu instid0(VALU_DEP_3) | instskip(NEXT) | instid1(VALU_DEP_3)
	v_mad_u64_u32 v[11:12], null, v18, v5, 0
	v_mad_u64_u32 v[13:14], null, v7, v3, 0
	;; [unrolled: 1-line block ×3, first 2 shown]
	s_delay_alu instid0(VALU_DEP_3) | instskip(NEXT) | instid1(VALU_DEP_4)
	v_add_co_u32 v3, vcc_lo, v9, v11
	v_add_co_ci_u32_e32 v5, vcc_lo, 0, v12, vcc_lo
	s_delay_alu instid0(VALU_DEP_2) | instskip(NEXT) | instid1(VALU_DEP_2)
	v_add_co_u32 v3, vcc_lo, v3, v13
	v_add_co_ci_u32_e32 v3, vcc_lo, v5, v14, vcc_lo
	v_add_co_ci_u32_e32 v5, vcc_lo, 0, v16, vcc_lo
	s_delay_alu instid0(VALU_DEP_2) | instskip(NEXT) | instid1(VALU_DEP_2)
	v_add_co_u32 v3, vcc_lo, v3, v15
	v_add_co_ci_u32_e32 v5, vcc_lo, 0, v5, vcc_lo
	s_delay_alu instid0(VALU_DEP_2) | instskip(SKIP_1) | instid1(VALU_DEP_3)
	v_mul_lo_u32 v9, s23, v3
	v_mad_u64_u32 v[11:12], null, s22, v3, 0
	v_mul_lo_u32 v13, s22, v5
	s_delay_alu instid0(VALU_DEP_2) | instskip(NEXT) | instid1(VALU_DEP_2)
	v_sub_co_u32 v11, vcc_lo, v18, v11
	v_add3_u32 v9, v12, v13, v9
	s_delay_alu instid0(VALU_DEP_1) | instskip(NEXT) | instid1(VALU_DEP_1)
	v_sub_nc_u32_e32 v12, v7, v9
	v_subrev_co_ci_u32_e64 v12, s0, s23, v12, vcc_lo
	v_add_co_u32 v13, s0, v3, 2
	s_delay_alu instid0(VALU_DEP_1) | instskip(SKIP_3) | instid1(VALU_DEP_3)
	v_add_co_ci_u32_e64 v14, s0, 0, v5, s0
	v_sub_co_u32 v15, s0, v11, s22
	v_sub_co_ci_u32_e32 v7, vcc_lo, v7, v9, vcc_lo
	v_subrev_co_ci_u32_e64 v12, s0, 0, v12, s0
	v_cmp_le_u32_e32 vcc_lo, s22, v15
	s_delay_alu instid0(VALU_DEP_3) | instskip(SKIP_1) | instid1(VALU_DEP_4)
	v_cmp_eq_u32_e64 s0, s23, v7
	v_cndmask_b32_e64 v9, 0, -1, vcc_lo
	v_cmp_le_u32_e32 vcc_lo, s23, v12
	v_cndmask_b32_e64 v15, 0, -1, vcc_lo
	v_cmp_le_u32_e32 vcc_lo, s22, v11
	;; [unrolled: 2-line block ×3, first 2 shown]
	v_cndmask_b32_e64 v16, 0, -1, vcc_lo
	v_cmp_eq_u32_e32 vcc_lo, s23, v12
	s_delay_alu instid0(VALU_DEP_2) | instskip(SKIP_3) | instid1(VALU_DEP_3)
	v_cndmask_b32_e64 v7, v16, v11, s0
	v_cndmask_b32_e32 v9, v15, v9, vcc_lo
	v_add_co_u32 v12, vcc_lo, v3, 1
	v_add_co_ci_u32_e32 v15, vcc_lo, 0, v5, vcc_lo
	v_cmp_ne_u32_e32 vcc_lo, 0, v9
	s_delay_alu instid0(VALU_DEP_2) | instskip(NEXT) | instid1(VALU_DEP_4)
	v_cndmask_b32_e32 v9, v15, v14, vcc_lo
	v_cndmask_b32_e32 v11, v12, v13, vcc_lo
	v_cmp_ne_u32_e32 vcc_lo, 0, v7
	v_xor_b32_e32 v7, s20, v17
	s_delay_alu instid0(VALU_DEP_3) | instskip(SKIP_2) | instid1(VALU_DEP_3)
	v_cndmask_b32_e32 v3, v3, v11, vcc_lo
	v_cndmask_b32_e32 v5, v5, v9, vcc_lo
	v_xor_b32_e32 v9, s21, v17
	v_xor_b32_e32 v3, v3, v7
	s_delay_alu instid0(VALU_DEP_2) | instskip(NEXT) | instid1(VALU_DEP_2)
	v_xor_b32_e32 v5, v5, v9
	v_sub_co_u32 v12, vcc_lo, v3, v7
	s_delay_alu instid0(VALU_DEP_2)
	v_sub_co_ci_u32_e32 v13, vcc_lo, v5, v9, vcc_lo
.LBB72_34:                              ;   in Loop: Header=BB72_24 Depth=2
	s_and_not1_saveexec_b32 s0, s14
	s_cbranch_execz .LBB72_36
; %bb.35:                               ;   in Loop: Header=BB72_24 Depth=2
	v_cvt_f32_u32_e32 v3, s45
	s_sub_i32 s14, 0, s45
	v_mov_b32_e32 v13, v2
	s_delay_alu instid0(VALU_DEP_2) | instskip(SKIP_2) | instid1(VALU_DEP_1)
	v_rcp_iflag_f32_e32 v3, v3
	s_waitcnt_depctr 0xfff
	v_mul_f32_e32 v3, 0x4f7ffffe, v3
	v_cvt_u32_f32_e32 v3, v3
	s_delay_alu instid0(VALU_DEP_1) | instskip(NEXT) | instid1(VALU_DEP_1)
	v_mul_lo_u32 v5, s14, v3
	v_mul_hi_u32 v5, v3, v5
	s_delay_alu instid0(VALU_DEP_1) | instskip(NEXT) | instid1(VALU_DEP_1)
	v_add_nc_u32_e32 v3, v3, v5
	v_mul_hi_u32 v3, v10, v3
	s_delay_alu instid0(VALU_DEP_1) | instskip(SKIP_1) | instid1(VALU_DEP_2)
	v_mul_lo_u32 v5, v3, s45
	v_add_nc_u32_e32 v7, 1, v3
	v_sub_nc_u32_e32 v5, v10, v5
	s_delay_alu instid0(VALU_DEP_1) | instskip(SKIP_1) | instid1(VALU_DEP_4)
	v_cmp_le_u32_e32 vcc_lo, s45, v5
	v_subrev_nc_u32_e32 v9, s45, v5
	v_cndmask_b32_e32 v3, v3, v7, vcc_lo
	s_delay_alu instid0(VALU_DEP_1) | instskip(NEXT) | instid1(VALU_DEP_3)
	v_add_nc_u32_e32 v7, 1, v3
	v_cndmask_b32_e32 v5, v5, v9, vcc_lo
	s_delay_alu instid0(VALU_DEP_1) | instskip(NEXT) | instid1(VALU_DEP_3)
	v_cmp_le_u32_e32 vcc_lo, s45, v5
	v_cndmask_b32_e32 v12, v3, v7, vcc_lo
.LBB72_36:                              ;   in Loop: Header=BB72_24 Depth=2
	s_or_b32 exec_lo, exec_lo, s0
	s_add_u32 s20, s30, s18
	s_addc_u32 s21, s1, s19
	s_add_i32 s14, s16, 4
                                        ; implicit-def: $vgpr14_vgpr15
	s_delay_alu instid0(SALU_CYCLE_1)
	s_lshl_b64 s[18:19], s[14:15], 2
	s_mov_b32 s14, exec_lo
	s_add_u32 s22, s26, s18
	s_addc_u32 s23, s27, s19
	s_clause 0x1
	s_load_b32 s47, s[22:23], 0x0
	s_load_b32 s46, s[20:21], 0x0
	s_waitcnt lgkmcnt(0)
	s_ashr_i32 s0, s47, 31
	s_delay_alu instid0(SALU_CYCLE_1) | instskip(NEXT) | instid1(VALU_DEP_1)
	v_or_b32_e32 v3, s0, v13
	v_cmpx_ne_u64_e32 0, v[2:3]
	s_xor_b32 s14, exec_lo, s14
	s_cbranch_execz .LBB72_38
; %bb.37:                               ;   in Loop: Header=BB72_24 Depth=2
	s_add_u32 s22, s47, s0
	s_mov_b32 s20, s0
	s_mov_b32 s21, s0
	s_addc_u32 s23, s0, s0
	v_ashrrev_i32_e32 v19, 31, v13
	s_xor_b64 s[22:23], s[22:23], s[20:21]
	s_delay_alu instid0(SALU_CYCLE_1) | instskip(SKIP_3) | instid1(VALU_DEP_1)
	v_cvt_f32_u32_e32 v3, s22
	v_cvt_f32_u32_e32 v5, s23
	s_sub_u32 s0, 0, s22
	s_subb_u32 s17, 0, s23
	v_fmac_f32_e32 v3, 0x4f800000, v5
	s_delay_alu instid0(VALU_DEP_1) | instskip(SKIP_2) | instid1(VALU_DEP_1)
	v_rcp_f32_e32 v3, v3
	s_waitcnt_depctr 0xfff
	v_mul_f32_e32 v3, 0x5f7ffffc, v3
	v_mul_f32_e32 v5, 0x2f800000, v3
	s_delay_alu instid0(VALU_DEP_1) | instskip(NEXT) | instid1(VALU_DEP_1)
	v_trunc_f32_e32 v5, v5
	v_fmac_f32_e32 v3, 0xcf800000, v5
	v_cvt_u32_f32_e32 v5, v5
	s_delay_alu instid0(VALU_DEP_2) | instskip(NEXT) | instid1(VALU_DEP_2)
	v_cvt_u32_f32_e32 v3, v3
	v_mul_lo_u32 v7, s0, v5
	s_delay_alu instid0(VALU_DEP_2) | instskip(SKIP_1) | instid1(VALU_DEP_2)
	v_mul_hi_u32 v9, s0, v3
	v_mul_lo_u32 v11, s17, v3
	v_add_nc_u32_e32 v7, v9, v7
	v_mul_lo_u32 v9, s0, v3
	s_delay_alu instid0(VALU_DEP_2) | instskip(NEXT) | instid1(VALU_DEP_2)
	v_add_nc_u32_e32 v7, v7, v11
	v_mul_hi_u32 v11, v3, v9
	s_delay_alu instid0(VALU_DEP_2)
	v_mul_lo_u32 v14, v3, v7
	v_mul_hi_u32 v15, v3, v7
	v_mul_hi_u32 v16, v5, v9
	v_mul_lo_u32 v9, v5, v9
	v_mul_hi_u32 v17, v5, v7
	v_mul_lo_u32 v7, v5, v7
	v_add_co_u32 v11, vcc_lo, v11, v14
	v_add_co_ci_u32_e32 v14, vcc_lo, 0, v15, vcc_lo
	s_delay_alu instid0(VALU_DEP_2) | instskip(NEXT) | instid1(VALU_DEP_2)
	v_add_co_u32 v9, vcc_lo, v11, v9
	v_add_co_ci_u32_e32 v9, vcc_lo, v14, v16, vcc_lo
	v_add_co_ci_u32_e32 v11, vcc_lo, 0, v17, vcc_lo
	s_delay_alu instid0(VALU_DEP_2) | instskip(NEXT) | instid1(VALU_DEP_2)
	v_add_co_u32 v7, vcc_lo, v9, v7
	v_add_co_ci_u32_e32 v9, vcc_lo, 0, v11, vcc_lo
	s_delay_alu instid0(VALU_DEP_2) | instskip(NEXT) | instid1(VALU_DEP_2)
	v_add_co_u32 v3, vcc_lo, v3, v7
	v_add_co_ci_u32_e32 v5, vcc_lo, v5, v9, vcc_lo
	s_delay_alu instid0(VALU_DEP_2) | instskip(SKIP_1) | instid1(VALU_DEP_3)
	v_mul_hi_u32 v7, s0, v3
	v_mul_lo_u32 v11, s17, v3
	v_mul_lo_u32 v9, s0, v5
	s_delay_alu instid0(VALU_DEP_1) | instskip(SKIP_1) | instid1(VALU_DEP_2)
	v_add_nc_u32_e32 v7, v7, v9
	v_mul_lo_u32 v9, s0, v3
	v_add_nc_u32_e32 v7, v7, v11
	s_delay_alu instid0(VALU_DEP_2) | instskip(NEXT) | instid1(VALU_DEP_2)
	v_mul_hi_u32 v11, v3, v9
	v_mul_lo_u32 v14, v3, v7
	v_mul_hi_u32 v15, v3, v7
	v_mul_hi_u32 v16, v5, v9
	v_mul_lo_u32 v9, v5, v9
	v_mul_hi_u32 v17, v5, v7
	v_mul_lo_u32 v7, v5, v7
	v_add_co_u32 v11, vcc_lo, v11, v14
	v_add_co_ci_u32_e32 v14, vcc_lo, 0, v15, vcc_lo
	s_delay_alu instid0(VALU_DEP_2) | instskip(NEXT) | instid1(VALU_DEP_2)
	v_add_co_u32 v9, vcc_lo, v11, v9
	v_add_co_ci_u32_e32 v9, vcc_lo, v14, v16, vcc_lo
	v_add_co_ci_u32_e32 v11, vcc_lo, 0, v17, vcc_lo
	v_add_co_u32 v14, vcc_lo, v12, v19
	v_add_co_ci_u32_e32 v13, vcc_lo, v13, v19, vcc_lo
	s_delay_alu instid0(VALU_DEP_4) | instskip(NEXT) | instid1(VALU_DEP_4)
	v_add_co_u32 v7, vcc_lo, v9, v7
	v_add_co_ci_u32_e32 v9, vcc_lo, 0, v11, vcc_lo
	s_delay_alu instid0(VALU_DEP_4) | instskip(NEXT) | instid1(VALU_DEP_3)
	v_xor_b32_e32 v11, v14, v19
	v_add_co_u32 v3, vcc_lo, v3, v7
	s_delay_alu instid0(VALU_DEP_3) | instskip(SKIP_1) | instid1(VALU_DEP_3)
	v_add_co_ci_u32_e32 v5, vcc_lo, v5, v9, vcc_lo
	v_xor_b32_e32 v7, v13, v19
	v_mul_hi_u32 v9, v11, v3
	s_delay_alu instid0(VALU_DEP_3) | instskip(NEXT) | instid1(VALU_DEP_3)
	v_mad_u64_u32 v[13:14], null, v11, v5, 0
	v_mad_u64_u32 v[15:16], null, v7, v3, 0
	;; [unrolled: 1-line block ×3, first 2 shown]
	s_delay_alu instid0(VALU_DEP_3) | instskip(NEXT) | instid1(VALU_DEP_4)
	v_add_co_u32 v3, vcc_lo, v9, v13
	v_add_co_ci_u32_e32 v5, vcc_lo, 0, v14, vcc_lo
	s_delay_alu instid0(VALU_DEP_2) | instskip(NEXT) | instid1(VALU_DEP_2)
	v_add_co_u32 v3, vcc_lo, v3, v15
	v_add_co_ci_u32_e32 v3, vcc_lo, v5, v16, vcc_lo
	v_add_co_ci_u32_e32 v5, vcc_lo, 0, v18, vcc_lo
	s_delay_alu instid0(VALU_DEP_2) | instskip(NEXT) | instid1(VALU_DEP_2)
	v_add_co_u32 v3, vcc_lo, v3, v17
	v_add_co_ci_u32_e32 v5, vcc_lo, 0, v5, vcc_lo
	s_delay_alu instid0(VALU_DEP_2) | instskip(SKIP_1) | instid1(VALU_DEP_3)
	v_mul_lo_u32 v9, s23, v3
	v_mad_u64_u32 v[13:14], null, s22, v3, 0
	v_mul_lo_u32 v15, s22, v5
	s_delay_alu instid0(VALU_DEP_2) | instskip(NEXT) | instid1(VALU_DEP_2)
	v_sub_co_u32 v11, vcc_lo, v11, v13
	v_add3_u32 v9, v14, v15, v9
	s_delay_alu instid0(VALU_DEP_1) | instskip(NEXT) | instid1(VALU_DEP_1)
	v_sub_nc_u32_e32 v14, v7, v9
	v_subrev_co_ci_u32_e64 v13, s0, s23, v14, vcc_lo
	v_add_co_u32 v14, s0, v3, 2
	s_delay_alu instid0(VALU_DEP_1) | instskip(SKIP_3) | instid1(VALU_DEP_3)
	v_add_co_ci_u32_e64 v15, s0, 0, v5, s0
	v_sub_co_u32 v16, s0, v11, s22
	v_sub_co_ci_u32_e32 v7, vcc_lo, v7, v9, vcc_lo
	v_subrev_co_ci_u32_e64 v13, s0, 0, v13, s0
	v_cmp_le_u32_e32 vcc_lo, s22, v16
	s_delay_alu instid0(VALU_DEP_3) | instskip(SKIP_1) | instid1(VALU_DEP_4)
	v_cmp_eq_u32_e64 s0, s23, v7
	v_cndmask_b32_e64 v9, 0, -1, vcc_lo
	v_cmp_le_u32_e32 vcc_lo, s23, v13
	v_cndmask_b32_e64 v16, 0, -1, vcc_lo
	v_cmp_le_u32_e32 vcc_lo, s22, v11
	;; [unrolled: 2-line block ×3, first 2 shown]
	v_cndmask_b32_e64 v17, 0, -1, vcc_lo
	v_cmp_eq_u32_e32 vcc_lo, s23, v13
	s_delay_alu instid0(VALU_DEP_2) | instskip(SKIP_3) | instid1(VALU_DEP_3)
	v_cndmask_b32_e64 v7, v17, v11, s0
	v_cndmask_b32_e32 v9, v16, v9, vcc_lo
	v_add_co_u32 v13, vcc_lo, v3, 1
	v_add_co_ci_u32_e32 v16, vcc_lo, 0, v5, vcc_lo
	v_cmp_ne_u32_e32 vcc_lo, 0, v9
	s_delay_alu instid0(VALU_DEP_2) | instskip(NEXT) | instid1(VALU_DEP_4)
	v_cndmask_b32_e32 v9, v16, v15, vcc_lo
	v_cndmask_b32_e32 v11, v13, v14, vcc_lo
	v_cmp_ne_u32_e32 vcc_lo, 0, v7
	v_xor_b32_e32 v7, s20, v19
	s_delay_alu instid0(VALU_DEP_3) | instskip(SKIP_2) | instid1(VALU_DEP_3)
	v_cndmask_b32_e32 v3, v3, v11, vcc_lo
	v_cndmask_b32_e32 v5, v5, v9, vcc_lo
	v_xor_b32_e32 v9, s21, v19
	v_xor_b32_e32 v3, v3, v7
	s_delay_alu instid0(VALU_DEP_2) | instskip(NEXT) | instid1(VALU_DEP_2)
	v_xor_b32_e32 v5, v5, v9
	v_sub_co_u32 v14, vcc_lo, v3, v7
	s_delay_alu instid0(VALU_DEP_2)
	v_sub_co_ci_u32_e32 v15, vcc_lo, v5, v9, vcc_lo
.LBB72_38:                              ;   in Loop: Header=BB72_24 Depth=2
	s_and_not1_saveexec_b32 s0, s14
	s_cbranch_execz .LBB72_40
; %bb.39:                               ;   in Loop: Header=BB72_24 Depth=2
	v_cvt_f32_u32_e32 v3, s47
	s_sub_i32 s14, 0, s47
	v_mov_b32_e32 v15, v2
	s_delay_alu instid0(VALU_DEP_2) | instskip(SKIP_2) | instid1(VALU_DEP_1)
	v_rcp_iflag_f32_e32 v3, v3
	s_waitcnt_depctr 0xfff
	v_mul_f32_e32 v3, 0x4f7ffffe, v3
	v_cvt_u32_f32_e32 v3, v3
	s_delay_alu instid0(VALU_DEP_1) | instskip(NEXT) | instid1(VALU_DEP_1)
	v_mul_lo_u32 v5, s14, v3
	v_mul_hi_u32 v5, v3, v5
	s_delay_alu instid0(VALU_DEP_1) | instskip(NEXT) | instid1(VALU_DEP_1)
	v_add_nc_u32_e32 v3, v3, v5
	v_mul_hi_u32 v3, v12, v3
	s_delay_alu instid0(VALU_DEP_1) | instskip(SKIP_1) | instid1(VALU_DEP_2)
	v_mul_lo_u32 v5, v3, s47
	v_add_nc_u32_e32 v7, 1, v3
	v_sub_nc_u32_e32 v5, v12, v5
	s_delay_alu instid0(VALU_DEP_1) | instskip(SKIP_1) | instid1(VALU_DEP_4)
	v_cmp_le_u32_e32 vcc_lo, s47, v5
	v_subrev_nc_u32_e32 v9, s47, v5
	v_cndmask_b32_e32 v3, v3, v7, vcc_lo
	s_delay_alu instid0(VALU_DEP_1) | instskip(NEXT) | instid1(VALU_DEP_3)
	v_add_nc_u32_e32 v7, 1, v3
	v_cndmask_b32_e32 v5, v5, v9, vcc_lo
	s_delay_alu instid0(VALU_DEP_1) | instskip(NEXT) | instid1(VALU_DEP_3)
	v_cmp_le_u32_e32 vcc_lo, s47, v5
	v_cndmask_b32_e32 v14, v3, v7, vcc_lo
.LBB72_40:                              ;   in Loop: Header=BB72_24 Depth=2
	s_or_b32 exec_lo, exec_lo, s0
	s_add_u32 s20, s30, s18
	s_addc_u32 s21, s1, s19
	s_add_i32 s14, s16, 3
                                        ; implicit-def: $vgpr16_vgpr17
	s_delay_alu instid0(SALU_CYCLE_1)
	s_lshl_b64 s[18:19], s[14:15], 2
	s_mov_b32 s14, exec_lo
	s_add_u32 s22, s26, s18
	s_addc_u32 s23, s27, s19
	s_clause 0x1
	s_load_b32 s49, s[22:23], 0x0
	s_load_b32 s48, s[20:21], 0x0
	s_waitcnt lgkmcnt(0)
	s_ashr_i32 s0, s49, 31
	s_delay_alu instid0(SALU_CYCLE_1) | instskip(NEXT) | instid1(VALU_DEP_1)
	v_or_b32_e32 v3, s0, v15
	v_cmpx_ne_u64_e32 0, v[2:3]
	s_xor_b32 s14, exec_lo, s14
	s_cbranch_execz .LBB72_42
; %bb.41:                               ;   in Loop: Header=BB72_24 Depth=2
	s_add_u32 s22, s49, s0
	s_mov_b32 s20, s0
	s_mov_b32 s21, s0
	s_addc_u32 s23, s0, s0
	v_ashrrev_i32_e32 v21, 31, v15
	s_xor_b64 s[22:23], s[22:23], s[20:21]
	s_delay_alu instid0(SALU_CYCLE_1) | instskip(SKIP_3) | instid1(VALU_DEP_1)
	v_cvt_f32_u32_e32 v3, s22
	v_cvt_f32_u32_e32 v5, s23
	s_sub_u32 s0, 0, s22
	s_subb_u32 s17, 0, s23
	v_fmac_f32_e32 v3, 0x4f800000, v5
	s_delay_alu instid0(VALU_DEP_1) | instskip(SKIP_2) | instid1(VALU_DEP_1)
	v_rcp_f32_e32 v3, v3
	s_waitcnt_depctr 0xfff
	v_mul_f32_e32 v3, 0x5f7ffffc, v3
	v_mul_f32_e32 v5, 0x2f800000, v3
	s_delay_alu instid0(VALU_DEP_1) | instskip(NEXT) | instid1(VALU_DEP_1)
	v_trunc_f32_e32 v5, v5
	v_fmac_f32_e32 v3, 0xcf800000, v5
	v_cvt_u32_f32_e32 v5, v5
	s_delay_alu instid0(VALU_DEP_2) | instskip(NEXT) | instid1(VALU_DEP_2)
	v_cvt_u32_f32_e32 v3, v3
	v_mul_lo_u32 v7, s0, v5
	s_delay_alu instid0(VALU_DEP_2) | instskip(SKIP_1) | instid1(VALU_DEP_2)
	v_mul_hi_u32 v9, s0, v3
	v_mul_lo_u32 v11, s17, v3
	v_add_nc_u32_e32 v7, v9, v7
	v_mul_lo_u32 v9, s0, v3
	s_delay_alu instid0(VALU_DEP_2) | instskip(NEXT) | instid1(VALU_DEP_2)
	v_add_nc_u32_e32 v7, v7, v11
	v_mul_hi_u32 v11, v3, v9
	s_delay_alu instid0(VALU_DEP_2)
	v_mul_lo_u32 v13, v3, v7
	v_mul_hi_u32 v16, v3, v7
	v_mul_hi_u32 v17, v5, v9
	v_mul_lo_u32 v9, v5, v9
	v_mul_hi_u32 v18, v5, v7
	v_mul_lo_u32 v7, v5, v7
	v_add_co_u32 v11, vcc_lo, v11, v13
	v_add_co_ci_u32_e32 v13, vcc_lo, 0, v16, vcc_lo
	s_delay_alu instid0(VALU_DEP_2) | instskip(NEXT) | instid1(VALU_DEP_2)
	v_add_co_u32 v9, vcc_lo, v11, v9
	v_add_co_ci_u32_e32 v9, vcc_lo, v13, v17, vcc_lo
	v_add_co_ci_u32_e32 v11, vcc_lo, 0, v18, vcc_lo
	s_delay_alu instid0(VALU_DEP_2) | instskip(NEXT) | instid1(VALU_DEP_2)
	v_add_co_u32 v7, vcc_lo, v9, v7
	v_add_co_ci_u32_e32 v9, vcc_lo, 0, v11, vcc_lo
	s_delay_alu instid0(VALU_DEP_2) | instskip(NEXT) | instid1(VALU_DEP_2)
	v_add_co_u32 v3, vcc_lo, v3, v7
	v_add_co_ci_u32_e32 v5, vcc_lo, v5, v9, vcc_lo
	s_delay_alu instid0(VALU_DEP_2) | instskip(SKIP_1) | instid1(VALU_DEP_3)
	v_mul_hi_u32 v7, s0, v3
	v_mul_lo_u32 v11, s17, v3
	v_mul_lo_u32 v9, s0, v5
	s_delay_alu instid0(VALU_DEP_1) | instskip(SKIP_1) | instid1(VALU_DEP_2)
	v_add_nc_u32_e32 v7, v7, v9
	v_mul_lo_u32 v9, s0, v3
	v_add_nc_u32_e32 v7, v7, v11
	s_delay_alu instid0(VALU_DEP_2) | instskip(NEXT) | instid1(VALU_DEP_2)
	v_mul_hi_u32 v11, v3, v9
	v_mul_lo_u32 v13, v3, v7
	v_mul_hi_u32 v16, v3, v7
	v_mul_hi_u32 v17, v5, v9
	v_mul_lo_u32 v9, v5, v9
	v_mul_hi_u32 v18, v5, v7
	v_mul_lo_u32 v7, v5, v7
	v_add_co_u32 v11, vcc_lo, v11, v13
	v_add_co_ci_u32_e32 v13, vcc_lo, 0, v16, vcc_lo
	s_delay_alu instid0(VALU_DEP_2) | instskip(NEXT) | instid1(VALU_DEP_2)
	v_add_co_u32 v9, vcc_lo, v11, v9
	v_add_co_ci_u32_e32 v9, vcc_lo, v13, v17, vcc_lo
	v_add_co_ci_u32_e32 v11, vcc_lo, 0, v18, vcc_lo
	v_add_co_u32 v13, vcc_lo, v14, v21
	v_add_co_ci_u32_e32 v15, vcc_lo, v15, v21, vcc_lo
	s_delay_alu instid0(VALU_DEP_4) | instskip(NEXT) | instid1(VALU_DEP_4)
	v_add_co_u32 v7, vcc_lo, v9, v7
	v_add_co_ci_u32_e32 v9, vcc_lo, 0, v11, vcc_lo
	s_delay_alu instid0(VALU_DEP_4) | instskip(NEXT) | instid1(VALU_DEP_3)
	v_xor_b32_e32 v11, v13, v21
	v_add_co_u32 v3, vcc_lo, v3, v7
	s_delay_alu instid0(VALU_DEP_3) | instskip(SKIP_1) | instid1(VALU_DEP_3)
	v_add_co_ci_u32_e32 v5, vcc_lo, v5, v9, vcc_lo
	v_xor_b32_e32 v7, v15, v21
	v_mul_hi_u32 v9, v11, v3
	s_delay_alu instid0(VALU_DEP_3) | instskip(NEXT) | instid1(VALU_DEP_3)
	v_mad_u64_u32 v[15:16], null, v11, v5, 0
	v_mad_u64_u32 v[17:18], null, v7, v3, 0
	;; [unrolled: 1-line block ×3, first 2 shown]
	s_delay_alu instid0(VALU_DEP_3) | instskip(NEXT) | instid1(VALU_DEP_4)
	v_add_co_u32 v3, vcc_lo, v9, v15
	v_add_co_ci_u32_e32 v5, vcc_lo, 0, v16, vcc_lo
	s_delay_alu instid0(VALU_DEP_2) | instskip(NEXT) | instid1(VALU_DEP_2)
	v_add_co_u32 v3, vcc_lo, v3, v17
	v_add_co_ci_u32_e32 v3, vcc_lo, v5, v18, vcc_lo
	v_add_co_ci_u32_e32 v5, vcc_lo, 0, v20, vcc_lo
	s_delay_alu instid0(VALU_DEP_2) | instskip(NEXT) | instid1(VALU_DEP_2)
	v_add_co_u32 v3, vcc_lo, v3, v19
	v_add_co_ci_u32_e32 v5, vcc_lo, 0, v5, vcc_lo
	s_delay_alu instid0(VALU_DEP_2) | instskip(SKIP_1) | instid1(VALU_DEP_3)
	v_mul_lo_u32 v9, s23, v3
	v_mad_u64_u32 v[15:16], null, s22, v3, 0
	v_mul_lo_u32 v13, s22, v5
	s_delay_alu instid0(VALU_DEP_2) | instskip(NEXT) | instid1(VALU_DEP_2)
	v_sub_co_u32 v11, vcc_lo, v11, v15
	v_add3_u32 v9, v16, v13, v9
	s_delay_alu instid0(VALU_DEP_1) | instskip(NEXT) | instid1(VALU_DEP_1)
	v_sub_nc_u32_e32 v13, v7, v9
	v_subrev_co_ci_u32_e64 v13, s0, s23, v13, vcc_lo
	v_add_co_u32 v15, s0, v3, 2
	s_delay_alu instid0(VALU_DEP_1) | instskip(SKIP_3) | instid1(VALU_DEP_3)
	v_add_co_ci_u32_e64 v16, s0, 0, v5, s0
	v_sub_co_u32 v17, s0, v11, s22
	v_sub_co_ci_u32_e32 v7, vcc_lo, v7, v9, vcc_lo
	v_subrev_co_ci_u32_e64 v13, s0, 0, v13, s0
	v_cmp_le_u32_e32 vcc_lo, s22, v17
	s_delay_alu instid0(VALU_DEP_3) | instskip(SKIP_1) | instid1(VALU_DEP_4)
	v_cmp_eq_u32_e64 s0, s23, v7
	v_cndmask_b32_e64 v9, 0, -1, vcc_lo
	v_cmp_le_u32_e32 vcc_lo, s23, v13
	v_cndmask_b32_e64 v17, 0, -1, vcc_lo
	v_cmp_le_u32_e32 vcc_lo, s22, v11
	;; [unrolled: 2-line block ×3, first 2 shown]
	v_cndmask_b32_e64 v18, 0, -1, vcc_lo
	v_cmp_eq_u32_e32 vcc_lo, s23, v13
	s_delay_alu instid0(VALU_DEP_2) | instskip(SKIP_3) | instid1(VALU_DEP_3)
	v_cndmask_b32_e64 v7, v18, v11, s0
	v_cndmask_b32_e32 v9, v17, v9, vcc_lo
	v_add_co_u32 v13, vcc_lo, v3, 1
	v_add_co_ci_u32_e32 v17, vcc_lo, 0, v5, vcc_lo
	v_cmp_ne_u32_e32 vcc_lo, 0, v9
	s_delay_alu instid0(VALU_DEP_2) | instskip(NEXT) | instid1(VALU_DEP_4)
	v_cndmask_b32_e32 v9, v17, v16, vcc_lo
	v_cndmask_b32_e32 v11, v13, v15, vcc_lo
	v_cmp_ne_u32_e32 vcc_lo, 0, v7
	v_xor_b32_e32 v7, s20, v21
	s_delay_alu instid0(VALU_DEP_3) | instskip(SKIP_2) | instid1(VALU_DEP_3)
	v_cndmask_b32_e32 v3, v3, v11, vcc_lo
	v_cndmask_b32_e32 v5, v5, v9, vcc_lo
	v_xor_b32_e32 v9, s21, v21
	v_xor_b32_e32 v3, v3, v7
	s_delay_alu instid0(VALU_DEP_2) | instskip(NEXT) | instid1(VALU_DEP_2)
	v_xor_b32_e32 v5, v5, v9
	v_sub_co_u32 v16, vcc_lo, v3, v7
	s_delay_alu instid0(VALU_DEP_2)
	v_sub_co_ci_u32_e32 v17, vcc_lo, v5, v9, vcc_lo
.LBB72_42:                              ;   in Loop: Header=BB72_24 Depth=2
	s_and_not1_saveexec_b32 s0, s14
	s_cbranch_execz .LBB72_44
; %bb.43:                               ;   in Loop: Header=BB72_24 Depth=2
	v_cvt_f32_u32_e32 v3, s49
	s_sub_i32 s14, 0, s49
	v_mov_b32_e32 v17, v2
	s_delay_alu instid0(VALU_DEP_2) | instskip(SKIP_2) | instid1(VALU_DEP_1)
	v_rcp_iflag_f32_e32 v3, v3
	s_waitcnt_depctr 0xfff
	v_mul_f32_e32 v3, 0x4f7ffffe, v3
	v_cvt_u32_f32_e32 v3, v3
	s_delay_alu instid0(VALU_DEP_1) | instskip(NEXT) | instid1(VALU_DEP_1)
	v_mul_lo_u32 v5, s14, v3
	v_mul_hi_u32 v5, v3, v5
	s_delay_alu instid0(VALU_DEP_1) | instskip(NEXT) | instid1(VALU_DEP_1)
	v_add_nc_u32_e32 v3, v3, v5
	v_mul_hi_u32 v3, v14, v3
	s_delay_alu instid0(VALU_DEP_1) | instskip(SKIP_1) | instid1(VALU_DEP_2)
	v_mul_lo_u32 v5, v3, s49
	v_add_nc_u32_e32 v7, 1, v3
	v_sub_nc_u32_e32 v5, v14, v5
	s_delay_alu instid0(VALU_DEP_1) | instskip(SKIP_1) | instid1(VALU_DEP_4)
	v_cmp_le_u32_e32 vcc_lo, s49, v5
	v_subrev_nc_u32_e32 v9, s49, v5
	v_cndmask_b32_e32 v3, v3, v7, vcc_lo
	s_delay_alu instid0(VALU_DEP_1) | instskip(NEXT) | instid1(VALU_DEP_3)
	v_add_nc_u32_e32 v7, 1, v3
	v_cndmask_b32_e32 v5, v5, v9, vcc_lo
	s_delay_alu instid0(VALU_DEP_1) | instskip(NEXT) | instid1(VALU_DEP_3)
	v_cmp_le_u32_e32 vcc_lo, s49, v5
	v_cndmask_b32_e32 v16, v3, v7, vcc_lo
.LBB72_44:                              ;   in Loop: Header=BB72_24 Depth=2
	s_or_b32 exec_lo, exec_lo, s0
	s_add_u32 s20, s30, s18
	s_addc_u32 s21, s1, s19
	s_add_i32 s14, s16, 2
                                        ; implicit-def: $vgpr18_vgpr19
	s_delay_alu instid0(SALU_CYCLE_1)
	s_lshl_b64 s[18:19], s[14:15], 2
	s_mov_b32 s14, exec_lo
	s_add_u32 s22, s26, s18
	s_addc_u32 s23, s27, s19
	s_clause 0x1
	s_load_b32 s51, s[22:23], 0x0
	s_load_b32 s50, s[20:21], 0x0
	s_waitcnt lgkmcnt(0)
	s_ashr_i32 s0, s51, 31
	s_delay_alu instid0(SALU_CYCLE_1) | instskip(NEXT) | instid1(VALU_DEP_1)
	v_or_b32_e32 v3, s0, v17
	v_cmpx_ne_u64_e32 0, v[2:3]
	s_xor_b32 s14, exec_lo, s14
	s_cbranch_execz .LBB72_46
; %bb.45:                               ;   in Loop: Header=BB72_24 Depth=2
	s_add_u32 s22, s51, s0
	s_mov_b32 s20, s0
	s_mov_b32 s21, s0
	s_addc_u32 s23, s0, s0
	v_ashrrev_i32_e32 v23, 31, v17
	s_xor_b64 s[22:23], s[22:23], s[20:21]
	s_delay_alu instid0(SALU_CYCLE_1) | instskip(SKIP_3) | instid1(VALU_DEP_1)
	v_cvt_f32_u32_e32 v3, s22
	v_cvt_f32_u32_e32 v5, s23
	s_sub_u32 s0, 0, s22
	s_subb_u32 s17, 0, s23
	v_fmac_f32_e32 v3, 0x4f800000, v5
	s_delay_alu instid0(VALU_DEP_1) | instskip(SKIP_2) | instid1(VALU_DEP_1)
	v_rcp_f32_e32 v3, v3
	s_waitcnt_depctr 0xfff
	v_mul_f32_e32 v3, 0x5f7ffffc, v3
	v_mul_f32_e32 v5, 0x2f800000, v3
	s_delay_alu instid0(VALU_DEP_1) | instskip(NEXT) | instid1(VALU_DEP_1)
	v_trunc_f32_e32 v5, v5
	v_fmac_f32_e32 v3, 0xcf800000, v5
	v_cvt_u32_f32_e32 v5, v5
	s_delay_alu instid0(VALU_DEP_2) | instskip(NEXT) | instid1(VALU_DEP_2)
	v_cvt_u32_f32_e32 v3, v3
	v_mul_lo_u32 v7, s0, v5
	s_delay_alu instid0(VALU_DEP_2) | instskip(SKIP_1) | instid1(VALU_DEP_2)
	v_mul_hi_u32 v9, s0, v3
	v_mul_lo_u32 v11, s17, v3
	v_add_nc_u32_e32 v7, v9, v7
	v_mul_lo_u32 v9, s0, v3
	s_delay_alu instid0(VALU_DEP_2) | instskip(NEXT) | instid1(VALU_DEP_2)
	v_add_nc_u32_e32 v7, v7, v11
	v_mul_hi_u32 v11, v3, v9
	s_delay_alu instid0(VALU_DEP_2)
	v_mul_lo_u32 v13, v3, v7
	v_mul_hi_u32 v15, v3, v7
	v_mul_hi_u32 v18, v5, v9
	v_mul_lo_u32 v9, v5, v9
	v_mul_hi_u32 v19, v5, v7
	v_mul_lo_u32 v7, v5, v7
	v_add_co_u32 v11, vcc_lo, v11, v13
	v_add_co_ci_u32_e32 v13, vcc_lo, 0, v15, vcc_lo
	s_delay_alu instid0(VALU_DEP_2) | instskip(NEXT) | instid1(VALU_DEP_2)
	v_add_co_u32 v9, vcc_lo, v11, v9
	v_add_co_ci_u32_e32 v9, vcc_lo, v13, v18, vcc_lo
	v_add_co_ci_u32_e32 v11, vcc_lo, 0, v19, vcc_lo
	s_delay_alu instid0(VALU_DEP_2) | instskip(NEXT) | instid1(VALU_DEP_2)
	v_add_co_u32 v7, vcc_lo, v9, v7
	v_add_co_ci_u32_e32 v9, vcc_lo, 0, v11, vcc_lo
	s_delay_alu instid0(VALU_DEP_2) | instskip(NEXT) | instid1(VALU_DEP_2)
	v_add_co_u32 v3, vcc_lo, v3, v7
	v_add_co_ci_u32_e32 v5, vcc_lo, v5, v9, vcc_lo
	s_delay_alu instid0(VALU_DEP_2) | instskip(SKIP_1) | instid1(VALU_DEP_3)
	v_mul_hi_u32 v7, s0, v3
	v_mul_lo_u32 v11, s17, v3
	v_mul_lo_u32 v9, s0, v5
	s_delay_alu instid0(VALU_DEP_1) | instskip(SKIP_1) | instid1(VALU_DEP_2)
	v_add_nc_u32_e32 v7, v7, v9
	v_mul_lo_u32 v9, s0, v3
	v_add_nc_u32_e32 v7, v7, v11
	s_delay_alu instid0(VALU_DEP_2) | instskip(NEXT) | instid1(VALU_DEP_2)
	v_mul_hi_u32 v11, v3, v9
	v_mul_lo_u32 v13, v3, v7
	v_mul_hi_u32 v15, v3, v7
	v_mul_hi_u32 v18, v5, v9
	v_mul_lo_u32 v9, v5, v9
	v_mul_hi_u32 v19, v5, v7
	v_mul_lo_u32 v7, v5, v7
	v_add_co_u32 v11, vcc_lo, v11, v13
	v_add_co_ci_u32_e32 v13, vcc_lo, 0, v15, vcc_lo
	s_delay_alu instid0(VALU_DEP_2) | instskip(NEXT) | instid1(VALU_DEP_2)
	v_add_co_u32 v9, vcc_lo, v11, v9
	v_add_co_ci_u32_e32 v9, vcc_lo, v13, v18, vcc_lo
	v_add_co_ci_u32_e32 v11, vcc_lo, 0, v19, vcc_lo
	v_add_co_u32 v13, vcc_lo, v16, v23
	v_add_co_ci_u32_e32 v15, vcc_lo, v17, v23, vcc_lo
	s_delay_alu instid0(VALU_DEP_4) | instskip(NEXT) | instid1(VALU_DEP_4)
	v_add_co_u32 v7, vcc_lo, v9, v7
	v_add_co_ci_u32_e32 v9, vcc_lo, 0, v11, vcc_lo
	s_delay_alu instid0(VALU_DEP_4) | instskip(NEXT) | instid1(VALU_DEP_3)
	v_xor_b32_e32 v11, v13, v23
	v_add_co_u32 v3, vcc_lo, v3, v7
	s_delay_alu instid0(VALU_DEP_3) | instskip(SKIP_1) | instid1(VALU_DEP_3)
	v_add_co_ci_u32_e32 v5, vcc_lo, v5, v9, vcc_lo
	v_xor_b32_e32 v7, v15, v23
	v_mul_hi_u32 v9, v11, v3
	s_delay_alu instid0(VALU_DEP_3) | instskip(NEXT) | instid1(VALU_DEP_3)
	v_mad_u64_u32 v[17:18], null, v11, v5, 0
	v_mad_u64_u32 v[19:20], null, v7, v3, 0
	;; [unrolled: 1-line block ×3, first 2 shown]
	s_delay_alu instid0(VALU_DEP_3) | instskip(NEXT) | instid1(VALU_DEP_4)
	v_add_co_u32 v3, vcc_lo, v9, v17
	v_add_co_ci_u32_e32 v5, vcc_lo, 0, v18, vcc_lo
	s_delay_alu instid0(VALU_DEP_2) | instskip(NEXT) | instid1(VALU_DEP_2)
	v_add_co_u32 v3, vcc_lo, v3, v19
	v_add_co_ci_u32_e32 v3, vcc_lo, v5, v20, vcc_lo
	v_add_co_ci_u32_e32 v5, vcc_lo, 0, v22, vcc_lo
	s_delay_alu instid0(VALU_DEP_2) | instskip(NEXT) | instid1(VALU_DEP_2)
	v_add_co_u32 v3, vcc_lo, v3, v21
	v_add_co_ci_u32_e32 v5, vcc_lo, 0, v5, vcc_lo
	s_delay_alu instid0(VALU_DEP_2) | instskip(SKIP_1) | instid1(VALU_DEP_3)
	v_mul_lo_u32 v9, s23, v3
	v_mad_u64_u32 v[17:18], null, s22, v3, 0
	v_mul_lo_u32 v13, s22, v5
	s_delay_alu instid0(VALU_DEP_2) | instskip(NEXT) | instid1(VALU_DEP_2)
	v_sub_co_u32 v11, vcc_lo, v11, v17
	v_add3_u32 v9, v18, v13, v9
	s_delay_alu instid0(VALU_DEP_1) | instskip(NEXT) | instid1(VALU_DEP_1)
	v_sub_nc_u32_e32 v13, v7, v9
	v_subrev_co_ci_u32_e64 v13, s0, s23, v13, vcc_lo
	v_add_co_u32 v15, s0, v3, 2
	s_delay_alu instid0(VALU_DEP_1) | instskip(SKIP_3) | instid1(VALU_DEP_3)
	v_add_co_ci_u32_e64 v17, s0, 0, v5, s0
	v_sub_co_u32 v18, s0, v11, s22
	v_sub_co_ci_u32_e32 v7, vcc_lo, v7, v9, vcc_lo
	v_subrev_co_ci_u32_e64 v13, s0, 0, v13, s0
	v_cmp_le_u32_e32 vcc_lo, s22, v18
	s_delay_alu instid0(VALU_DEP_3) | instskip(SKIP_1) | instid1(VALU_DEP_4)
	v_cmp_eq_u32_e64 s0, s23, v7
	v_cndmask_b32_e64 v9, 0, -1, vcc_lo
	v_cmp_le_u32_e32 vcc_lo, s23, v13
	v_cndmask_b32_e64 v18, 0, -1, vcc_lo
	v_cmp_le_u32_e32 vcc_lo, s22, v11
	;; [unrolled: 2-line block ×3, first 2 shown]
	v_cndmask_b32_e64 v19, 0, -1, vcc_lo
	v_cmp_eq_u32_e32 vcc_lo, s23, v13
	s_delay_alu instid0(VALU_DEP_2) | instskip(SKIP_3) | instid1(VALU_DEP_3)
	v_cndmask_b32_e64 v7, v19, v11, s0
	v_cndmask_b32_e32 v9, v18, v9, vcc_lo
	v_add_co_u32 v13, vcc_lo, v3, 1
	v_add_co_ci_u32_e32 v18, vcc_lo, 0, v5, vcc_lo
	v_cmp_ne_u32_e32 vcc_lo, 0, v9
	s_delay_alu instid0(VALU_DEP_2) | instskip(NEXT) | instid1(VALU_DEP_4)
	v_cndmask_b32_e32 v9, v18, v17, vcc_lo
	v_cndmask_b32_e32 v11, v13, v15, vcc_lo
	v_cmp_ne_u32_e32 vcc_lo, 0, v7
	v_xor_b32_e32 v7, s20, v23
	s_delay_alu instid0(VALU_DEP_3) | instskip(SKIP_2) | instid1(VALU_DEP_3)
	v_cndmask_b32_e32 v3, v3, v11, vcc_lo
	v_cndmask_b32_e32 v5, v5, v9, vcc_lo
	v_xor_b32_e32 v9, s21, v23
	v_xor_b32_e32 v3, v3, v7
	s_delay_alu instid0(VALU_DEP_2) | instskip(NEXT) | instid1(VALU_DEP_2)
	v_xor_b32_e32 v5, v5, v9
	v_sub_co_u32 v18, vcc_lo, v3, v7
	s_delay_alu instid0(VALU_DEP_2)
	v_sub_co_ci_u32_e32 v19, vcc_lo, v5, v9, vcc_lo
.LBB72_46:                              ;   in Loop: Header=BB72_24 Depth=2
	s_and_not1_saveexec_b32 s0, s14
	s_cbranch_execz .LBB72_48
; %bb.47:                               ;   in Loop: Header=BB72_24 Depth=2
	v_cvt_f32_u32_e32 v3, s51
	s_sub_i32 s14, 0, s51
	v_mov_b32_e32 v19, v2
	s_delay_alu instid0(VALU_DEP_2) | instskip(SKIP_2) | instid1(VALU_DEP_1)
	v_rcp_iflag_f32_e32 v3, v3
	s_waitcnt_depctr 0xfff
	v_mul_f32_e32 v3, 0x4f7ffffe, v3
	v_cvt_u32_f32_e32 v3, v3
	s_delay_alu instid0(VALU_DEP_1) | instskip(NEXT) | instid1(VALU_DEP_1)
	v_mul_lo_u32 v5, s14, v3
	v_mul_hi_u32 v5, v3, v5
	s_delay_alu instid0(VALU_DEP_1) | instskip(NEXT) | instid1(VALU_DEP_1)
	v_add_nc_u32_e32 v3, v3, v5
	v_mul_hi_u32 v3, v16, v3
	s_delay_alu instid0(VALU_DEP_1) | instskip(SKIP_1) | instid1(VALU_DEP_2)
	v_mul_lo_u32 v5, v3, s51
	v_add_nc_u32_e32 v7, 1, v3
	v_sub_nc_u32_e32 v5, v16, v5
	s_delay_alu instid0(VALU_DEP_1) | instskip(SKIP_1) | instid1(VALU_DEP_4)
	v_cmp_le_u32_e32 vcc_lo, s51, v5
	v_subrev_nc_u32_e32 v9, s51, v5
	v_cndmask_b32_e32 v3, v3, v7, vcc_lo
	s_delay_alu instid0(VALU_DEP_1) | instskip(NEXT) | instid1(VALU_DEP_3)
	v_add_nc_u32_e32 v7, 1, v3
	v_cndmask_b32_e32 v5, v5, v9, vcc_lo
	s_delay_alu instid0(VALU_DEP_1) | instskip(NEXT) | instid1(VALU_DEP_3)
	v_cmp_le_u32_e32 vcc_lo, s51, v5
	v_cndmask_b32_e32 v18, v3, v7, vcc_lo
.LBB72_48:                              ;   in Loop: Header=BB72_24 Depth=2
	s_or_b32 exec_lo, exec_lo, s0
	s_add_u32 s20, s30, s18
	s_addc_u32 s21, s1, s19
	s_add_i32 s14, s16, 1
	s_mov_b32 s17, exec_lo
	s_lshl_b64 s[18:19], s[14:15], 2
                                        ; implicit-def: $vgpr20_vgpr21
	s_delay_alu instid0(SALU_CYCLE_1)
	s_add_u32 s22, s26, s18
	s_addc_u32 s23, s27, s19
	s_clause 0x1
	s_load_b32 s52, s[22:23], 0x0
	s_load_b32 s14, s[20:21], 0x0
	s_waitcnt lgkmcnt(0)
	s_ashr_i32 s0, s52, 31
	s_delay_alu instid0(SALU_CYCLE_1) | instskip(NEXT) | instid1(VALU_DEP_1)
	v_or_b32_e32 v3, s0, v19
	v_cmpx_ne_u64_e32 0, v[2:3]
	s_xor_b32 s17, exec_lo, s17
	s_cbranch_execz .LBB72_50
; %bb.49:                               ;   in Loop: Header=BB72_24 Depth=2
	s_add_u32 s22, s52, s0
	s_mov_b32 s20, s0
	s_mov_b32 s21, s0
	s_addc_u32 s23, s0, s0
	s_delay_alu instid0(SALU_CYCLE_1) | instskip(NEXT) | instid1(SALU_CYCLE_1)
	s_xor_b64 s[22:23], s[22:23], s[20:21]
	v_cvt_f32_u32_e32 v3, s22
	v_cvt_f32_u32_e32 v5, s23
	s_sub_u32 s0, 0, s22
	s_subb_u32 s53, 0, s23
	s_delay_alu instid0(VALU_DEP_1) | instskip(NEXT) | instid1(VALU_DEP_1)
	v_fmac_f32_e32 v3, 0x4f800000, v5
	v_rcp_f32_e32 v3, v3
	s_waitcnt_depctr 0xfff
	v_mul_f32_e32 v3, 0x5f7ffffc, v3
	s_delay_alu instid0(VALU_DEP_1) | instskip(NEXT) | instid1(VALU_DEP_1)
	v_mul_f32_e32 v5, 0x2f800000, v3
	v_trunc_f32_e32 v5, v5
	s_delay_alu instid0(VALU_DEP_1) | instskip(SKIP_1) | instid1(VALU_DEP_2)
	v_fmac_f32_e32 v3, 0xcf800000, v5
	v_cvt_u32_f32_e32 v5, v5
	v_cvt_u32_f32_e32 v3, v3
	s_delay_alu instid0(VALU_DEP_2) | instskip(NEXT) | instid1(VALU_DEP_2)
	v_mul_lo_u32 v7, s0, v5
	v_mul_hi_u32 v9, s0, v3
	v_mul_lo_u32 v11, s53, v3
	s_delay_alu instid0(VALU_DEP_2) | instskip(SKIP_1) | instid1(VALU_DEP_2)
	v_add_nc_u32_e32 v7, v9, v7
	v_mul_lo_u32 v9, s0, v3
	v_add_nc_u32_e32 v7, v7, v11
	s_delay_alu instid0(VALU_DEP_2) | instskip(NEXT) | instid1(VALU_DEP_2)
	v_mul_hi_u32 v11, v3, v9
	v_mul_lo_u32 v13, v3, v7
	v_mul_hi_u32 v15, v3, v7
	v_mul_hi_u32 v17, v5, v9
	v_mul_lo_u32 v9, v5, v9
	v_mul_hi_u32 v20, v5, v7
	v_mul_lo_u32 v7, v5, v7
	v_add_co_u32 v11, vcc_lo, v11, v13
	v_add_co_ci_u32_e32 v13, vcc_lo, 0, v15, vcc_lo
	s_delay_alu instid0(VALU_DEP_2) | instskip(NEXT) | instid1(VALU_DEP_2)
	v_add_co_u32 v9, vcc_lo, v11, v9
	v_add_co_ci_u32_e32 v9, vcc_lo, v13, v17, vcc_lo
	v_add_co_ci_u32_e32 v11, vcc_lo, 0, v20, vcc_lo
	v_ashrrev_i32_e32 v17, 31, v19
	s_delay_alu instid0(VALU_DEP_3) | instskip(NEXT) | instid1(VALU_DEP_3)
	v_add_co_u32 v7, vcc_lo, v9, v7
	v_add_co_ci_u32_e32 v9, vcc_lo, 0, v11, vcc_lo
	s_delay_alu instid0(VALU_DEP_2) | instskip(NEXT) | instid1(VALU_DEP_2)
	v_add_co_u32 v3, vcc_lo, v3, v7
	v_add_co_ci_u32_e32 v5, vcc_lo, v5, v9, vcc_lo
	s_delay_alu instid0(VALU_DEP_2) | instskip(SKIP_1) | instid1(VALU_DEP_3)
	v_mul_hi_u32 v7, s0, v3
	v_mul_lo_u32 v11, s53, v3
	v_mul_lo_u32 v9, s0, v5
	s_delay_alu instid0(VALU_DEP_1) | instskip(SKIP_1) | instid1(VALU_DEP_2)
	v_add_nc_u32_e32 v7, v7, v9
	v_mul_lo_u32 v9, s0, v3
	v_add_nc_u32_e32 v7, v7, v11
	s_delay_alu instid0(VALU_DEP_2) | instskip(NEXT) | instid1(VALU_DEP_2)
	v_mul_hi_u32 v11, v3, v9
	v_mul_lo_u32 v13, v3, v7
	v_mul_hi_u32 v15, v3, v7
	v_mul_hi_u32 v20, v5, v9
	v_mul_lo_u32 v9, v5, v9
	v_mul_hi_u32 v21, v5, v7
	v_mul_lo_u32 v7, v5, v7
	v_add_co_u32 v11, vcc_lo, v11, v13
	v_add_co_ci_u32_e32 v13, vcc_lo, 0, v15, vcc_lo
	s_delay_alu instid0(VALU_DEP_2) | instskip(NEXT) | instid1(VALU_DEP_2)
	v_add_co_u32 v9, vcc_lo, v11, v9
	v_add_co_ci_u32_e32 v9, vcc_lo, v13, v20, vcc_lo
	v_add_co_ci_u32_e32 v11, vcc_lo, 0, v21, vcc_lo
	v_add_co_u32 v13, vcc_lo, v18, v17
	v_add_co_ci_u32_e32 v15, vcc_lo, v19, v17, vcc_lo
	s_delay_alu instid0(VALU_DEP_4) | instskip(NEXT) | instid1(VALU_DEP_4)
	v_add_co_u32 v7, vcc_lo, v9, v7
	v_add_co_ci_u32_e32 v9, vcc_lo, 0, v11, vcc_lo
	s_delay_alu instid0(VALU_DEP_4) | instskip(NEXT) | instid1(VALU_DEP_3)
	v_xor_b32_e32 v11, v13, v17
	v_add_co_u32 v3, vcc_lo, v3, v7
	s_delay_alu instid0(VALU_DEP_3) | instskip(SKIP_1) | instid1(VALU_DEP_3)
	v_add_co_ci_u32_e32 v5, vcc_lo, v5, v9, vcc_lo
	v_xor_b32_e32 v7, v15, v17
	v_mul_hi_u32 v9, v11, v3
	s_delay_alu instid0(VALU_DEP_3) | instskip(NEXT) | instid1(VALU_DEP_3)
	v_mad_u64_u32 v[19:20], null, v11, v5, 0
	v_mad_u64_u32 v[21:22], null, v7, v3, 0
	v_mad_u64_u32 v[27:28], null, v7, v5, 0
	s_delay_alu instid0(VALU_DEP_3) | instskip(NEXT) | instid1(VALU_DEP_4)
	v_add_co_u32 v3, vcc_lo, v9, v19
	v_add_co_ci_u32_e32 v5, vcc_lo, 0, v20, vcc_lo
	s_delay_alu instid0(VALU_DEP_2) | instskip(NEXT) | instid1(VALU_DEP_2)
	v_add_co_u32 v3, vcc_lo, v3, v21
	v_add_co_ci_u32_e32 v3, vcc_lo, v5, v22, vcc_lo
	v_add_co_ci_u32_e32 v5, vcc_lo, 0, v28, vcc_lo
	s_delay_alu instid0(VALU_DEP_2) | instskip(NEXT) | instid1(VALU_DEP_2)
	v_add_co_u32 v3, vcc_lo, v3, v27
	v_add_co_ci_u32_e32 v5, vcc_lo, 0, v5, vcc_lo
	s_delay_alu instid0(VALU_DEP_2) | instskip(SKIP_1) | instid1(VALU_DEP_3)
	v_mul_lo_u32 v9, s23, v3
	v_mad_u64_u32 v[19:20], null, s22, v3, 0
	v_mul_lo_u32 v13, s22, v5
	s_delay_alu instid0(VALU_DEP_2) | instskip(NEXT) | instid1(VALU_DEP_2)
	v_sub_co_u32 v11, vcc_lo, v11, v19
	v_add3_u32 v9, v20, v13, v9
	s_delay_alu instid0(VALU_DEP_1) | instskip(NEXT) | instid1(VALU_DEP_1)
	v_sub_nc_u32_e32 v13, v7, v9
	v_subrev_co_ci_u32_e64 v13, s0, s23, v13, vcc_lo
	v_add_co_u32 v15, s0, v3, 2
	s_delay_alu instid0(VALU_DEP_1) | instskip(SKIP_3) | instid1(VALU_DEP_3)
	v_add_co_ci_u32_e64 v19, s0, 0, v5, s0
	v_sub_co_u32 v20, s0, v11, s22
	v_sub_co_ci_u32_e32 v7, vcc_lo, v7, v9, vcc_lo
	v_subrev_co_ci_u32_e64 v13, s0, 0, v13, s0
	v_cmp_le_u32_e32 vcc_lo, s22, v20
	s_delay_alu instid0(VALU_DEP_3) | instskip(SKIP_1) | instid1(VALU_DEP_4)
	v_cmp_eq_u32_e64 s0, s23, v7
	v_cndmask_b32_e64 v9, 0, -1, vcc_lo
	v_cmp_le_u32_e32 vcc_lo, s23, v13
	v_cndmask_b32_e64 v20, 0, -1, vcc_lo
	v_cmp_le_u32_e32 vcc_lo, s22, v11
	v_cndmask_b32_e64 v11, 0, -1, vcc_lo
	v_cmp_le_u32_e32 vcc_lo, s23, v7
	v_cndmask_b32_e64 v21, 0, -1, vcc_lo
	v_cmp_eq_u32_e32 vcc_lo, s23, v13
	s_delay_alu instid0(VALU_DEP_2) | instskip(SKIP_3) | instid1(VALU_DEP_3)
	v_cndmask_b32_e64 v7, v21, v11, s0
	v_cndmask_b32_e32 v9, v20, v9, vcc_lo
	v_add_co_u32 v13, vcc_lo, v3, 1
	v_add_co_ci_u32_e32 v20, vcc_lo, 0, v5, vcc_lo
	v_cmp_ne_u32_e32 vcc_lo, 0, v9
	s_delay_alu instid0(VALU_DEP_2) | instskip(NEXT) | instid1(VALU_DEP_4)
	v_cndmask_b32_e32 v9, v20, v19, vcc_lo
	v_cndmask_b32_e32 v11, v13, v15, vcc_lo
	v_cmp_ne_u32_e32 vcc_lo, 0, v7
	v_xor_b32_e32 v7, s20, v17
	s_delay_alu instid0(VALU_DEP_3) | instskip(SKIP_2) | instid1(VALU_DEP_3)
	v_cndmask_b32_e32 v3, v3, v11, vcc_lo
	v_cndmask_b32_e32 v5, v5, v9, vcc_lo
	v_xor_b32_e32 v9, s21, v17
	v_xor_b32_e32 v3, v3, v7
	s_delay_alu instid0(VALU_DEP_2) | instskip(NEXT) | instid1(VALU_DEP_2)
	v_xor_b32_e32 v5, v5, v9
	v_sub_co_u32 v20, vcc_lo, v3, v7
	s_delay_alu instid0(VALU_DEP_2)
	v_sub_co_ci_u32_e32 v21, vcc_lo, v5, v9, vcc_lo
.LBB72_50:                              ;   in Loop: Header=BB72_24 Depth=2
	s_and_not1_saveexec_b32 s0, s17
	s_cbranch_execz .LBB72_52
; %bb.51:                               ;   in Loop: Header=BB72_24 Depth=2
	v_cvt_f32_u32_e32 v3, s52
	s_sub_i32 s17, 0, s52
	v_mov_b32_e32 v21, v2
	s_delay_alu instid0(VALU_DEP_2) | instskip(SKIP_2) | instid1(VALU_DEP_1)
	v_rcp_iflag_f32_e32 v3, v3
	s_waitcnt_depctr 0xfff
	v_mul_f32_e32 v3, 0x4f7ffffe, v3
	v_cvt_u32_f32_e32 v3, v3
	s_delay_alu instid0(VALU_DEP_1) | instskip(NEXT) | instid1(VALU_DEP_1)
	v_mul_lo_u32 v5, s17, v3
	v_mul_hi_u32 v5, v3, v5
	s_delay_alu instid0(VALU_DEP_1) | instskip(NEXT) | instid1(VALU_DEP_1)
	v_add_nc_u32_e32 v3, v3, v5
	v_mul_hi_u32 v3, v18, v3
	s_delay_alu instid0(VALU_DEP_1) | instskip(SKIP_1) | instid1(VALU_DEP_2)
	v_mul_lo_u32 v5, v3, s52
	v_add_nc_u32_e32 v7, 1, v3
	v_sub_nc_u32_e32 v5, v18, v5
	s_delay_alu instid0(VALU_DEP_1) | instskip(SKIP_1) | instid1(VALU_DEP_4)
	v_cmp_le_u32_e32 vcc_lo, s52, v5
	v_subrev_nc_u32_e32 v9, s52, v5
	v_cndmask_b32_e32 v3, v3, v7, vcc_lo
	s_delay_alu instid0(VALU_DEP_1) | instskip(NEXT) | instid1(VALU_DEP_3)
	v_add_nc_u32_e32 v7, 1, v3
	v_cndmask_b32_e32 v5, v5, v9, vcc_lo
	s_delay_alu instid0(VALU_DEP_1) | instskip(NEXT) | instid1(VALU_DEP_3)
	v_cmp_le_u32_e32 vcc_lo, s52, v5
	v_cndmask_b32_e32 v20, v3, v7, vcc_lo
.LBB72_52:                              ;   in Loop: Header=BB72_24 Depth=2
	s_or_b32 exec_lo, exec_lo, s0
	s_mov_b32 s17, s15
	s_add_u32 s20, s30, s18
	s_addc_u32 s21, s1, s19
	s_lshl_b64 s[18:19], s[16:17], 2
                                        ; implicit-def: $vgpr22_vgpr23
	s_delay_alu instid0(SALU_CYCLE_1)
	s_add_u32 s22, s26, s18
	s_addc_u32 s23, s27, s19
	s_clause 0x1
	s_load_b32 s53, s[22:23], 0x0
	s_load_b32 s17, s[20:21], 0x0
	s_mov_b32 s20, exec_lo
	s_waitcnt lgkmcnt(0)
	s_ashr_i32 s0, s53, 31
	s_delay_alu instid0(SALU_CYCLE_1) | instskip(NEXT) | instid1(VALU_DEP_1)
	v_or_b32_e32 v3, s0, v21
	v_cmpx_ne_u64_e32 0, v[2:3]
	s_xor_b32 s54, exec_lo, s20
	s_cbranch_execz .LBB72_54
; %bb.53:                               ;   in Loop: Header=BB72_24 Depth=2
	s_add_u32 s22, s53, s0
	s_mov_b32 s20, s0
	s_mov_b32 s21, s0
	s_addc_u32 s23, s0, s0
	s_delay_alu instid0(SALU_CYCLE_1) | instskip(NEXT) | instid1(SALU_CYCLE_1)
	s_xor_b64 s[22:23], s[22:23], s[20:21]
	v_cvt_f32_u32_e32 v3, s22
	v_cvt_f32_u32_e32 v5, s23
	s_sub_u32 s0, 0, s22
	s_subb_u32 s55, 0, s23
	s_delay_alu instid0(VALU_DEP_1) | instskip(NEXT) | instid1(VALU_DEP_1)
	v_fmac_f32_e32 v3, 0x4f800000, v5
	v_rcp_f32_e32 v3, v3
	s_waitcnt_depctr 0xfff
	v_mul_f32_e32 v3, 0x5f7ffffc, v3
	s_delay_alu instid0(VALU_DEP_1) | instskip(NEXT) | instid1(VALU_DEP_1)
	v_mul_f32_e32 v5, 0x2f800000, v3
	v_trunc_f32_e32 v5, v5
	s_delay_alu instid0(VALU_DEP_1) | instskip(SKIP_1) | instid1(VALU_DEP_2)
	v_fmac_f32_e32 v3, 0xcf800000, v5
	v_cvt_u32_f32_e32 v5, v5
	v_cvt_u32_f32_e32 v3, v3
	s_delay_alu instid0(VALU_DEP_2) | instskip(NEXT) | instid1(VALU_DEP_2)
	v_mul_lo_u32 v7, s0, v5
	v_mul_hi_u32 v9, s0, v3
	v_mul_lo_u32 v11, s55, v3
	s_delay_alu instid0(VALU_DEP_2) | instskip(SKIP_1) | instid1(VALU_DEP_2)
	v_add_nc_u32_e32 v7, v9, v7
	v_mul_lo_u32 v9, s0, v3
	v_add_nc_u32_e32 v7, v7, v11
	s_delay_alu instid0(VALU_DEP_2) | instskip(NEXT) | instid1(VALU_DEP_2)
	v_mul_hi_u32 v11, v3, v9
	v_mul_lo_u32 v13, v3, v7
	v_mul_hi_u32 v15, v3, v7
	v_mul_hi_u32 v17, v5, v9
	v_mul_lo_u32 v9, v5, v9
	v_mul_hi_u32 v19, v5, v7
	v_mul_lo_u32 v7, v5, v7
	v_add_co_u32 v11, vcc_lo, v11, v13
	v_add_co_ci_u32_e32 v13, vcc_lo, 0, v15, vcc_lo
	s_delay_alu instid0(VALU_DEP_2) | instskip(NEXT) | instid1(VALU_DEP_2)
	v_add_co_u32 v9, vcc_lo, v11, v9
	v_add_co_ci_u32_e32 v9, vcc_lo, v13, v17, vcc_lo
	v_add_co_ci_u32_e32 v11, vcc_lo, 0, v19, vcc_lo
	v_ashrrev_i32_e32 v17, 31, v21
	s_delay_alu instid0(VALU_DEP_3) | instskip(NEXT) | instid1(VALU_DEP_3)
	v_add_co_u32 v7, vcc_lo, v9, v7
	v_add_co_ci_u32_e32 v9, vcc_lo, 0, v11, vcc_lo
	s_delay_alu instid0(VALU_DEP_2) | instskip(NEXT) | instid1(VALU_DEP_2)
	v_add_co_u32 v3, vcc_lo, v3, v7
	v_add_co_ci_u32_e32 v5, vcc_lo, v5, v9, vcc_lo
	s_delay_alu instid0(VALU_DEP_2) | instskip(SKIP_1) | instid1(VALU_DEP_3)
	v_mul_hi_u32 v7, s0, v3
	v_mul_lo_u32 v11, s55, v3
	v_mul_lo_u32 v9, s0, v5
	s_delay_alu instid0(VALU_DEP_1) | instskip(SKIP_1) | instid1(VALU_DEP_2)
	v_add_nc_u32_e32 v7, v7, v9
	v_mul_lo_u32 v9, s0, v3
	v_add_nc_u32_e32 v7, v7, v11
	s_delay_alu instid0(VALU_DEP_2) | instskip(NEXT) | instid1(VALU_DEP_2)
	v_mul_hi_u32 v11, v3, v9
	v_mul_lo_u32 v13, v3, v7
	v_mul_hi_u32 v15, v3, v7
	v_mul_hi_u32 v19, v5, v9
	v_mul_lo_u32 v9, v5, v9
	v_mul_hi_u32 v22, v5, v7
	v_mul_lo_u32 v7, v5, v7
	v_add_co_u32 v11, vcc_lo, v11, v13
	v_add_co_ci_u32_e32 v13, vcc_lo, 0, v15, vcc_lo
	s_delay_alu instid0(VALU_DEP_2) | instskip(NEXT) | instid1(VALU_DEP_2)
	v_add_co_u32 v9, vcc_lo, v11, v9
	v_add_co_ci_u32_e32 v9, vcc_lo, v13, v19, vcc_lo
	v_add_co_ci_u32_e32 v11, vcc_lo, 0, v22, vcc_lo
	v_add_co_u32 v13, vcc_lo, v20, v17
	v_add_co_ci_u32_e32 v15, vcc_lo, v21, v17, vcc_lo
	s_delay_alu instid0(VALU_DEP_4) | instskip(NEXT) | instid1(VALU_DEP_4)
	v_add_co_u32 v7, vcc_lo, v9, v7
	v_add_co_ci_u32_e32 v9, vcc_lo, 0, v11, vcc_lo
	s_delay_alu instid0(VALU_DEP_4) | instskip(NEXT) | instid1(VALU_DEP_3)
	v_xor_b32_e32 v11, v13, v17
	v_add_co_u32 v3, vcc_lo, v3, v7
	s_delay_alu instid0(VALU_DEP_3) | instskip(SKIP_1) | instid1(VALU_DEP_3)
	v_add_co_ci_u32_e32 v5, vcc_lo, v5, v9, vcc_lo
	v_xor_b32_e32 v7, v15, v17
	v_mul_hi_u32 v9, v11, v3
	s_delay_alu instid0(VALU_DEP_3) | instskip(NEXT) | instid1(VALU_DEP_3)
	v_mad_u64_u32 v[21:22], null, v11, v5, 0
	v_mad_u64_u32 v[27:28], null, v7, v3, 0
	;; [unrolled: 1-line block ×3, first 2 shown]
	s_delay_alu instid0(VALU_DEP_3) | instskip(NEXT) | instid1(VALU_DEP_4)
	v_add_co_u32 v3, vcc_lo, v9, v21
	v_add_co_ci_u32_e32 v5, vcc_lo, 0, v22, vcc_lo
	s_delay_alu instid0(VALU_DEP_2) | instskip(NEXT) | instid1(VALU_DEP_2)
	v_add_co_u32 v3, vcc_lo, v3, v27
	v_add_co_ci_u32_e32 v3, vcc_lo, v5, v28, vcc_lo
	v_add_co_ci_u32_e32 v5, vcc_lo, 0, v30, vcc_lo
	s_delay_alu instid0(VALU_DEP_2) | instskip(NEXT) | instid1(VALU_DEP_2)
	v_add_co_u32 v3, vcc_lo, v3, v29
	v_add_co_ci_u32_e32 v5, vcc_lo, 0, v5, vcc_lo
	s_delay_alu instid0(VALU_DEP_2) | instskip(SKIP_1) | instid1(VALU_DEP_3)
	v_mul_lo_u32 v9, s23, v3
	v_mad_u64_u32 v[21:22], null, s22, v3, 0
	v_mul_lo_u32 v13, s22, v5
	s_delay_alu instid0(VALU_DEP_2) | instskip(NEXT) | instid1(VALU_DEP_2)
	v_sub_co_u32 v11, vcc_lo, v11, v21
	v_add3_u32 v9, v22, v13, v9
	s_delay_alu instid0(VALU_DEP_1) | instskip(NEXT) | instid1(VALU_DEP_1)
	v_sub_nc_u32_e32 v13, v7, v9
	v_subrev_co_ci_u32_e64 v13, s0, s23, v13, vcc_lo
	v_add_co_u32 v15, s0, v3, 2
	s_delay_alu instid0(VALU_DEP_1) | instskip(SKIP_3) | instid1(VALU_DEP_3)
	v_add_co_ci_u32_e64 v19, s0, 0, v5, s0
	v_sub_co_u32 v21, s0, v11, s22
	v_sub_co_ci_u32_e32 v7, vcc_lo, v7, v9, vcc_lo
	v_subrev_co_ci_u32_e64 v13, s0, 0, v13, s0
	v_cmp_le_u32_e32 vcc_lo, s22, v21
	s_delay_alu instid0(VALU_DEP_3) | instskip(SKIP_1) | instid1(VALU_DEP_4)
	v_cmp_eq_u32_e64 s0, s23, v7
	v_cndmask_b32_e64 v9, 0, -1, vcc_lo
	v_cmp_le_u32_e32 vcc_lo, s23, v13
	v_cndmask_b32_e64 v21, 0, -1, vcc_lo
	v_cmp_le_u32_e32 vcc_lo, s22, v11
	;; [unrolled: 2-line block ×3, first 2 shown]
	v_cndmask_b32_e64 v22, 0, -1, vcc_lo
	v_cmp_eq_u32_e32 vcc_lo, s23, v13
	s_delay_alu instid0(VALU_DEP_2) | instskip(SKIP_3) | instid1(VALU_DEP_3)
	v_cndmask_b32_e64 v7, v22, v11, s0
	v_cndmask_b32_e32 v9, v21, v9, vcc_lo
	v_add_co_u32 v13, vcc_lo, v3, 1
	v_add_co_ci_u32_e32 v21, vcc_lo, 0, v5, vcc_lo
	v_cmp_ne_u32_e32 vcc_lo, 0, v9
	s_delay_alu instid0(VALU_DEP_2) | instskip(NEXT) | instid1(VALU_DEP_4)
	v_cndmask_b32_e32 v9, v21, v19, vcc_lo
	v_cndmask_b32_e32 v11, v13, v15, vcc_lo
	v_cmp_ne_u32_e32 vcc_lo, 0, v7
	v_xor_b32_e32 v7, s20, v17
	s_delay_alu instid0(VALU_DEP_3) | instskip(SKIP_2) | instid1(VALU_DEP_3)
	v_cndmask_b32_e32 v3, v3, v11, vcc_lo
	v_cndmask_b32_e32 v5, v5, v9, vcc_lo
	v_xor_b32_e32 v9, s21, v17
	v_xor_b32_e32 v3, v3, v7
	s_delay_alu instid0(VALU_DEP_2) | instskip(NEXT) | instid1(VALU_DEP_2)
	v_xor_b32_e32 v5, v5, v9
	v_sub_co_u32 v22, vcc_lo, v3, v7
	s_delay_alu instid0(VALU_DEP_2)
	v_sub_co_ci_u32_e32 v23, vcc_lo, v5, v9, vcc_lo
.LBB72_54:                              ;   in Loop: Header=BB72_24 Depth=2
	s_and_not1_saveexec_b32 s0, s54
	s_cbranch_execz .LBB72_56
; %bb.55:                               ;   in Loop: Header=BB72_24 Depth=2
	v_cvt_f32_u32_e32 v3, s53
	s_sub_i32 s20, 0, s53
	v_mov_b32_e32 v23, v2
	s_delay_alu instid0(VALU_DEP_2) | instskip(SKIP_2) | instid1(VALU_DEP_1)
	v_rcp_iflag_f32_e32 v3, v3
	s_waitcnt_depctr 0xfff
	v_mul_f32_e32 v3, 0x4f7ffffe, v3
	v_cvt_u32_f32_e32 v3, v3
	s_delay_alu instid0(VALU_DEP_1) | instskip(NEXT) | instid1(VALU_DEP_1)
	v_mul_lo_u32 v5, s20, v3
	v_mul_hi_u32 v5, v3, v5
	s_delay_alu instid0(VALU_DEP_1) | instskip(NEXT) | instid1(VALU_DEP_1)
	v_add_nc_u32_e32 v3, v3, v5
	v_mul_hi_u32 v3, v20, v3
	s_delay_alu instid0(VALU_DEP_1) | instskip(SKIP_1) | instid1(VALU_DEP_2)
	v_mul_lo_u32 v5, v3, s53
	v_add_nc_u32_e32 v7, 1, v3
	v_sub_nc_u32_e32 v5, v20, v5
	s_delay_alu instid0(VALU_DEP_1) | instskip(SKIP_1) | instid1(VALU_DEP_4)
	v_cmp_le_u32_e32 vcc_lo, s53, v5
	v_subrev_nc_u32_e32 v9, s53, v5
	v_cndmask_b32_e32 v3, v3, v7, vcc_lo
	s_delay_alu instid0(VALU_DEP_1) | instskip(NEXT) | instid1(VALU_DEP_3)
	v_add_nc_u32_e32 v7, 1, v3
	v_cndmask_b32_e32 v5, v5, v9, vcc_lo
	s_delay_alu instid0(VALU_DEP_1) | instskip(NEXT) | instid1(VALU_DEP_3)
	v_cmp_le_u32_e32 vcc_lo, s53, v5
	v_cndmask_b32_e32 v22, v3, v7, vcc_lo
.LBB72_56:                              ;   in Loop: Header=BB72_24 Depth=2
	s_or_b32 exec_lo, exec_lo, s0
	v_mul_lo_u32 v3, v8, s41
	v_mul_lo_u32 v5, v10, s43
	;; [unrolled: 1-line block ×4, first 2 shown]
	s_add_u32 s18, s30, s18
	s_addc_u32 s19, s1, s19
	v_mul_lo_u32 v11, v16, s49
	s_load_b32 s0, s[18:19], 0x0
	v_sub_nc_u32_e32 v3, v6, v3
	v_sub_nc_u32_e32 v5, v8, v5
	v_mul_lo_u32 v6, v18, s51
	v_sub_nc_u32_e32 v7, v10, v7
	v_sub_nc_u32_e32 v9, v12, v9
	v_mul_lo_u32 v3, s42, v3
	v_mul_lo_u32 v5, s44, v5
	;; [unrolled: 1-line block ×4, first 2 shown]
	v_sub_nc_u32_e32 v11, v14, v11
	v_sub_nc_u32_e32 v6, v16, v6
	v_mul_lo_u32 v7, s46, v7
	v_mul_lo_u32 v9, s48, v9
	s_add_i32 s16, s16, -8
	v_add3_u32 v3, v3, v4, v5
	v_mul_lo_u32 v4, s50, v11
	v_sub_nc_u32_e32 v5, v18, v8
	v_sub_nc_u32_e32 v8, v20, v10
	v_mul_lo_u32 v6, s14, v6
	s_cmp_eq_u32 s16, -8
	v_add3_u32 v3, v7, v3, v9
	v_mul_lo_u32 v5, s17, v5
	s_waitcnt lgkmcnt(0)
	v_mul_lo_u32 v7, s0, v8
	s_delay_alu instid0(VALU_DEP_3) | instskip(NEXT) | instid1(VALU_DEP_1)
	v_add3_u32 v3, v4, v3, v6
	v_add3_u32 v4, v5, v3, v7
	s_cbranch_scc1 .LBB72_58
; %bb.57:                               ;   in Loop: Header=BB72_24 Depth=2
	v_dual_mov_b32 v6, v22 :: v_dual_mov_b32 v7, v23
	s_branch .LBB72_24
.LBB72_58:                              ;   in Loop: Header=BB72_3 Depth=1
	s_load_b32 s0, s[12:13], 0x0
	s_waitcnt lgkmcnt(0)
	v_cmp_gt_i32_e32 vcc_lo, s0, v26
	s_and_b32 exec_lo, exec_lo, vcc_lo
	s_cbranch_execz .LBB72_2
; %bb.59:                               ;   in Loop: Header=BB72_3 Depth=1
	s_delay_alu instid0(VALU_DEP_2) | instskip(SKIP_1) | instid1(VALU_DEP_2)
	v_ashrrev_i32_e32 v5, 31, v4
	v_mov_b32_e32 v3, v2
	v_lshlrev_b64 v[6:7], 3, v[4:5]
	v_add_nc_u32_e32 v5, 1, v26
	s_delay_alu instid0(VALU_DEP_2) | instskip(NEXT) | instid1(VALU_DEP_3)
	v_add_co_u32 v6, vcc_lo, s2, v6
	v_add_co_ci_u32_e32 v7, vcc_lo, s3, v7, vcc_lo
	s_delay_alu instid0(VALU_DEP_3)
	v_cmp_gt_i32_e32 vcc_lo, s0, v5
	global_store_b64 v[6:7], v[2:3], off
	s_and_b32 exec_lo, exec_lo, vcc_lo
	s_cbranch_execz .LBB72_2
; %bb.60:                               ;   in Loop: Header=BB72_3 Depth=1
	v_sub_nc_u32_e32 v5, v5, v25
	s_delay_alu instid0(VALU_DEP_1) | instskip(NEXT) | instid1(VALU_DEP_1)
	v_ashrrev_i32_e32 v6, 31, v5
	v_cmp_gt_i64_e32 vcc_lo, s[4:5], v[5:6]
	s_and_b32 exec_lo, exec_lo, vcc_lo
	s_cbranch_execz .LBB72_2
; %bb.61:                               ;   in Loop: Header=BB72_3 Depth=1
	v_add_nc_u32_e32 v3, s40, v4
	s_delay_alu instid0(VALU_DEP_1) | instskip(NEXT) | instid1(VALU_DEP_1)
	v_ashrrev_i32_e32 v4, 31, v3
	v_lshlrev_b64 v[3:4], 3, v[3:4]
	s_delay_alu instid0(VALU_DEP_1) | instskip(NEXT) | instid1(VALU_DEP_2)
	v_add_co_u32 v5, vcc_lo, s2, v3
	v_add_co_ci_u32_e32 v6, vcc_lo, s3, v4, vcc_lo
	v_mov_b32_e32 v3, v2
	global_store_b64 v[5:6], v[2:3], off
	s_branch .LBB72_2
.LBB72_62:
	s_nop 0
	s_sendmsg sendmsg(MSG_DEALLOC_VGPRS)
	s_endpgm
	.section	.rodata,"a",@progbits
	.p2align	6, 0x0
	.amdhsa_kernel _ZN2at6native16triu_tril_kernelIdiLb1ELi2ELb1EEEvNS_4cuda6detail10TensorInfoIT_T0_EENS4_IKS5_S6_EEllS6_
		.amdhsa_group_segment_fixed_size 0
		.amdhsa_private_segment_fixed_size 0
		.amdhsa_kernarg_size 712
		.amdhsa_user_sgpr_count 15
		.amdhsa_user_sgpr_dispatch_ptr 0
		.amdhsa_user_sgpr_queue_ptr 0
		.amdhsa_user_sgpr_kernarg_segment_ptr 1
		.amdhsa_user_sgpr_dispatch_id 0
		.amdhsa_user_sgpr_private_segment_size 0
		.amdhsa_wavefront_size32 1
		.amdhsa_uses_dynamic_stack 0
		.amdhsa_enable_private_segment 0
		.amdhsa_system_sgpr_workgroup_id_x 1
		.amdhsa_system_sgpr_workgroup_id_y 0
		.amdhsa_system_sgpr_workgroup_id_z 0
		.amdhsa_system_sgpr_workgroup_info 0
		.amdhsa_system_vgpr_workitem_id 0
		.amdhsa_next_free_vgpr 31
		.amdhsa_next_free_sgpr 56
		.amdhsa_reserve_vcc 1
		.amdhsa_float_round_mode_32 0
		.amdhsa_float_round_mode_16_64 0
		.amdhsa_float_denorm_mode_32 3
		.amdhsa_float_denorm_mode_16_64 3
		.amdhsa_dx10_clamp 1
		.amdhsa_ieee_mode 1
		.amdhsa_fp16_overflow 0
		.amdhsa_workgroup_processor_mode 1
		.amdhsa_memory_ordered 1
		.amdhsa_forward_progress 0
		.amdhsa_shared_vgpr_count 0
		.amdhsa_exception_fp_ieee_invalid_op 0
		.amdhsa_exception_fp_denorm_src 0
		.amdhsa_exception_fp_ieee_div_zero 0
		.amdhsa_exception_fp_ieee_overflow 0
		.amdhsa_exception_fp_ieee_underflow 0
		.amdhsa_exception_fp_ieee_inexact 0
		.amdhsa_exception_int_div_zero 0
	.end_amdhsa_kernel
	.section	.text._ZN2at6native16triu_tril_kernelIdiLb1ELi2ELb1EEEvNS_4cuda6detail10TensorInfoIT_T0_EENS4_IKS5_S6_EEllS6_,"axG",@progbits,_ZN2at6native16triu_tril_kernelIdiLb1ELi2ELb1EEEvNS_4cuda6detail10TensorInfoIT_T0_EENS4_IKS5_S6_EEllS6_,comdat
.Lfunc_end72:
	.size	_ZN2at6native16triu_tril_kernelIdiLb1ELi2ELb1EEEvNS_4cuda6detail10TensorInfoIT_T0_EENS4_IKS5_S6_EEllS6_, .Lfunc_end72-_ZN2at6native16triu_tril_kernelIdiLb1ELi2ELb1EEEvNS_4cuda6detail10TensorInfoIT_T0_EENS4_IKS5_S6_EEllS6_
                                        ; -- End function
	.section	.AMDGPU.csdata,"",@progbits
; Kernel info:
; codeLenInByte = 12388
; NumSgprs: 58
; NumVgprs: 31
; ScratchSize: 0
; MemoryBound: 0
; FloatMode: 240
; IeeeMode: 1
; LDSByteSize: 0 bytes/workgroup (compile time only)
; SGPRBlocks: 7
; VGPRBlocks: 3
; NumSGPRsForWavesPerEU: 58
; NumVGPRsForWavesPerEU: 31
; Occupancy: 16
; WaveLimiterHint : 0
; COMPUTE_PGM_RSRC2:SCRATCH_EN: 0
; COMPUTE_PGM_RSRC2:USER_SGPR: 15
; COMPUTE_PGM_RSRC2:TRAP_HANDLER: 0
; COMPUTE_PGM_RSRC2:TGID_X_EN: 1
; COMPUTE_PGM_RSRC2:TGID_Y_EN: 0
; COMPUTE_PGM_RSRC2:TGID_Z_EN: 0
; COMPUTE_PGM_RSRC2:TIDIG_COMP_CNT: 0
	.section	.text._ZN2at6native16triu_tril_kernelIdiLb1ELi2ELb0EEEvNS_4cuda6detail10TensorInfoIT_T0_EENS4_IKS5_S6_EEllS6_,"axG",@progbits,_ZN2at6native16triu_tril_kernelIdiLb1ELi2ELb0EEEvNS_4cuda6detail10TensorInfoIT_T0_EENS4_IKS5_S6_EEllS6_,comdat
	.protected	_ZN2at6native16triu_tril_kernelIdiLb1ELi2ELb0EEEvNS_4cuda6detail10TensorInfoIT_T0_EENS4_IKS5_S6_EEllS6_ ; -- Begin function _ZN2at6native16triu_tril_kernelIdiLb1ELi2ELb0EEEvNS_4cuda6detail10TensorInfoIT_T0_EENS4_IKS5_S6_EEllS6_
	.globl	_ZN2at6native16triu_tril_kernelIdiLb1ELi2ELb0EEEvNS_4cuda6detail10TensorInfoIT_T0_EENS4_IKS5_S6_EEllS6_
	.p2align	8
	.type	_ZN2at6native16triu_tril_kernelIdiLb1ELi2ELb0EEEvNS_4cuda6detail10TensorInfoIT_T0_EENS4_IKS5_S6_EEllS6_,@function
_ZN2at6native16triu_tril_kernelIdiLb1ELi2ELb0EEEvNS_4cuda6detail10TensorInfoIT_T0_EENS4_IKS5_S6_EEllS6_: ; @_ZN2at6native16triu_tril_kernelIdiLb1ELi2ELb0EEEvNS_4cuda6detail10TensorInfoIT_T0_EENS4_IKS5_S6_EEllS6_
; %bb.0:
	s_clause 0x1
	s_load_b32 s2, s[0:1], 0x1d4
	s_load_b128 s[4:7], s[0:1], 0x1b0
	v_mov_b32_e32 v2, 0
	s_add_u32 s8, s0, 0x1c8
	s_addc_u32 s9, s1, 0
	s_delay_alu instid0(VALU_DEP_1) | instskip(SKIP_3) | instid1(VALU_DEP_1)
	v_mov_b32_e32 v1, v2
	s_waitcnt lgkmcnt(0)
	s_and_b32 s10, s2, 0xffff
	s_mov_b32 s2, exec_lo
	v_mad_u64_u32 v[3:4], null, s10, s15, v[0:1]
	s_delay_alu instid0(VALU_DEP_1) | instskip(NEXT) | instid1(VALU_DEP_1)
	v_lshlrev_b64 v[0:1], 1, v[3:4]
	v_cmpx_gt_i64_e64 s[6:7], v[0:1]
	s_cbranch_execz .LBB73_49
; %bb.1:
	s_clause 0x1
	s_load_b32 s16, s[0:1], 0x1a8
	s_load_b32 s30, s[0:1], 0x1c0
	s_add_u32 s31, s0, 0xd8
	s_addc_u32 s33, s1, 0
	s_load_b32 s11, s[8:9], 0x0
	s_load_b64 s[2:3], s[0:1], 0xd8
	s_waitcnt lgkmcnt(0)
	s_ashr_i32 s17, s16, 31
	s_ashr_i32 s34, s30, 31
	s_lshl_b64 s[8:9], s[16:17], 2
	v_cvt_f32_u32_e32 v3, s30
	s_add_u32 s14, s8, -8
	s_addc_u32 s15, s9, -1
	s_add_u32 s12, s31, s14
	s_addc_u32 s13, s33, s15
	v_rcp_iflag_f32_e32 v3, v3
	s_load_b64 s[8:9], s[12:13], 0x8
	s_mul_i32 s18, s11, s10
	s_load_b64 s[10:11], s[12:13], 0x6c
	s_waitcnt_depctr 0xfff
	v_mul_f32_e32 v3, 0x4f7ffffe, v3
	s_delay_alu instid0(VALU_DEP_1)
	v_cvt_u32_f32_e32 v3, v3
	s_waitcnt lgkmcnt(0)
	s_ashr_i32 s35, s8, 31
	s_add_u32 s36, s0, 0x6c
	s_addc_u32 s37, s1, 0
	s_add_u32 s12, s36, s14
	s_addc_u32 s13, s37, s15
	s_and_b32 s39, s16, 3
	s_add_i32 s38, s16, -3
	s_lshl_b32 s40, s18, 1
	s_cmp_lg_u32 s39, 2
	s_load_b64 s[12:13], s[12:13], 0x0
	s_cselect_b32 s41, -1, 0
	s_cmp_gt_u32 s38, 2
	s_mov_b32 s18, s11
	s_cselect_b32 s42, -1, 0
	s_sub_i32 s14, 0, s30
	s_ashr_i32 s19, s11, 31
	v_mul_lo_u32 v4, s14, v3
	s_load_b64 s[14:15], s[0:1], 0x0
	v_cmp_gt_i64_e64 s1, s[16:17], 2
	s_mov_b32 s17, 0
	s_mov_b32 s11, 0
	s_delay_alu instid0(VALU_DEP_2) | instskip(SKIP_3) | instid1(VALU_DEP_1)
	v_mul_hi_u32 v4, v3, v4
	s_waitcnt lgkmcnt(0)
	s_ashr_i32 s21, s13, 31
	s_mov_b32 s20, s13
	v_add_nc_u32_e32 v18, v3, v4
	s_branch .LBB73_3
.LBB73_2:                               ;   in Loop: Header=BB73_3 Depth=1
	s_or_b32 exec_lo, exec_lo, s0
	v_add_co_u32 v0, vcc_lo, v0, s40
	v_add_co_ci_u32_e32 v1, vcc_lo, 0, v1, vcc_lo
	s_delay_alu instid0(VALU_DEP_1) | instskip(SKIP_1) | instid1(SALU_CYCLE_1)
	v_cmp_le_i64_e32 vcc_lo, s[6:7], v[0:1]
	s_or_b32 s11, vcc_lo, s11
	s_and_not1_b32 exec_lo, exec_lo, s11
	s_cbranch_execz .LBB73_49
.LBB73_3:                               ; =>This Loop Header: Depth=1
                                        ;     Child Loop BB73_14 Depth 2
                                        ;     Child Loop BB73_22 Depth 2
	v_or_b32_e32 v3, s34, v1
                                        ; implicit-def: $vgpr4_vgpr5
	s_mov_b32 s0, exec_lo
	s_delay_alu instid0(VALU_DEP_1)
	v_cmpx_ne_u64_e32 0, v[2:3]
	s_xor_b32 s13, exec_lo, s0
	s_cbranch_execz .LBB73_5
; %bb.4:                                ;   in Loop: Header=BB73_3 Depth=1
	s_add_u32 s24, s30, s34
	s_mov_b32 s22, s34
	s_mov_b32 s23, s34
	s_addc_u32 s25, s34, s34
	s_delay_alu instid0(SALU_CYCLE_1) | instskip(NEXT) | instid1(SALU_CYCLE_1)
	s_xor_b64 s[24:25], s[24:25], s[22:23]
	v_cvt_f32_u32_e32 v3, s24
	v_cvt_f32_u32_e32 v4, s25
	s_sub_u32 s0, 0, s24
	s_subb_u32 s16, 0, s25
	s_delay_alu instid0(VALU_DEP_1) | instskip(NEXT) | instid1(VALU_DEP_1)
	v_fmac_f32_e32 v3, 0x4f800000, v4
	v_rcp_f32_e32 v3, v3
	s_waitcnt_depctr 0xfff
	v_mul_f32_e32 v3, 0x5f7ffffc, v3
	s_delay_alu instid0(VALU_DEP_1) | instskip(NEXT) | instid1(VALU_DEP_1)
	v_mul_f32_e32 v4, 0x2f800000, v3
	v_trunc_f32_e32 v4, v4
	s_delay_alu instid0(VALU_DEP_1) | instskip(SKIP_1) | instid1(VALU_DEP_2)
	v_fmac_f32_e32 v3, 0xcf800000, v4
	v_cvt_u32_f32_e32 v4, v4
	v_cvt_u32_f32_e32 v3, v3
	s_delay_alu instid0(VALU_DEP_2) | instskip(NEXT) | instid1(VALU_DEP_2)
	v_mul_lo_u32 v5, s0, v4
	v_mul_hi_u32 v6, s0, v3
	v_mul_lo_u32 v7, s16, v3
	s_delay_alu instid0(VALU_DEP_2) | instskip(SKIP_1) | instid1(VALU_DEP_2)
	v_add_nc_u32_e32 v5, v6, v5
	v_mul_lo_u32 v6, s0, v3
	v_add_nc_u32_e32 v5, v5, v7
	s_delay_alu instid0(VALU_DEP_2) | instskip(NEXT) | instid1(VALU_DEP_2)
	v_mul_hi_u32 v7, v3, v6
	v_mul_lo_u32 v8, v3, v5
	v_mul_hi_u32 v9, v3, v5
	v_mul_hi_u32 v10, v4, v6
	v_mul_lo_u32 v6, v4, v6
	v_mul_hi_u32 v11, v4, v5
	v_mul_lo_u32 v5, v4, v5
	v_add_co_u32 v7, vcc_lo, v7, v8
	v_add_co_ci_u32_e32 v8, vcc_lo, 0, v9, vcc_lo
	s_delay_alu instid0(VALU_DEP_2) | instskip(NEXT) | instid1(VALU_DEP_2)
	v_add_co_u32 v6, vcc_lo, v7, v6
	v_add_co_ci_u32_e32 v6, vcc_lo, v8, v10, vcc_lo
	v_add_co_ci_u32_e32 v7, vcc_lo, 0, v11, vcc_lo
	v_ashrrev_i32_e32 v10, 31, v1
	s_delay_alu instid0(VALU_DEP_3) | instskip(NEXT) | instid1(VALU_DEP_3)
	v_add_co_u32 v5, vcc_lo, v6, v5
	v_add_co_ci_u32_e32 v6, vcc_lo, 0, v7, vcc_lo
	s_delay_alu instid0(VALU_DEP_2) | instskip(NEXT) | instid1(VALU_DEP_2)
	v_add_co_u32 v3, vcc_lo, v3, v5
	v_add_co_ci_u32_e32 v4, vcc_lo, v4, v6, vcc_lo
	s_delay_alu instid0(VALU_DEP_2) | instskip(SKIP_1) | instid1(VALU_DEP_3)
	v_mul_hi_u32 v5, s0, v3
	v_mul_lo_u32 v7, s16, v3
	v_mul_lo_u32 v6, s0, v4
	s_delay_alu instid0(VALU_DEP_1) | instskip(SKIP_1) | instid1(VALU_DEP_2)
	v_add_nc_u32_e32 v5, v5, v6
	v_mul_lo_u32 v6, s0, v3
	v_add_nc_u32_e32 v5, v5, v7
	s_delay_alu instid0(VALU_DEP_2) | instskip(NEXT) | instid1(VALU_DEP_2)
	v_mul_hi_u32 v7, v3, v6
	v_mul_lo_u32 v8, v3, v5
	v_mul_hi_u32 v9, v3, v5
	v_mul_hi_u32 v11, v4, v6
	v_mul_lo_u32 v6, v4, v6
	v_mul_hi_u32 v12, v4, v5
	v_mul_lo_u32 v5, v4, v5
	v_add_co_u32 v7, vcc_lo, v7, v8
	v_add_co_ci_u32_e32 v8, vcc_lo, 0, v9, vcc_lo
	s_delay_alu instid0(VALU_DEP_2) | instskip(NEXT) | instid1(VALU_DEP_2)
	v_add_co_u32 v6, vcc_lo, v7, v6
	v_add_co_ci_u32_e32 v6, vcc_lo, v8, v11, vcc_lo
	v_add_co_ci_u32_e32 v7, vcc_lo, 0, v12, vcc_lo
	v_add_co_u32 v8, vcc_lo, v0, v10
	v_add_co_ci_u32_e32 v9, vcc_lo, v1, v10, vcc_lo
	s_delay_alu instid0(VALU_DEP_4) | instskip(NEXT) | instid1(VALU_DEP_4)
	v_add_co_u32 v5, vcc_lo, v6, v5
	v_add_co_ci_u32_e32 v6, vcc_lo, 0, v7, vcc_lo
	s_delay_alu instid0(VALU_DEP_4) | instskip(NEXT) | instid1(VALU_DEP_3)
	v_xor_b32_e32 v11, v8, v10
	v_add_co_u32 v7, vcc_lo, v3, v5
	s_delay_alu instid0(VALU_DEP_3) | instskip(SKIP_1) | instid1(VALU_DEP_3)
	v_add_co_ci_u32_e32 v12, vcc_lo, v4, v6, vcc_lo
	v_xor_b32_e32 v9, v9, v10
	v_mul_hi_u32 v13, v11, v7
	s_delay_alu instid0(VALU_DEP_3) | instskip(NEXT) | instid1(VALU_DEP_3)
	v_mad_u64_u32 v[3:4], null, v11, v12, 0
	v_mad_u64_u32 v[5:6], null, v9, v7, 0
	;; [unrolled: 1-line block ×3, first 2 shown]
	s_delay_alu instid0(VALU_DEP_3) | instskip(NEXT) | instid1(VALU_DEP_4)
	v_add_co_u32 v3, vcc_lo, v13, v3
	v_add_co_ci_u32_e32 v4, vcc_lo, 0, v4, vcc_lo
	s_delay_alu instid0(VALU_DEP_2) | instskip(NEXT) | instid1(VALU_DEP_2)
	v_add_co_u32 v3, vcc_lo, v3, v5
	v_add_co_ci_u32_e32 v3, vcc_lo, v4, v6, vcc_lo
	v_add_co_ci_u32_e32 v4, vcc_lo, 0, v8, vcc_lo
	s_delay_alu instid0(VALU_DEP_2) | instskip(NEXT) | instid1(VALU_DEP_2)
	v_add_co_u32 v5, vcc_lo, v3, v7
	v_add_co_ci_u32_e32 v6, vcc_lo, 0, v4, vcc_lo
	s_delay_alu instid0(VALU_DEP_2) | instskip(SKIP_1) | instid1(VALU_DEP_3)
	v_mul_lo_u32 v7, s25, v5
	v_mad_u64_u32 v[3:4], null, s24, v5, 0
	v_mul_lo_u32 v8, s24, v6
	s_delay_alu instid0(VALU_DEP_2) | instskip(NEXT) | instid1(VALU_DEP_2)
	v_sub_co_u32 v3, vcc_lo, v11, v3
	v_add3_u32 v4, v4, v8, v7
	s_delay_alu instid0(VALU_DEP_1) | instskip(NEXT) | instid1(VALU_DEP_1)
	v_sub_nc_u32_e32 v7, v9, v4
	v_subrev_co_ci_u32_e64 v7, s0, s25, v7, vcc_lo
	v_add_co_u32 v8, s0, v5, 2
	s_delay_alu instid0(VALU_DEP_1) | instskip(SKIP_3) | instid1(VALU_DEP_3)
	v_add_co_ci_u32_e64 v11, s0, 0, v6, s0
	v_sub_co_u32 v12, s0, v3, s24
	v_sub_co_ci_u32_e32 v4, vcc_lo, v9, v4, vcc_lo
	v_subrev_co_ci_u32_e64 v7, s0, 0, v7, s0
	v_cmp_le_u32_e32 vcc_lo, s24, v12
	s_delay_alu instid0(VALU_DEP_3) | instskip(SKIP_1) | instid1(VALU_DEP_4)
	v_cmp_eq_u32_e64 s0, s25, v4
	v_cndmask_b32_e64 v9, 0, -1, vcc_lo
	v_cmp_le_u32_e32 vcc_lo, s25, v7
	v_cndmask_b32_e64 v12, 0, -1, vcc_lo
	v_cmp_le_u32_e32 vcc_lo, s24, v3
	;; [unrolled: 2-line block ×3, first 2 shown]
	v_cndmask_b32_e64 v13, 0, -1, vcc_lo
	v_cmp_eq_u32_e32 vcc_lo, s25, v7
	s_delay_alu instid0(VALU_DEP_2) | instskip(SKIP_3) | instid1(VALU_DEP_3)
	v_cndmask_b32_e64 v3, v13, v3, s0
	v_cndmask_b32_e32 v7, v12, v9, vcc_lo
	v_add_co_u32 v9, vcc_lo, v5, 1
	v_add_co_ci_u32_e32 v12, vcc_lo, 0, v6, vcc_lo
	v_cmp_ne_u32_e32 vcc_lo, 0, v7
	s_delay_alu instid0(VALU_DEP_2) | instskip(SKIP_2) | instid1(VALU_DEP_3)
	v_dual_cndmask_b32 v4, v12, v11 :: v_dual_cndmask_b32 v7, v9, v8
	v_cmp_ne_u32_e32 vcc_lo, 0, v3
	v_xor_b32_e32 v3, s22, v10
	v_dual_cndmask_b32 v5, v5, v7 :: v_dual_cndmask_b32 v4, v6, v4
	v_xor_b32_e32 v6, s23, v10
	s_delay_alu instid0(VALU_DEP_2) | instskip(NEXT) | instid1(VALU_DEP_2)
	v_xor_b32_e32 v5, v5, v3
	v_xor_b32_e32 v7, v4, v6
	s_delay_alu instid0(VALU_DEP_2) | instskip(NEXT) | instid1(VALU_DEP_2)
	v_sub_co_u32 v4, vcc_lo, v5, v3
	v_sub_co_ci_u32_e32 v5, vcc_lo, v7, v6, vcc_lo
.LBB73_5:                               ;   in Loop: Header=BB73_3 Depth=1
	s_and_not1_saveexec_b32 s0, s13
; %bb.6:                                ;   in Loop: Header=BB73_3 Depth=1
	v_mul_hi_u32 v3, v0, v18
	s_delay_alu instid0(VALU_DEP_1) | instskip(NEXT) | instid1(VALU_DEP_1)
	v_mul_lo_u32 v4, v3, s30
	v_sub_nc_u32_e32 v4, v0, v4
	s_delay_alu instid0(VALU_DEP_1) | instskip(SKIP_1) | instid1(VALU_DEP_2)
	v_subrev_nc_u32_e32 v6, s30, v4
	v_cmp_le_u32_e32 vcc_lo, s30, v4
	v_dual_cndmask_b32 v4, v4, v6 :: v_dual_add_nc_u32 v5, 1, v3
	s_delay_alu instid0(VALU_DEP_1) | instskip(NEXT) | instid1(VALU_DEP_2)
	v_cndmask_b32_e32 v3, v3, v5, vcc_lo
	v_cmp_le_u32_e32 vcc_lo, s30, v4
	s_delay_alu instid0(VALU_DEP_2) | instskip(NEXT) | instid1(VALU_DEP_1)
	v_add_nc_u32_e32 v5, 1, v3
	v_dual_cndmask_b32 v4, v3, v5 :: v_dual_mov_b32 v5, v2
; %bb.7:                                ;   in Loop: Header=BB73_3 Depth=1
	s_or_b32 exec_lo, exec_lo, s0
	s_delay_alu instid0(VALU_DEP_1) | instskip(SKIP_1) | instid1(VALU_DEP_1)
	v_or_b32_e32 v3, s35, v5
                                        ; implicit-def: $vgpr8_vgpr9
	s_mov_b32 s0, exec_lo
	v_cmpx_ne_u64_e32 0, v[2:3]
	s_xor_b32 s13, exec_lo, s0
	s_cbranch_execz .LBB73_9
; %bb.8:                                ;   in Loop: Header=BB73_3 Depth=1
	s_add_u32 s24, s8, s35
	s_mov_b32 s22, s35
	s_mov_b32 s23, s35
	s_addc_u32 s25, s35, s35
	s_delay_alu instid0(SALU_CYCLE_1) | instskip(NEXT) | instid1(SALU_CYCLE_1)
	s_xor_b64 s[24:25], s[24:25], s[22:23]
	v_cvt_f32_u32_e32 v3, s24
	v_cvt_f32_u32_e32 v6, s25
	s_sub_u32 s0, 0, s24
	s_subb_u32 s16, 0, s25
	s_delay_alu instid0(VALU_DEP_1) | instskip(NEXT) | instid1(VALU_DEP_1)
	v_fmac_f32_e32 v3, 0x4f800000, v6
	v_rcp_f32_e32 v3, v3
	s_waitcnt_depctr 0xfff
	v_mul_f32_e32 v3, 0x5f7ffffc, v3
	s_delay_alu instid0(VALU_DEP_1) | instskip(NEXT) | instid1(VALU_DEP_1)
	v_mul_f32_e32 v6, 0x2f800000, v3
	v_trunc_f32_e32 v6, v6
	s_delay_alu instid0(VALU_DEP_1) | instskip(SKIP_1) | instid1(VALU_DEP_2)
	v_fmac_f32_e32 v3, 0xcf800000, v6
	v_cvt_u32_f32_e32 v6, v6
	v_cvt_u32_f32_e32 v3, v3
	s_delay_alu instid0(VALU_DEP_2) | instskip(NEXT) | instid1(VALU_DEP_2)
	v_mul_lo_u32 v7, s0, v6
	v_mul_hi_u32 v8, s0, v3
	v_mul_lo_u32 v9, s16, v3
	s_delay_alu instid0(VALU_DEP_2) | instskip(SKIP_1) | instid1(VALU_DEP_2)
	v_add_nc_u32_e32 v7, v8, v7
	v_mul_lo_u32 v8, s0, v3
	v_add_nc_u32_e32 v7, v7, v9
	s_delay_alu instid0(VALU_DEP_2) | instskip(NEXT) | instid1(VALU_DEP_2)
	v_mul_hi_u32 v9, v3, v8
	v_mul_lo_u32 v10, v3, v7
	v_mul_hi_u32 v11, v3, v7
	v_mul_hi_u32 v12, v6, v8
	v_mul_lo_u32 v8, v6, v8
	v_mul_hi_u32 v13, v6, v7
	v_mul_lo_u32 v7, v6, v7
	v_add_co_u32 v9, vcc_lo, v9, v10
	v_add_co_ci_u32_e32 v10, vcc_lo, 0, v11, vcc_lo
	s_delay_alu instid0(VALU_DEP_2) | instskip(NEXT) | instid1(VALU_DEP_2)
	v_add_co_u32 v8, vcc_lo, v9, v8
	v_add_co_ci_u32_e32 v8, vcc_lo, v10, v12, vcc_lo
	v_add_co_ci_u32_e32 v9, vcc_lo, 0, v13, vcc_lo
	v_ashrrev_i32_e32 v12, 31, v5
	s_delay_alu instid0(VALU_DEP_3) | instskip(NEXT) | instid1(VALU_DEP_3)
	v_add_co_u32 v7, vcc_lo, v8, v7
	v_add_co_ci_u32_e32 v8, vcc_lo, 0, v9, vcc_lo
	s_delay_alu instid0(VALU_DEP_2) | instskip(NEXT) | instid1(VALU_DEP_2)
	v_add_co_u32 v3, vcc_lo, v3, v7
	v_add_co_ci_u32_e32 v6, vcc_lo, v6, v8, vcc_lo
	s_delay_alu instid0(VALU_DEP_2) | instskip(SKIP_1) | instid1(VALU_DEP_3)
	v_mul_hi_u32 v7, s0, v3
	v_mul_lo_u32 v9, s16, v3
	v_mul_lo_u32 v8, s0, v6
	s_delay_alu instid0(VALU_DEP_1) | instskip(SKIP_1) | instid1(VALU_DEP_2)
	v_add_nc_u32_e32 v7, v7, v8
	v_mul_lo_u32 v8, s0, v3
	v_add_nc_u32_e32 v7, v7, v9
	s_delay_alu instid0(VALU_DEP_2) | instskip(NEXT) | instid1(VALU_DEP_2)
	v_mul_hi_u32 v9, v3, v8
	v_mul_lo_u32 v10, v3, v7
	v_mul_hi_u32 v11, v3, v7
	v_mul_hi_u32 v13, v6, v8
	v_mul_lo_u32 v8, v6, v8
	v_mul_hi_u32 v14, v6, v7
	v_mul_lo_u32 v7, v6, v7
	v_add_co_u32 v9, vcc_lo, v9, v10
	v_add_co_ci_u32_e32 v10, vcc_lo, 0, v11, vcc_lo
	s_delay_alu instid0(VALU_DEP_2) | instskip(NEXT) | instid1(VALU_DEP_2)
	v_add_co_u32 v8, vcc_lo, v9, v8
	v_add_co_ci_u32_e32 v8, vcc_lo, v10, v13, vcc_lo
	v_add_co_ci_u32_e32 v9, vcc_lo, 0, v14, vcc_lo
	v_add_co_u32 v10, vcc_lo, v4, v12
	v_add_co_ci_u32_e32 v5, vcc_lo, v5, v12, vcc_lo
	s_delay_alu instid0(VALU_DEP_4) | instskip(NEXT) | instid1(VALU_DEP_4)
	v_add_co_u32 v7, vcc_lo, v8, v7
	v_add_co_ci_u32_e32 v8, vcc_lo, 0, v9, vcc_lo
	s_delay_alu instid0(VALU_DEP_4) | instskip(NEXT) | instid1(VALU_DEP_3)
	v_xor_b32_e32 v11, v10, v12
	v_add_co_u32 v3, vcc_lo, v3, v7
	s_delay_alu instid0(VALU_DEP_3) | instskip(SKIP_1) | instid1(VALU_DEP_3)
	v_add_co_ci_u32_e32 v13, vcc_lo, v6, v8, vcc_lo
	v_xor_b32_e32 v14, v5, v12
	v_mul_hi_u32 v15, v11, v3
	s_delay_alu instid0(VALU_DEP_3) | instskip(NEXT) | instid1(VALU_DEP_3)
	v_mad_u64_u32 v[5:6], null, v11, v13, 0
	v_mad_u64_u32 v[7:8], null, v14, v3, 0
	;; [unrolled: 1-line block ×3, first 2 shown]
	s_delay_alu instid0(VALU_DEP_3) | instskip(NEXT) | instid1(VALU_DEP_4)
	v_add_co_u32 v3, vcc_lo, v15, v5
	v_add_co_ci_u32_e32 v5, vcc_lo, 0, v6, vcc_lo
	s_delay_alu instid0(VALU_DEP_2) | instskip(NEXT) | instid1(VALU_DEP_2)
	v_add_co_u32 v3, vcc_lo, v3, v7
	v_add_co_ci_u32_e32 v3, vcc_lo, v5, v8, vcc_lo
	v_add_co_ci_u32_e32 v5, vcc_lo, 0, v10, vcc_lo
	s_delay_alu instid0(VALU_DEP_2) | instskip(NEXT) | instid1(VALU_DEP_2)
	v_add_co_u32 v3, vcc_lo, v3, v9
	v_add_co_ci_u32_e32 v7, vcc_lo, 0, v5, vcc_lo
	s_delay_alu instid0(VALU_DEP_2) | instskip(SKIP_1) | instid1(VALU_DEP_3)
	v_mul_lo_u32 v8, s25, v3
	v_mad_u64_u32 v[5:6], null, s24, v3, 0
	v_mul_lo_u32 v9, s24, v7
	s_delay_alu instid0(VALU_DEP_2) | instskip(NEXT) | instid1(VALU_DEP_2)
	v_sub_co_u32 v5, vcc_lo, v11, v5
	v_add3_u32 v6, v6, v9, v8
	s_delay_alu instid0(VALU_DEP_1) | instskip(NEXT) | instid1(VALU_DEP_1)
	v_sub_nc_u32_e32 v8, v14, v6
	v_subrev_co_ci_u32_e64 v8, s0, s25, v8, vcc_lo
	v_add_co_u32 v9, s0, v3, 2
	s_delay_alu instid0(VALU_DEP_1) | instskip(SKIP_3) | instid1(VALU_DEP_3)
	v_add_co_ci_u32_e64 v10, s0, 0, v7, s0
	v_sub_co_u32 v11, s0, v5, s24
	v_sub_co_ci_u32_e32 v6, vcc_lo, v14, v6, vcc_lo
	v_subrev_co_ci_u32_e64 v8, s0, 0, v8, s0
	v_cmp_le_u32_e32 vcc_lo, s24, v11
	s_delay_alu instid0(VALU_DEP_3) | instskip(SKIP_1) | instid1(VALU_DEP_4)
	v_cmp_eq_u32_e64 s0, s25, v6
	v_cndmask_b32_e64 v11, 0, -1, vcc_lo
	v_cmp_le_u32_e32 vcc_lo, s25, v8
	v_cndmask_b32_e64 v13, 0, -1, vcc_lo
	v_cmp_le_u32_e32 vcc_lo, s24, v5
	;; [unrolled: 2-line block ×3, first 2 shown]
	v_cndmask_b32_e64 v14, 0, -1, vcc_lo
	v_cmp_eq_u32_e32 vcc_lo, s25, v8
	s_delay_alu instid0(VALU_DEP_2) | instskip(SKIP_3) | instid1(VALU_DEP_3)
	v_cndmask_b32_e64 v5, v14, v5, s0
	v_cndmask_b32_e32 v8, v13, v11, vcc_lo
	v_add_co_u32 v11, vcc_lo, v3, 1
	v_add_co_ci_u32_e32 v13, vcc_lo, 0, v7, vcc_lo
	v_cmp_ne_u32_e32 vcc_lo, 0, v8
	s_delay_alu instid0(VALU_DEP_3) | instskip(NEXT) | instid1(VALU_DEP_3)
	v_cndmask_b32_e32 v8, v11, v9, vcc_lo
	v_cndmask_b32_e32 v6, v13, v10, vcc_lo
	v_cmp_ne_u32_e32 vcc_lo, 0, v5
	v_xor_b32_e32 v5, s22, v12
	s_delay_alu instid0(VALU_DEP_4) | instskip(NEXT) | instid1(VALU_DEP_4)
	v_cndmask_b32_e32 v3, v3, v8, vcc_lo
	v_cndmask_b32_e32 v6, v7, v6, vcc_lo
	v_xor_b32_e32 v7, s23, v12
	s_delay_alu instid0(VALU_DEP_3) | instskip(NEXT) | instid1(VALU_DEP_2)
	v_xor_b32_e32 v3, v3, v5
	v_xor_b32_e32 v6, v6, v7
	s_delay_alu instid0(VALU_DEP_2) | instskip(NEXT) | instid1(VALU_DEP_2)
	v_sub_co_u32 v8, vcc_lo, v3, v5
	v_sub_co_ci_u32_e32 v9, vcc_lo, v6, v7, vcc_lo
.LBB73_9:                               ;   in Loop: Header=BB73_3 Depth=1
	s_and_not1_saveexec_b32 s0, s13
	s_cbranch_execz .LBB73_11
; %bb.10:                               ;   in Loop: Header=BB73_3 Depth=1
	v_cvt_f32_u32_e32 v3, s8
	s_sub_i32 s13, 0, s8
	v_mov_b32_e32 v9, v2
	s_delay_alu instid0(VALU_DEP_2) | instskip(SKIP_2) | instid1(VALU_DEP_1)
	v_rcp_iflag_f32_e32 v3, v3
	s_waitcnt_depctr 0xfff
	v_mul_f32_e32 v3, 0x4f7ffffe, v3
	v_cvt_u32_f32_e32 v3, v3
	s_delay_alu instid0(VALU_DEP_1) | instskip(NEXT) | instid1(VALU_DEP_1)
	v_mul_lo_u32 v5, s13, v3
	v_mul_hi_u32 v5, v3, v5
	s_delay_alu instid0(VALU_DEP_1) | instskip(NEXT) | instid1(VALU_DEP_1)
	v_add_nc_u32_e32 v3, v3, v5
	v_mul_hi_u32 v3, v4, v3
	s_delay_alu instid0(VALU_DEP_1) | instskip(SKIP_1) | instid1(VALU_DEP_2)
	v_mul_lo_u32 v5, v3, s8
	v_add_nc_u32_e32 v6, 1, v3
	v_sub_nc_u32_e32 v5, v4, v5
	s_delay_alu instid0(VALU_DEP_1) | instskip(SKIP_1) | instid1(VALU_DEP_4)
	v_cmp_le_u32_e32 vcc_lo, s8, v5
	v_subrev_nc_u32_e32 v7, s8, v5
	v_cndmask_b32_e32 v3, v3, v6, vcc_lo
	s_delay_alu instid0(VALU_DEP_1) | instskip(NEXT) | instid1(VALU_DEP_3)
	v_add_nc_u32_e32 v6, 1, v3
	v_cndmask_b32_e32 v5, v5, v7, vcc_lo
	s_delay_alu instid0(VALU_DEP_1) | instskip(NEXT) | instid1(VALU_DEP_3)
	v_cmp_le_u32_e32 vcc_lo, s8, v5
	v_cndmask_b32_e32 v8, v3, v6, vcc_lo
.LBB73_11:                              ;   in Loop: Header=BB73_3 Depth=1
	s_or_b32 exec_lo, exec_lo, s0
	v_mad_u64_u32 v[5:6], null, v4, s30, 0
	s_delay_alu instid0(VALU_DEP_2) | instskip(SKIP_1) | instid1(VALU_DEP_2)
	v_mad_u64_u32 v[6:7], null, v8, s8, 0
	s_and_not1_b32 vcc_lo, exec_lo, s1
	v_sub_co_u32 v19, null, v0, v5
	s_delay_alu instid0(VALU_DEP_2) | instskip(NEXT) | instid1(VALU_DEP_2)
	v_sub_co_u32 v20, null, v4, v6
	v_mul_lo_u32 v3, s18, v19
	v_mul_lo_u32 v10, s20, v19
	s_delay_alu instid0(VALU_DEP_2) | instskip(NEXT) | instid1(VALU_DEP_2)
	v_mad_u64_u32 v[6:7], null, s10, v20, v[3:4]
	v_mad_u64_u32 v[4:5], null, s12, v20, v[10:11]
	s_cbranch_vccnz .LBB73_40
; %bb.12:                               ;   in Loop: Header=BB73_3 Depth=1
	s_and_not1_b32 vcc_lo, exec_lo, s41
	s_mov_b32 s13, 1
	s_cbranch_vccnz .LBB73_20
; %bb.13:                               ;   in Loop: Header=BB73_3 Depth=1
	v_dual_mov_b32 v11, v9 :: v_dual_mov_b32 v10, v8
	s_mov_b32 s16, s38
.LBB73_14:                              ;   Parent Loop BB73_3 Depth=1
                                        ; =>  This Inner Loop Header: Depth=2
	s_delay_alu instid0(SALU_CYCLE_1)
	s_lshl_b64 s[24:25], s[16:17], 2
                                        ; implicit-def: $vgpr8_vgpr9
	s_mov_b32 s26, exec_lo
	s_add_u32 s22, s31, s24
	s_addc_u32 s23, s33, s25
	s_load_b32 s43, s[22:23], 0x8
	s_waitcnt lgkmcnt(0)
	s_ashr_i32 s0, s43, 31
	s_delay_alu instid0(SALU_CYCLE_1) | instskip(NEXT) | instid1(VALU_DEP_1)
	v_or_b32_e32 v3, s0, v11
	v_cmpx_ne_u64_e32 0, v[2:3]
	s_xor_b32 s44, exec_lo, s26
	s_cbranch_execz .LBB73_16
; %bb.15:                               ;   in Loop: Header=BB73_14 Depth=2
	s_add_u32 s28, s43, s0
	s_mov_b32 s26, s0
	s_mov_b32 s27, s0
	s_addc_u32 s29, s0, s0
	s_delay_alu instid0(SALU_CYCLE_1) | instskip(NEXT) | instid1(SALU_CYCLE_1)
	s_xor_b64 s[28:29], s[28:29], s[26:27]
	v_cvt_f32_u32_e32 v3, s28
	v_cvt_f32_u32_e32 v5, s29
	s_sub_u32 s0, 0, s28
	s_subb_u32 s45, 0, s29
	s_delay_alu instid0(VALU_DEP_1) | instskip(NEXT) | instid1(VALU_DEP_1)
	v_fmac_f32_e32 v3, 0x4f800000, v5
	v_rcp_f32_e32 v3, v3
	s_waitcnt_depctr 0xfff
	v_mul_f32_e32 v3, 0x5f7ffffc, v3
	s_delay_alu instid0(VALU_DEP_1) | instskip(NEXT) | instid1(VALU_DEP_1)
	v_mul_f32_e32 v5, 0x2f800000, v3
	v_trunc_f32_e32 v5, v5
	s_delay_alu instid0(VALU_DEP_1) | instskip(SKIP_1) | instid1(VALU_DEP_2)
	v_fmac_f32_e32 v3, 0xcf800000, v5
	v_cvt_u32_f32_e32 v5, v5
	v_cvt_u32_f32_e32 v3, v3
	s_delay_alu instid0(VALU_DEP_2) | instskip(NEXT) | instid1(VALU_DEP_2)
	v_mul_lo_u32 v7, s0, v5
	v_mul_hi_u32 v8, s0, v3
	v_mul_lo_u32 v9, s45, v3
	s_delay_alu instid0(VALU_DEP_2) | instskip(SKIP_1) | instid1(VALU_DEP_2)
	v_add_nc_u32_e32 v7, v8, v7
	v_mul_lo_u32 v8, s0, v3
	v_add_nc_u32_e32 v7, v7, v9
	s_delay_alu instid0(VALU_DEP_2) | instskip(NEXT) | instid1(VALU_DEP_2)
	v_mul_hi_u32 v9, v3, v8
	v_mul_lo_u32 v12, v3, v7
	v_mul_hi_u32 v13, v3, v7
	v_mul_hi_u32 v14, v5, v8
	v_mul_lo_u32 v8, v5, v8
	v_mul_hi_u32 v15, v5, v7
	v_mul_lo_u32 v7, v5, v7
	v_add_co_u32 v9, vcc_lo, v9, v12
	v_add_co_ci_u32_e32 v12, vcc_lo, 0, v13, vcc_lo
	s_delay_alu instid0(VALU_DEP_2) | instskip(NEXT) | instid1(VALU_DEP_2)
	v_add_co_u32 v8, vcc_lo, v9, v8
	v_add_co_ci_u32_e32 v8, vcc_lo, v12, v14, vcc_lo
	v_add_co_ci_u32_e32 v9, vcc_lo, 0, v15, vcc_lo
	v_ashrrev_i32_e32 v15, 31, v11
	s_delay_alu instid0(VALU_DEP_3) | instskip(NEXT) | instid1(VALU_DEP_3)
	v_add_co_u32 v7, vcc_lo, v8, v7
	v_add_co_ci_u32_e32 v8, vcc_lo, 0, v9, vcc_lo
	s_delay_alu instid0(VALU_DEP_2) | instskip(NEXT) | instid1(VALU_DEP_2)
	v_add_co_u32 v3, vcc_lo, v3, v7
	v_add_co_ci_u32_e32 v5, vcc_lo, v5, v8, vcc_lo
	s_delay_alu instid0(VALU_DEP_2) | instskip(SKIP_1) | instid1(VALU_DEP_3)
	v_mul_hi_u32 v7, s0, v3
	v_mul_lo_u32 v9, s45, v3
	v_mul_lo_u32 v8, s0, v5
	s_delay_alu instid0(VALU_DEP_1) | instskip(SKIP_1) | instid1(VALU_DEP_2)
	v_add_nc_u32_e32 v7, v7, v8
	v_mul_lo_u32 v8, s0, v3
	v_add_nc_u32_e32 v7, v7, v9
	s_delay_alu instid0(VALU_DEP_2) | instskip(NEXT) | instid1(VALU_DEP_2)
	v_mul_hi_u32 v9, v3, v8
	v_mul_lo_u32 v12, v3, v7
	v_mul_hi_u32 v13, v3, v7
	v_mul_hi_u32 v14, v5, v8
	v_mul_lo_u32 v8, v5, v8
	v_mul_hi_u32 v16, v5, v7
	v_mul_lo_u32 v7, v5, v7
	v_add_co_u32 v9, vcc_lo, v9, v12
	v_add_co_ci_u32_e32 v12, vcc_lo, 0, v13, vcc_lo
	s_delay_alu instid0(VALU_DEP_2) | instskip(NEXT) | instid1(VALU_DEP_2)
	v_add_co_u32 v8, vcc_lo, v9, v8
	v_add_co_ci_u32_e32 v8, vcc_lo, v12, v14, vcc_lo
	v_add_co_ci_u32_e32 v9, vcc_lo, 0, v16, vcc_lo
	v_add_co_u32 v12, vcc_lo, v10, v15
	v_add_co_ci_u32_e32 v11, vcc_lo, v11, v15, vcc_lo
	s_delay_alu instid0(VALU_DEP_4) | instskip(NEXT) | instid1(VALU_DEP_4)
	v_add_co_u32 v7, vcc_lo, v8, v7
	v_add_co_ci_u32_e32 v8, vcc_lo, 0, v9, vcc_lo
	s_delay_alu instid0(VALU_DEP_4) | instskip(NEXT) | instid1(VALU_DEP_3)
	v_xor_b32_e32 v9, v12, v15
	v_add_co_u32 v3, vcc_lo, v3, v7
	s_delay_alu instid0(VALU_DEP_3) | instskip(SKIP_1) | instid1(VALU_DEP_3)
	v_add_co_ci_u32_e32 v5, vcc_lo, v5, v8, vcc_lo
	v_xor_b32_e32 v16, v11, v15
	v_mul_hi_u32 v17, v9, v3
	s_delay_alu instid0(VALU_DEP_3) | instskip(NEXT) | instid1(VALU_DEP_3)
	v_mad_u64_u32 v[7:8], null, v9, v5, 0
	v_mad_u64_u32 v[11:12], null, v16, v3, 0
	;; [unrolled: 1-line block ×3, first 2 shown]
	s_delay_alu instid0(VALU_DEP_3) | instskip(NEXT) | instid1(VALU_DEP_4)
	v_add_co_u32 v3, vcc_lo, v17, v7
	v_add_co_ci_u32_e32 v5, vcc_lo, 0, v8, vcc_lo
	s_delay_alu instid0(VALU_DEP_2) | instskip(NEXT) | instid1(VALU_DEP_2)
	v_add_co_u32 v3, vcc_lo, v3, v11
	v_add_co_ci_u32_e32 v3, vcc_lo, v5, v12, vcc_lo
	v_add_co_ci_u32_e32 v5, vcc_lo, 0, v14, vcc_lo
	s_delay_alu instid0(VALU_DEP_2) | instskip(NEXT) | instid1(VALU_DEP_2)
	v_add_co_u32 v3, vcc_lo, v3, v13
	v_add_co_ci_u32_e32 v5, vcc_lo, 0, v5, vcc_lo
	s_delay_alu instid0(VALU_DEP_2) | instskip(SKIP_1) | instid1(VALU_DEP_3)
	v_mul_lo_u32 v11, s29, v3
	v_mad_u64_u32 v[7:8], null, s28, v3, 0
	v_mul_lo_u32 v12, s28, v5
	s_delay_alu instid0(VALU_DEP_2) | instskip(NEXT) | instid1(VALU_DEP_2)
	v_sub_co_u32 v7, vcc_lo, v9, v7
	v_add3_u32 v8, v8, v12, v11
	s_delay_alu instid0(VALU_DEP_1) | instskip(NEXT) | instid1(VALU_DEP_1)
	v_sub_nc_u32_e32 v11, v16, v8
	v_subrev_co_ci_u32_e64 v9, s0, s29, v11, vcc_lo
	v_add_co_u32 v11, s0, v3, 2
	s_delay_alu instid0(VALU_DEP_1) | instskip(SKIP_3) | instid1(VALU_DEP_3)
	v_add_co_ci_u32_e64 v12, s0, 0, v5, s0
	v_sub_co_u32 v13, s0, v7, s28
	v_sub_co_ci_u32_e32 v8, vcc_lo, v16, v8, vcc_lo
	v_subrev_co_ci_u32_e64 v9, s0, 0, v9, s0
	v_cmp_le_u32_e32 vcc_lo, s28, v13
	s_delay_alu instid0(VALU_DEP_3) | instskip(SKIP_1) | instid1(VALU_DEP_4)
	v_cmp_eq_u32_e64 s0, s29, v8
	v_cndmask_b32_e64 v13, 0, -1, vcc_lo
	v_cmp_le_u32_e32 vcc_lo, s29, v9
	v_cndmask_b32_e64 v14, 0, -1, vcc_lo
	v_cmp_le_u32_e32 vcc_lo, s28, v7
	;; [unrolled: 2-line block ×3, first 2 shown]
	v_cndmask_b32_e64 v16, 0, -1, vcc_lo
	v_cmp_eq_u32_e32 vcc_lo, s29, v9
	s_delay_alu instid0(VALU_DEP_2) | instskip(SKIP_3) | instid1(VALU_DEP_3)
	v_cndmask_b32_e64 v7, v16, v7, s0
	v_cndmask_b32_e32 v9, v14, v13, vcc_lo
	v_add_co_u32 v13, vcc_lo, v3, 1
	v_add_co_ci_u32_e32 v14, vcc_lo, 0, v5, vcc_lo
	v_cmp_ne_u32_e32 vcc_lo, 0, v9
	s_delay_alu instid0(VALU_DEP_2) | instskip(SKIP_2) | instid1(VALU_DEP_3)
	v_dual_cndmask_b32 v8, v14, v12 :: v_dual_cndmask_b32 v9, v13, v11
	v_cmp_ne_u32_e32 vcc_lo, 0, v7
	v_xor_b32_e32 v7, s26, v15
	v_cndmask_b32_e32 v3, v3, v9, vcc_lo
	s_delay_alu instid0(VALU_DEP_4) | instskip(SKIP_1) | instid1(VALU_DEP_3)
	v_cndmask_b32_e32 v5, v5, v8, vcc_lo
	v_xor_b32_e32 v9, s27, v15
	v_xor_b32_e32 v3, v3, v7
	s_delay_alu instid0(VALU_DEP_2) | instskip(NEXT) | instid1(VALU_DEP_2)
	v_xor_b32_e32 v5, v5, v9
	v_sub_co_u32 v8, vcc_lo, v3, v7
	s_delay_alu instid0(VALU_DEP_2)
	v_sub_co_ci_u32_e32 v9, vcc_lo, v5, v9, vcc_lo
.LBB73_16:                              ;   in Loop: Header=BB73_14 Depth=2
	s_and_not1_saveexec_b32 s0, s44
	s_cbranch_execz .LBB73_18
; %bb.17:                               ;   in Loop: Header=BB73_14 Depth=2
	v_cvt_f32_u32_e32 v3, s43
	s_sub_i32 s26, 0, s43
	v_mov_b32_e32 v9, v2
	s_delay_alu instid0(VALU_DEP_2) | instskip(SKIP_2) | instid1(VALU_DEP_1)
	v_rcp_iflag_f32_e32 v3, v3
	s_waitcnt_depctr 0xfff
	v_mul_f32_e32 v3, 0x4f7ffffe, v3
	v_cvt_u32_f32_e32 v3, v3
	s_delay_alu instid0(VALU_DEP_1) | instskip(NEXT) | instid1(VALU_DEP_1)
	v_mul_lo_u32 v5, s26, v3
	v_mul_hi_u32 v5, v3, v5
	s_delay_alu instid0(VALU_DEP_1) | instskip(NEXT) | instid1(VALU_DEP_1)
	v_add_nc_u32_e32 v3, v3, v5
	v_mul_hi_u32 v3, v10, v3
	s_delay_alu instid0(VALU_DEP_1) | instskip(SKIP_1) | instid1(VALU_DEP_2)
	v_mul_lo_u32 v5, v3, s43
	v_add_nc_u32_e32 v7, 1, v3
	v_sub_nc_u32_e32 v5, v10, v5
	s_delay_alu instid0(VALU_DEP_1) | instskip(SKIP_1) | instid1(VALU_DEP_4)
	v_cmp_le_u32_e32 vcc_lo, s43, v5
	v_subrev_nc_u32_e32 v8, s43, v5
	v_cndmask_b32_e32 v3, v3, v7, vcc_lo
	s_delay_alu instid0(VALU_DEP_1) | instskip(NEXT) | instid1(VALU_DEP_3)
	v_add_nc_u32_e32 v7, 1, v3
	v_cndmask_b32_e32 v5, v5, v8, vcc_lo
	s_delay_alu instid0(VALU_DEP_1) | instskip(NEXT) | instid1(VALU_DEP_3)
	v_cmp_le_u32_e32 vcc_lo, s43, v5
	v_cndmask_b32_e32 v8, v3, v7, vcc_lo
.LBB73_18:                              ;   in Loop: Header=BB73_14 Depth=2
	s_or_b32 exec_lo, exec_lo, s0
	s_add_u32 s24, s36, s24
	s_addc_u32 s25, s37, s25
	s_clause 0x1
	s_load_b32 s0, s[22:23], 0x6c
	s_load_b32 s22, s[24:25], 0x0
	v_mul_lo_u32 v3, v8, s43
	s_add_i32 s16, s16, -1
	s_delay_alu instid0(VALU_DEP_1) | instskip(SKIP_1) | instid1(VALU_DEP_1)
	v_sub_nc_u32_e32 v3, v10, v3
	s_waitcnt lgkmcnt(0)
	v_mad_u64_u32 v[10:11], null, s0, v3, v[6:7]
	v_mad_u64_u32 v[5:6], null, s22, v3, v[4:5]
	s_xor_b32 s0, s39, s13
	s_add_i32 s13, s13, 1
	s_cmp_lg_u32 s0, 2
	s_delay_alu instid0(VALU_DEP_2) | instskip(NEXT) | instid1(VALU_DEP_2)
	v_mov_b32_e32 v6, v10
	v_mov_b32_e32 v4, v5
	s_cbranch_scc0 .LBB73_21
; %bb.19:                               ;   in Loop: Header=BB73_14 Depth=2
	v_dual_mov_b32 v11, v9 :: v_dual_mov_b32 v10, v8
	s_branch .LBB73_14
.LBB73_20:                              ;   in Loop: Header=BB73_3 Depth=1
	s_mov_b32 s16, s38
.LBB73_21:                              ;   in Loop: Header=BB73_3 Depth=1
	s_and_b32 vcc_lo, exec_lo, s42
	s_cbranch_vccz .LBB73_40
.LBB73_22:                              ;   Parent Loop BB73_3 Depth=1
                                        ; =>  This Inner Loop Header: Depth=2
	s_lshl_b64 s[22:23], s[16:17], 2
                                        ; implicit-def: $vgpr10_vgpr11
	s_mov_b32 s26, exec_lo
	s_add_u32 s24, s31, s22
	s_addc_u32 s25, s33, s23
	s_load_b32 s13, s[24:25], 0x8
	s_waitcnt lgkmcnt(0)
	s_ashr_i32 s0, s13, 31
	s_delay_alu instid0(SALU_CYCLE_1) | instskip(NEXT) | instid1(VALU_DEP_1)
	v_or_b32_e32 v3, s0, v9
	v_cmpx_ne_u64_e32 0, v[2:3]
	s_xor_b32 s43, exec_lo, s26
	s_cbranch_execz .LBB73_24
; %bb.23:                               ;   in Loop: Header=BB73_22 Depth=2
	s_add_u32 s28, s13, s0
	s_mov_b32 s26, s0
	s_mov_b32 s27, s0
	s_addc_u32 s29, s0, s0
	s_delay_alu instid0(SALU_CYCLE_1) | instskip(NEXT) | instid1(SALU_CYCLE_1)
	s_xor_b64 s[28:29], s[28:29], s[26:27]
	v_cvt_f32_u32_e32 v3, s28
	v_cvt_f32_u32_e32 v5, s29
	s_sub_u32 s0, 0, s28
	s_subb_u32 s44, 0, s29
	s_delay_alu instid0(VALU_DEP_1) | instskip(NEXT) | instid1(VALU_DEP_1)
	v_fmac_f32_e32 v3, 0x4f800000, v5
	v_rcp_f32_e32 v3, v3
	s_waitcnt_depctr 0xfff
	v_mul_f32_e32 v3, 0x5f7ffffc, v3
	s_delay_alu instid0(VALU_DEP_1) | instskip(NEXT) | instid1(VALU_DEP_1)
	v_mul_f32_e32 v5, 0x2f800000, v3
	v_trunc_f32_e32 v5, v5
	s_delay_alu instid0(VALU_DEP_1) | instskip(SKIP_1) | instid1(VALU_DEP_2)
	v_fmac_f32_e32 v3, 0xcf800000, v5
	v_cvt_u32_f32_e32 v5, v5
	v_cvt_u32_f32_e32 v3, v3
	s_delay_alu instid0(VALU_DEP_2) | instskip(NEXT) | instid1(VALU_DEP_2)
	v_mul_lo_u32 v7, s0, v5
	v_mul_hi_u32 v10, s0, v3
	v_mul_lo_u32 v11, s44, v3
	s_delay_alu instid0(VALU_DEP_2) | instskip(SKIP_1) | instid1(VALU_DEP_2)
	v_add_nc_u32_e32 v7, v10, v7
	v_mul_lo_u32 v10, s0, v3
	v_add_nc_u32_e32 v7, v7, v11
	s_delay_alu instid0(VALU_DEP_2) | instskip(NEXT) | instid1(VALU_DEP_2)
	v_mul_hi_u32 v11, v3, v10
	v_mul_lo_u32 v12, v3, v7
	v_mul_hi_u32 v13, v3, v7
	v_mul_hi_u32 v14, v5, v10
	v_mul_lo_u32 v10, v5, v10
	v_mul_hi_u32 v15, v5, v7
	v_mul_lo_u32 v7, v5, v7
	v_add_co_u32 v11, vcc_lo, v11, v12
	v_add_co_ci_u32_e32 v12, vcc_lo, 0, v13, vcc_lo
	s_delay_alu instid0(VALU_DEP_2) | instskip(NEXT) | instid1(VALU_DEP_2)
	v_add_co_u32 v10, vcc_lo, v11, v10
	v_add_co_ci_u32_e32 v10, vcc_lo, v12, v14, vcc_lo
	v_add_co_ci_u32_e32 v11, vcc_lo, 0, v15, vcc_lo
	v_ashrrev_i32_e32 v15, 31, v9
	s_delay_alu instid0(VALU_DEP_3) | instskip(NEXT) | instid1(VALU_DEP_3)
	v_add_co_u32 v7, vcc_lo, v10, v7
	v_add_co_ci_u32_e32 v10, vcc_lo, 0, v11, vcc_lo
	s_delay_alu instid0(VALU_DEP_2) | instskip(NEXT) | instid1(VALU_DEP_2)
	v_add_co_u32 v3, vcc_lo, v3, v7
	v_add_co_ci_u32_e32 v5, vcc_lo, v5, v10, vcc_lo
	s_delay_alu instid0(VALU_DEP_2) | instskip(SKIP_1) | instid1(VALU_DEP_3)
	v_mul_hi_u32 v7, s0, v3
	v_mul_lo_u32 v11, s44, v3
	v_mul_lo_u32 v10, s0, v5
	s_delay_alu instid0(VALU_DEP_1) | instskip(SKIP_1) | instid1(VALU_DEP_2)
	v_add_nc_u32_e32 v7, v7, v10
	v_mul_lo_u32 v10, s0, v3
	v_add_nc_u32_e32 v7, v7, v11
	s_delay_alu instid0(VALU_DEP_2) | instskip(NEXT) | instid1(VALU_DEP_2)
	v_mul_hi_u32 v11, v3, v10
	v_mul_lo_u32 v12, v3, v7
	v_mul_hi_u32 v13, v3, v7
	v_mul_hi_u32 v14, v5, v10
	v_mul_lo_u32 v10, v5, v10
	v_mul_hi_u32 v16, v5, v7
	v_mul_lo_u32 v7, v5, v7
	v_add_co_u32 v11, vcc_lo, v11, v12
	v_add_co_ci_u32_e32 v12, vcc_lo, 0, v13, vcc_lo
	s_delay_alu instid0(VALU_DEP_2) | instskip(NEXT) | instid1(VALU_DEP_2)
	v_add_co_u32 v10, vcc_lo, v11, v10
	v_add_co_ci_u32_e32 v10, vcc_lo, v12, v14, vcc_lo
	v_add_co_ci_u32_e32 v11, vcc_lo, 0, v16, vcc_lo
	v_add_co_u32 v12, vcc_lo, v8, v15
	v_add_co_ci_u32_e32 v9, vcc_lo, v9, v15, vcc_lo
	s_delay_alu instid0(VALU_DEP_4) | instskip(NEXT) | instid1(VALU_DEP_4)
	v_add_co_u32 v7, vcc_lo, v10, v7
	v_add_co_ci_u32_e32 v10, vcc_lo, 0, v11, vcc_lo
	s_delay_alu instid0(VALU_DEP_4) | instskip(NEXT) | instid1(VALU_DEP_3)
	v_xor_b32_e32 v16, v12, v15
	v_add_co_u32 v3, vcc_lo, v3, v7
	s_delay_alu instid0(VALU_DEP_3) | instskip(SKIP_1) | instid1(VALU_DEP_3)
	v_add_co_ci_u32_e32 v5, vcc_lo, v5, v10, vcc_lo
	v_xor_b32_e32 v7, v9, v15
	v_mul_hi_u32 v17, v16, v3
	s_delay_alu instid0(VALU_DEP_3) | instskip(NEXT) | instid1(VALU_DEP_3)
	v_mad_u64_u32 v[9:10], null, v16, v5, 0
	v_mad_u64_u32 v[11:12], null, v7, v3, 0
	;; [unrolled: 1-line block ×3, first 2 shown]
	s_delay_alu instid0(VALU_DEP_3) | instskip(NEXT) | instid1(VALU_DEP_4)
	v_add_co_u32 v3, vcc_lo, v17, v9
	v_add_co_ci_u32_e32 v5, vcc_lo, 0, v10, vcc_lo
	s_delay_alu instid0(VALU_DEP_2) | instskip(NEXT) | instid1(VALU_DEP_2)
	v_add_co_u32 v3, vcc_lo, v3, v11
	v_add_co_ci_u32_e32 v3, vcc_lo, v5, v12, vcc_lo
	v_add_co_ci_u32_e32 v5, vcc_lo, 0, v14, vcc_lo
	s_delay_alu instid0(VALU_DEP_2) | instskip(NEXT) | instid1(VALU_DEP_2)
	v_add_co_u32 v3, vcc_lo, v3, v13
	v_add_co_ci_u32_e32 v5, vcc_lo, 0, v5, vcc_lo
	s_delay_alu instid0(VALU_DEP_2) | instskip(SKIP_1) | instid1(VALU_DEP_3)
	v_mul_lo_u32 v11, s29, v3
	v_mad_u64_u32 v[9:10], null, s28, v3, 0
	v_mul_lo_u32 v12, s28, v5
	s_delay_alu instid0(VALU_DEP_2) | instskip(NEXT) | instid1(VALU_DEP_2)
	v_sub_co_u32 v9, vcc_lo, v16, v9
	v_add3_u32 v10, v10, v12, v11
	s_delay_alu instid0(VALU_DEP_1) | instskip(NEXT) | instid1(VALU_DEP_1)
	v_sub_nc_u32_e32 v11, v7, v10
	v_subrev_co_ci_u32_e64 v11, s0, s29, v11, vcc_lo
	v_add_co_u32 v12, s0, v3, 2
	s_delay_alu instid0(VALU_DEP_1) | instskip(SKIP_3) | instid1(VALU_DEP_3)
	v_add_co_ci_u32_e64 v13, s0, 0, v5, s0
	v_sub_co_u32 v14, s0, v9, s28
	v_sub_co_ci_u32_e32 v7, vcc_lo, v7, v10, vcc_lo
	v_subrev_co_ci_u32_e64 v11, s0, 0, v11, s0
	v_cmp_le_u32_e32 vcc_lo, s28, v14
	s_delay_alu instid0(VALU_DEP_3) | instskip(SKIP_1) | instid1(VALU_DEP_4)
	v_cmp_eq_u32_e64 s0, s29, v7
	v_cndmask_b32_e64 v10, 0, -1, vcc_lo
	v_cmp_le_u32_e32 vcc_lo, s29, v11
	v_cndmask_b32_e64 v14, 0, -1, vcc_lo
	v_cmp_le_u32_e32 vcc_lo, s28, v9
	;; [unrolled: 2-line block ×3, first 2 shown]
	v_cndmask_b32_e64 v16, 0, -1, vcc_lo
	v_cmp_eq_u32_e32 vcc_lo, s29, v11
	s_delay_alu instid0(VALU_DEP_2) | instskip(SKIP_3) | instid1(VALU_DEP_3)
	v_cndmask_b32_e64 v7, v16, v9, s0
	v_cndmask_b32_e32 v10, v14, v10, vcc_lo
	v_add_co_u32 v11, vcc_lo, v3, 1
	v_add_co_ci_u32_e32 v14, vcc_lo, 0, v5, vcc_lo
	v_cmp_ne_u32_e32 vcc_lo, 0, v10
	s_delay_alu instid0(VALU_DEP_2) | instskip(SKIP_2) | instid1(VALU_DEP_3)
	v_dual_cndmask_b32 v10, v11, v12 :: v_dual_cndmask_b32 v9, v14, v13
	v_cmp_ne_u32_e32 vcc_lo, 0, v7
	v_xor_b32_e32 v7, s26, v15
	v_cndmask_b32_e32 v3, v3, v10, vcc_lo
	s_delay_alu instid0(VALU_DEP_4) | instskip(SKIP_1) | instid1(VALU_DEP_3)
	v_cndmask_b32_e32 v5, v5, v9, vcc_lo
	v_xor_b32_e32 v9, s27, v15
	v_xor_b32_e32 v3, v3, v7
	s_delay_alu instid0(VALU_DEP_2) | instskip(NEXT) | instid1(VALU_DEP_2)
	v_xor_b32_e32 v5, v5, v9
	v_sub_co_u32 v10, vcc_lo, v3, v7
	s_delay_alu instid0(VALU_DEP_2)
	v_sub_co_ci_u32_e32 v11, vcc_lo, v5, v9, vcc_lo
.LBB73_24:                              ;   in Loop: Header=BB73_22 Depth=2
	s_and_not1_saveexec_b32 s0, s43
	s_cbranch_execz .LBB73_26
; %bb.25:                               ;   in Loop: Header=BB73_22 Depth=2
	v_cvt_f32_u32_e32 v3, s13
	s_sub_i32 s26, 0, s13
	v_mov_b32_e32 v11, v2
	s_delay_alu instid0(VALU_DEP_2) | instskip(SKIP_2) | instid1(VALU_DEP_1)
	v_rcp_iflag_f32_e32 v3, v3
	s_waitcnt_depctr 0xfff
	v_mul_f32_e32 v3, 0x4f7ffffe, v3
	v_cvt_u32_f32_e32 v3, v3
	s_delay_alu instid0(VALU_DEP_1) | instskip(NEXT) | instid1(VALU_DEP_1)
	v_mul_lo_u32 v5, s26, v3
	v_mul_hi_u32 v5, v3, v5
	s_delay_alu instid0(VALU_DEP_1) | instskip(NEXT) | instid1(VALU_DEP_1)
	v_add_nc_u32_e32 v3, v3, v5
	v_mul_hi_u32 v3, v8, v3
	s_delay_alu instid0(VALU_DEP_1) | instskip(SKIP_1) | instid1(VALU_DEP_2)
	v_mul_lo_u32 v5, v3, s13
	v_add_nc_u32_e32 v7, 1, v3
	v_sub_nc_u32_e32 v5, v8, v5
	s_delay_alu instid0(VALU_DEP_1) | instskip(SKIP_1) | instid1(VALU_DEP_4)
	v_cmp_le_u32_e32 vcc_lo, s13, v5
	v_subrev_nc_u32_e32 v9, s13, v5
	v_cndmask_b32_e32 v3, v3, v7, vcc_lo
	s_delay_alu instid0(VALU_DEP_1) | instskip(NEXT) | instid1(VALU_DEP_3)
	v_add_nc_u32_e32 v7, 1, v3
	v_cndmask_b32_e32 v5, v5, v9, vcc_lo
	s_delay_alu instid0(VALU_DEP_1) | instskip(NEXT) | instid1(VALU_DEP_3)
	v_cmp_le_u32_e32 vcc_lo, s13, v5
	v_cndmask_b32_e32 v10, v3, v7, vcc_lo
.LBB73_26:                              ;   in Loop: Header=BB73_22 Depth=2
	s_or_b32 exec_lo, exec_lo, s0
	s_add_u32 s28, s36, s22
	s_addc_u32 s29, s37, s23
	s_add_i32 s22, s16, -1
	s_mov_b32 s23, s17
                                        ; implicit-def: $vgpr12_vgpr13
	s_delay_alu instid0(SALU_CYCLE_1) | instskip(NEXT) | instid1(SALU_CYCLE_1)
	s_lshl_b64 s[26:27], s[22:23], 2
	s_add_u32 s22, s31, s26
	s_addc_u32 s23, s33, s27
	s_clause 0x2
	s_load_b32 s45, s[22:23], 0x8
	s_load_b32 s43, s[24:25], 0x6c
	;; [unrolled: 1-line block ×3, first 2 shown]
	s_mov_b32 s24, exec_lo
	s_waitcnt lgkmcnt(0)
	s_ashr_i32 s0, s45, 31
	s_delay_alu instid0(SALU_CYCLE_1) | instskip(NEXT) | instid1(VALU_DEP_1)
	v_or_b32_e32 v3, s0, v11
	v_cmpx_ne_u64_e32 0, v[2:3]
	s_xor_b32 s46, exec_lo, s24
	s_cbranch_execz .LBB73_28
; %bb.27:                               ;   in Loop: Header=BB73_22 Depth=2
	s_add_u32 s28, s45, s0
	s_mov_b32 s24, s0
	s_mov_b32 s25, s0
	s_addc_u32 s29, s0, s0
	v_ashrrev_i32_e32 v17, 31, v11
	s_xor_b64 s[28:29], s[28:29], s[24:25]
	s_delay_alu instid0(SALU_CYCLE_1) | instskip(SKIP_3) | instid1(VALU_DEP_1)
	v_cvt_f32_u32_e32 v3, s28
	v_cvt_f32_u32_e32 v5, s29
	s_sub_u32 s0, 0, s28
	s_subb_u32 s47, 0, s29
	v_fmac_f32_e32 v3, 0x4f800000, v5
	s_delay_alu instid0(VALU_DEP_1) | instskip(SKIP_2) | instid1(VALU_DEP_1)
	v_rcp_f32_e32 v3, v3
	s_waitcnt_depctr 0xfff
	v_mul_f32_e32 v3, 0x5f7ffffc, v3
	v_mul_f32_e32 v5, 0x2f800000, v3
	s_delay_alu instid0(VALU_DEP_1) | instskip(NEXT) | instid1(VALU_DEP_1)
	v_trunc_f32_e32 v5, v5
	v_fmac_f32_e32 v3, 0xcf800000, v5
	v_cvt_u32_f32_e32 v5, v5
	s_delay_alu instid0(VALU_DEP_2) | instskip(NEXT) | instid1(VALU_DEP_2)
	v_cvt_u32_f32_e32 v3, v3
	v_mul_lo_u32 v7, s0, v5
	s_delay_alu instid0(VALU_DEP_2) | instskip(SKIP_1) | instid1(VALU_DEP_2)
	v_mul_hi_u32 v9, s0, v3
	v_mul_lo_u32 v12, s47, v3
	v_add_nc_u32_e32 v7, v9, v7
	v_mul_lo_u32 v9, s0, v3
	s_delay_alu instid0(VALU_DEP_2) | instskip(NEXT) | instid1(VALU_DEP_2)
	v_add_nc_u32_e32 v7, v7, v12
	v_mul_hi_u32 v12, v3, v9
	s_delay_alu instid0(VALU_DEP_2)
	v_mul_lo_u32 v13, v3, v7
	v_mul_hi_u32 v14, v3, v7
	v_mul_hi_u32 v15, v5, v9
	v_mul_lo_u32 v9, v5, v9
	v_mul_hi_u32 v16, v5, v7
	v_mul_lo_u32 v7, v5, v7
	v_add_co_u32 v12, vcc_lo, v12, v13
	v_add_co_ci_u32_e32 v13, vcc_lo, 0, v14, vcc_lo
	s_delay_alu instid0(VALU_DEP_2) | instskip(NEXT) | instid1(VALU_DEP_2)
	v_add_co_u32 v9, vcc_lo, v12, v9
	v_add_co_ci_u32_e32 v9, vcc_lo, v13, v15, vcc_lo
	v_add_co_ci_u32_e32 v12, vcc_lo, 0, v16, vcc_lo
	s_delay_alu instid0(VALU_DEP_2) | instskip(NEXT) | instid1(VALU_DEP_2)
	v_add_co_u32 v7, vcc_lo, v9, v7
	v_add_co_ci_u32_e32 v9, vcc_lo, 0, v12, vcc_lo
	s_delay_alu instid0(VALU_DEP_2) | instskip(NEXT) | instid1(VALU_DEP_2)
	v_add_co_u32 v3, vcc_lo, v3, v7
	v_add_co_ci_u32_e32 v5, vcc_lo, v5, v9, vcc_lo
	s_delay_alu instid0(VALU_DEP_2) | instskip(SKIP_1) | instid1(VALU_DEP_3)
	v_mul_hi_u32 v7, s0, v3
	v_mul_lo_u32 v12, s47, v3
	v_mul_lo_u32 v9, s0, v5
	s_delay_alu instid0(VALU_DEP_1) | instskip(SKIP_1) | instid1(VALU_DEP_2)
	v_add_nc_u32_e32 v7, v7, v9
	v_mul_lo_u32 v9, s0, v3
	v_add_nc_u32_e32 v7, v7, v12
	s_delay_alu instid0(VALU_DEP_2) | instskip(NEXT) | instid1(VALU_DEP_2)
	v_mul_hi_u32 v12, v3, v9
	v_mul_lo_u32 v13, v3, v7
	v_mul_hi_u32 v14, v3, v7
	v_mul_hi_u32 v15, v5, v9
	v_mul_lo_u32 v9, v5, v9
	v_mul_hi_u32 v16, v5, v7
	v_mul_lo_u32 v7, v5, v7
	v_add_co_u32 v12, vcc_lo, v12, v13
	v_add_co_ci_u32_e32 v13, vcc_lo, 0, v14, vcc_lo
	s_delay_alu instid0(VALU_DEP_2) | instskip(NEXT) | instid1(VALU_DEP_2)
	v_add_co_u32 v9, vcc_lo, v12, v9
	v_add_co_ci_u32_e32 v9, vcc_lo, v13, v15, vcc_lo
	v_add_co_ci_u32_e32 v12, vcc_lo, 0, v16, vcc_lo
	v_add_co_u32 v13, vcc_lo, v10, v17
	v_add_co_ci_u32_e32 v11, vcc_lo, v11, v17, vcc_lo
	s_delay_alu instid0(VALU_DEP_4) | instskip(NEXT) | instid1(VALU_DEP_4)
	v_add_co_u32 v7, vcc_lo, v9, v7
	v_add_co_ci_u32_e32 v9, vcc_lo, 0, v12, vcc_lo
	s_delay_alu instid0(VALU_DEP_4) | instskip(NEXT) | instid1(VALU_DEP_3)
	v_xor_b32_e32 v21, v13, v17
	v_add_co_u32 v3, vcc_lo, v3, v7
	s_delay_alu instid0(VALU_DEP_3) | instskip(SKIP_1) | instid1(VALU_DEP_3)
	v_add_co_ci_u32_e32 v5, vcc_lo, v5, v9, vcc_lo
	v_xor_b32_e32 v7, v11, v17
	v_mul_hi_u32 v9, v21, v3
	s_delay_alu instid0(VALU_DEP_3) | instskip(NEXT) | instid1(VALU_DEP_3)
	v_mad_u64_u32 v[11:12], null, v21, v5, 0
	v_mad_u64_u32 v[13:14], null, v7, v3, 0
	;; [unrolled: 1-line block ×3, first 2 shown]
	s_delay_alu instid0(VALU_DEP_3) | instskip(NEXT) | instid1(VALU_DEP_4)
	v_add_co_u32 v3, vcc_lo, v9, v11
	v_add_co_ci_u32_e32 v5, vcc_lo, 0, v12, vcc_lo
	s_delay_alu instid0(VALU_DEP_2) | instskip(NEXT) | instid1(VALU_DEP_2)
	v_add_co_u32 v3, vcc_lo, v3, v13
	v_add_co_ci_u32_e32 v3, vcc_lo, v5, v14, vcc_lo
	v_add_co_ci_u32_e32 v5, vcc_lo, 0, v16, vcc_lo
	s_delay_alu instid0(VALU_DEP_2) | instskip(NEXT) | instid1(VALU_DEP_2)
	v_add_co_u32 v3, vcc_lo, v3, v15
	v_add_co_ci_u32_e32 v5, vcc_lo, 0, v5, vcc_lo
	s_delay_alu instid0(VALU_DEP_2) | instskip(SKIP_1) | instid1(VALU_DEP_3)
	v_mul_lo_u32 v9, s29, v3
	v_mad_u64_u32 v[11:12], null, s28, v3, 0
	v_mul_lo_u32 v13, s28, v5
	s_delay_alu instid0(VALU_DEP_2) | instskip(NEXT) | instid1(VALU_DEP_2)
	v_sub_co_u32 v11, vcc_lo, v21, v11
	v_add3_u32 v9, v12, v13, v9
	s_delay_alu instid0(VALU_DEP_1) | instskip(NEXT) | instid1(VALU_DEP_1)
	v_sub_nc_u32_e32 v12, v7, v9
	v_subrev_co_ci_u32_e64 v12, s0, s29, v12, vcc_lo
	v_add_co_u32 v13, s0, v3, 2
	s_delay_alu instid0(VALU_DEP_1) | instskip(SKIP_3) | instid1(VALU_DEP_3)
	v_add_co_ci_u32_e64 v14, s0, 0, v5, s0
	v_sub_co_u32 v15, s0, v11, s28
	v_sub_co_ci_u32_e32 v7, vcc_lo, v7, v9, vcc_lo
	v_subrev_co_ci_u32_e64 v12, s0, 0, v12, s0
	v_cmp_le_u32_e32 vcc_lo, s28, v15
	s_delay_alu instid0(VALU_DEP_3) | instskip(SKIP_1) | instid1(VALU_DEP_4)
	v_cmp_eq_u32_e64 s0, s29, v7
	v_cndmask_b32_e64 v9, 0, -1, vcc_lo
	v_cmp_le_u32_e32 vcc_lo, s29, v12
	v_cndmask_b32_e64 v15, 0, -1, vcc_lo
	v_cmp_le_u32_e32 vcc_lo, s28, v11
	;; [unrolled: 2-line block ×3, first 2 shown]
	v_cndmask_b32_e64 v16, 0, -1, vcc_lo
	v_cmp_eq_u32_e32 vcc_lo, s29, v12
	s_delay_alu instid0(VALU_DEP_2) | instskip(SKIP_3) | instid1(VALU_DEP_3)
	v_cndmask_b32_e64 v7, v16, v11, s0
	v_cndmask_b32_e32 v9, v15, v9, vcc_lo
	v_add_co_u32 v12, vcc_lo, v3, 1
	v_add_co_ci_u32_e32 v15, vcc_lo, 0, v5, vcc_lo
	v_cmp_ne_u32_e32 vcc_lo, 0, v9
	s_delay_alu instid0(VALU_DEP_2) | instskip(NEXT) | instid1(VALU_DEP_4)
	v_cndmask_b32_e32 v9, v15, v14, vcc_lo
	v_cndmask_b32_e32 v11, v12, v13, vcc_lo
	v_cmp_ne_u32_e32 vcc_lo, 0, v7
	v_xor_b32_e32 v7, s24, v17
	s_delay_alu instid0(VALU_DEP_3) | instskip(SKIP_2) | instid1(VALU_DEP_3)
	v_cndmask_b32_e32 v3, v3, v11, vcc_lo
	v_cndmask_b32_e32 v5, v5, v9, vcc_lo
	v_xor_b32_e32 v9, s25, v17
	v_xor_b32_e32 v3, v3, v7
	s_delay_alu instid0(VALU_DEP_2) | instskip(NEXT) | instid1(VALU_DEP_2)
	v_xor_b32_e32 v5, v5, v9
	v_sub_co_u32 v12, vcc_lo, v3, v7
	s_delay_alu instid0(VALU_DEP_2)
	v_sub_co_ci_u32_e32 v13, vcc_lo, v5, v9, vcc_lo
.LBB73_28:                              ;   in Loop: Header=BB73_22 Depth=2
	s_and_not1_saveexec_b32 s0, s46
	s_cbranch_execz .LBB73_30
; %bb.29:                               ;   in Loop: Header=BB73_22 Depth=2
	v_cvt_f32_u32_e32 v3, s45
	s_sub_i32 s24, 0, s45
	v_mov_b32_e32 v13, v2
	s_delay_alu instid0(VALU_DEP_2) | instskip(SKIP_2) | instid1(VALU_DEP_1)
	v_rcp_iflag_f32_e32 v3, v3
	s_waitcnt_depctr 0xfff
	v_mul_f32_e32 v3, 0x4f7ffffe, v3
	v_cvt_u32_f32_e32 v3, v3
	s_delay_alu instid0(VALU_DEP_1) | instskip(NEXT) | instid1(VALU_DEP_1)
	v_mul_lo_u32 v5, s24, v3
	v_mul_hi_u32 v5, v3, v5
	s_delay_alu instid0(VALU_DEP_1) | instskip(NEXT) | instid1(VALU_DEP_1)
	v_add_nc_u32_e32 v3, v3, v5
	v_mul_hi_u32 v3, v10, v3
	s_delay_alu instid0(VALU_DEP_1) | instskip(SKIP_1) | instid1(VALU_DEP_2)
	v_mul_lo_u32 v5, v3, s45
	v_add_nc_u32_e32 v7, 1, v3
	v_sub_nc_u32_e32 v5, v10, v5
	s_delay_alu instid0(VALU_DEP_1) | instskip(SKIP_1) | instid1(VALU_DEP_4)
	v_cmp_le_u32_e32 vcc_lo, s45, v5
	v_subrev_nc_u32_e32 v9, s45, v5
	v_cndmask_b32_e32 v3, v3, v7, vcc_lo
	s_delay_alu instid0(VALU_DEP_1) | instskip(NEXT) | instid1(VALU_DEP_3)
	v_add_nc_u32_e32 v7, 1, v3
	v_cndmask_b32_e32 v5, v5, v9, vcc_lo
	s_delay_alu instid0(VALU_DEP_1) | instskip(NEXT) | instid1(VALU_DEP_3)
	v_cmp_le_u32_e32 vcc_lo, s45, v5
	v_cndmask_b32_e32 v12, v3, v7, vcc_lo
.LBB73_30:                              ;   in Loop: Header=BB73_22 Depth=2
	s_or_b32 exec_lo, exec_lo, s0
	s_add_u32 s28, s36, s26
	s_addc_u32 s29, s37, s27
	s_add_i32 s24, s16, -2
	s_mov_b32 s25, s17
                                        ; implicit-def: $vgpr14_vgpr15
	s_delay_alu instid0(SALU_CYCLE_1) | instskip(NEXT) | instid1(SALU_CYCLE_1)
	s_lshl_b64 s[24:25], s[24:25], 2
	s_add_u32 s26, s31, s24
	s_addc_u32 s27, s33, s25
	s_clause 0x2
	s_load_b32 s48, s[26:27], 0x8
	s_load_b32 s46, s[22:23], 0x6c
	;; [unrolled: 1-line block ×3, first 2 shown]
	s_mov_b32 s22, exec_lo
	s_waitcnt lgkmcnt(0)
	s_ashr_i32 s0, s48, 31
	s_delay_alu instid0(SALU_CYCLE_1) | instskip(NEXT) | instid1(VALU_DEP_1)
	v_or_b32_e32 v3, s0, v13
	v_cmpx_ne_u64_e32 0, v[2:3]
	s_xor_b32 s49, exec_lo, s22
	s_cbranch_execz .LBB73_32
; %bb.31:                               ;   in Loop: Header=BB73_22 Depth=2
	s_add_u32 s28, s48, s0
	s_mov_b32 s22, s0
	s_mov_b32 s23, s0
	s_addc_u32 s29, s0, s0
	s_delay_alu instid0(SALU_CYCLE_1) | instskip(NEXT) | instid1(SALU_CYCLE_1)
	s_xor_b64 s[28:29], s[28:29], s[22:23]
	v_cvt_f32_u32_e32 v3, s28
	v_cvt_f32_u32_e32 v5, s29
	s_sub_u32 s0, 0, s28
	s_subb_u32 s50, 0, s29
	s_delay_alu instid0(VALU_DEP_1) | instskip(NEXT) | instid1(VALU_DEP_1)
	v_fmac_f32_e32 v3, 0x4f800000, v5
	v_rcp_f32_e32 v3, v3
	s_waitcnt_depctr 0xfff
	v_mul_f32_e32 v3, 0x5f7ffffc, v3
	s_delay_alu instid0(VALU_DEP_1) | instskip(NEXT) | instid1(VALU_DEP_1)
	v_mul_f32_e32 v5, 0x2f800000, v3
	v_trunc_f32_e32 v5, v5
	s_delay_alu instid0(VALU_DEP_1) | instskip(SKIP_1) | instid1(VALU_DEP_2)
	v_fmac_f32_e32 v3, 0xcf800000, v5
	v_cvt_u32_f32_e32 v5, v5
	v_cvt_u32_f32_e32 v3, v3
	s_delay_alu instid0(VALU_DEP_2) | instskip(NEXT) | instid1(VALU_DEP_2)
	v_mul_lo_u32 v7, s0, v5
	v_mul_hi_u32 v9, s0, v3
	v_mul_lo_u32 v11, s50, v3
	s_delay_alu instid0(VALU_DEP_2) | instskip(SKIP_1) | instid1(VALU_DEP_2)
	v_add_nc_u32_e32 v7, v9, v7
	v_mul_lo_u32 v9, s0, v3
	v_add_nc_u32_e32 v7, v7, v11
	s_delay_alu instid0(VALU_DEP_2) | instskip(NEXT) | instid1(VALU_DEP_2)
	v_mul_hi_u32 v11, v3, v9
	v_mul_lo_u32 v14, v3, v7
	v_mul_hi_u32 v15, v3, v7
	v_mul_hi_u32 v16, v5, v9
	v_mul_lo_u32 v9, v5, v9
	v_mul_hi_u32 v17, v5, v7
	v_mul_lo_u32 v7, v5, v7
	v_add_co_u32 v11, vcc_lo, v11, v14
	v_add_co_ci_u32_e32 v14, vcc_lo, 0, v15, vcc_lo
	s_delay_alu instid0(VALU_DEP_2) | instskip(NEXT) | instid1(VALU_DEP_2)
	v_add_co_u32 v9, vcc_lo, v11, v9
	v_add_co_ci_u32_e32 v9, vcc_lo, v14, v16, vcc_lo
	v_add_co_ci_u32_e32 v11, vcc_lo, 0, v17, vcc_lo
	v_ashrrev_i32_e32 v17, 31, v13
	s_delay_alu instid0(VALU_DEP_3) | instskip(NEXT) | instid1(VALU_DEP_3)
	v_add_co_u32 v7, vcc_lo, v9, v7
	v_add_co_ci_u32_e32 v9, vcc_lo, 0, v11, vcc_lo
	s_delay_alu instid0(VALU_DEP_2) | instskip(NEXT) | instid1(VALU_DEP_2)
	v_add_co_u32 v3, vcc_lo, v3, v7
	v_add_co_ci_u32_e32 v5, vcc_lo, v5, v9, vcc_lo
	s_delay_alu instid0(VALU_DEP_2) | instskip(SKIP_1) | instid1(VALU_DEP_3)
	v_mul_hi_u32 v7, s0, v3
	v_mul_lo_u32 v11, s50, v3
	v_mul_lo_u32 v9, s0, v5
	s_delay_alu instid0(VALU_DEP_1) | instskip(SKIP_1) | instid1(VALU_DEP_2)
	v_add_nc_u32_e32 v7, v7, v9
	v_mul_lo_u32 v9, s0, v3
	v_add_nc_u32_e32 v7, v7, v11
	s_delay_alu instid0(VALU_DEP_2) | instskip(NEXT) | instid1(VALU_DEP_2)
	v_mul_hi_u32 v11, v3, v9
	v_mul_lo_u32 v14, v3, v7
	v_mul_hi_u32 v15, v3, v7
	v_mul_hi_u32 v16, v5, v9
	v_mul_lo_u32 v9, v5, v9
	v_mul_hi_u32 v21, v5, v7
	v_mul_lo_u32 v7, v5, v7
	v_add_co_u32 v11, vcc_lo, v11, v14
	v_add_co_ci_u32_e32 v14, vcc_lo, 0, v15, vcc_lo
	s_delay_alu instid0(VALU_DEP_2) | instskip(NEXT) | instid1(VALU_DEP_2)
	v_add_co_u32 v9, vcc_lo, v11, v9
	v_add_co_ci_u32_e32 v9, vcc_lo, v14, v16, vcc_lo
	v_add_co_ci_u32_e32 v11, vcc_lo, 0, v21, vcc_lo
	v_add_co_u32 v14, vcc_lo, v12, v17
	v_add_co_ci_u32_e32 v13, vcc_lo, v13, v17, vcc_lo
	s_delay_alu instid0(VALU_DEP_4) | instskip(NEXT) | instid1(VALU_DEP_4)
	v_add_co_u32 v7, vcc_lo, v9, v7
	v_add_co_ci_u32_e32 v9, vcc_lo, 0, v11, vcc_lo
	s_delay_alu instid0(VALU_DEP_4) | instskip(NEXT) | instid1(VALU_DEP_3)
	v_xor_b32_e32 v11, v14, v17
	v_add_co_u32 v3, vcc_lo, v3, v7
	s_delay_alu instid0(VALU_DEP_3) | instskip(SKIP_1) | instid1(VALU_DEP_3)
	v_add_co_ci_u32_e32 v5, vcc_lo, v5, v9, vcc_lo
	v_xor_b32_e32 v7, v13, v17
	v_mul_hi_u32 v9, v11, v3
	s_delay_alu instid0(VALU_DEP_3) | instskip(NEXT) | instid1(VALU_DEP_3)
	v_mad_u64_u32 v[13:14], null, v11, v5, 0
	v_mad_u64_u32 v[15:16], null, v7, v3, 0
	;; [unrolled: 1-line block ×3, first 2 shown]
	s_delay_alu instid0(VALU_DEP_3) | instskip(NEXT) | instid1(VALU_DEP_4)
	v_add_co_u32 v3, vcc_lo, v9, v13
	v_add_co_ci_u32_e32 v5, vcc_lo, 0, v14, vcc_lo
	s_delay_alu instid0(VALU_DEP_2) | instskip(NEXT) | instid1(VALU_DEP_2)
	v_add_co_u32 v3, vcc_lo, v3, v15
	v_add_co_ci_u32_e32 v3, vcc_lo, v5, v16, vcc_lo
	v_add_co_ci_u32_e32 v5, vcc_lo, 0, v22, vcc_lo
	s_delay_alu instid0(VALU_DEP_2) | instskip(NEXT) | instid1(VALU_DEP_2)
	v_add_co_u32 v3, vcc_lo, v3, v21
	v_add_co_ci_u32_e32 v5, vcc_lo, 0, v5, vcc_lo
	s_delay_alu instid0(VALU_DEP_2) | instskip(SKIP_1) | instid1(VALU_DEP_3)
	v_mul_lo_u32 v9, s29, v3
	v_mad_u64_u32 v[13:14], null, s28, v3, 0
	v_mul_lo_u32 v15, s28, v5
	s_delay_alu instid0(VALU_DEP_2) | instskip(NEXT) | instid1(VALU_DEP_2)
	v_sub_co_u32 v11, vcc_lo, v11, v13
	v_add3_u32 v9, v14, v15, v9
	s_delay_alu instid0(VALU_DEP_1) | instskip(NEXT) | instid1(VALU_DEP_1)
	v_sub_nc_u32_e32 v14, v7, v9
	v_subrev_co_ci_u32_e64 v13, s0, s29, v14, vcc_lo
	v_add_co_u32 v14, s0, v3, 2
	s_delay_alu instid0(VALU_DEP_1) | instskip(SKIP_3) | instid1(VALU_DEP_3)
	v_add_co_ci_u32_e64 v15, s0, 0, v5, s0
	v_sub_co_u32 v16, s0, v11, s28
	v_sub_co_ci_u32_e32 v7, vcc_lo, v7, v9, vcc_lo
	v_subrev_co_ci_u32_e64 v13, s0, 0, v13, s0
	v_cmp_le_u32_e32 vcc_lo, s28, v16
	s_delay_alu instid0(VALU_DEP_3) | instskip(SKIP_1) | instid1(VALU_DEP_4)
	v_cmp_eq_u32_e64 s0, s29, v7
	v_cndmask_b32_e64 v9, 0, -1, vcc_lo
	v_cmp_le_u32_e32 vcc_lo, s29, v13
	v_cndmask_b32_e64 v16, 0, -1, vcc_lo
	v_cmp_le_u32_e32 vcc_lo, s28, v11
	;; [unrolled: 2-line block ×3, first 2 shown]
	v_cndmask_b32_e64 v21, 0, -1, vcc_lo
	v_cmp_eq_u32_e32 vcc_lo, s29, v13
	s_delay_alu instid0(VALU_DEP_2) | instskip(SKIP_3) | instid1(VALU_DEP_3)
	v_cndmask_b32_e64 v7, v21, v11, s0
	v_cndmask_b32_e32 v9, v16, v9, vcc_lo
	v_add_co_u32 v13, vcc_lo, v3, 1
	v_add_co_ci_u32_e32 v16, vcc_lo, 0, v5, vcc_lo
	v_cmp_ne_u32_e32 vcc_lo, 0, v9
	s_delay_alu instid0(VALU_DEP_2) | instskip(NEXT) | instid1(VALU_DEP_4)
	v_cndmask_b32_e32 v9, v16, v15, vcc_lo
	v_cndmask_b32_e32 v11, v13, v14, vcc_lo
	v_cmp_ne_u32_e32 vcc_lo, 0, v7
	v_xor_b32_e32 v7, s22, v17
	s_delay_alu instid0(VALU_DEP_3) | instskip(SKIP_2) | instid1(VALU_DEP_3)
	v_cndmask_b32_e32 v3, v3, v11, vcc_lo
	v_cndmask_b32_e32 v5, v5, v9, vcc_lo
	v_xor_b32_e32 v9, s23, v17
	v_xor_b32_e32 v3, v3, v7
	s_delay_alu instid0(VALU_DEP_2) | instskip(NEXT) | instid1(VALU_DEP_2)
	v_xor_b32_e32 v5, v5, v9
	v_sub_co_u32 v14, vcc_lo, v3, v7
	s_delay_alu instid0(VALU_DEP_2)
	v_sub_co_ci_u32_e32 v15, vcc_lo, v5, v9, vcc_lo
.LBB73_32:                              ;   in Loop: Header=BB73_22 Depth=2
	s_and_not1_saveexec_b32 s0, s49
	s_cbranch_execz .LBB73_34
; %bb.33:                               ;   in Loop: Header=BB73_22 Depth=2
	v_cvt_f32_u32_e32 v3, s48
	s_sub_i32 s22, 0, s48
	v_mov_b32_e32 v15, v2
	s_delay_alu instid0(VALU_DEP_2) | instskip(SKIP_2) | instid1(VALU_DEP_1)
	v_rcp_iflag_f32_e32 v3, v3
	s_waitcnt_depctr 0xfff
	v_mul_f32_e32 v3, 0x4f7ffffe, v3
	v_cvt_u32_f32_e32 v3, v3
	s_delay_alu instid0(VALU_DEP_1) | instskip(NEXT) | instid1(VALU_DEP_1)
	v_mul_lo_u32 v5, s22, v3
	v_mul_hi_u32 v5, v3, v5
	s_delay_alu instid0(VALU_DEP_1) | instskip(NEXT) | instid1(VALU_DEP_1)
	v_add_nc_u32_e32 v3, v3, v5
	v_mul_hi_u32 v3, v12, v3
	s_delay_alu instid0(VALU_DEP_1) | instskip(SKIP_1) | instid1(VALU_DEP_2)
	v_mul_lo_u32 v5, v3, s48
	v_add_nc_u32_e32 v7, 1, v3
	v_sub_nc_u32_e32 v5, v12, v5
	s_delay_alu instid0(VALU_DEP_1) | instskip(SKIP_1) | instid1(VALU_DEP_4)
	v_cmp_le_u32_e32 vcc_lo, s48, v5
	v_subrev_nc_u32_e32 v9, s48, v5
	v_cndmask_b32_e32 v3, v3, v7, vcc_lo
	s_delay_alu instid0(VALU_DEP_1) | instskip(NEXT) | instid1(VALU_DEP_3)
	v_add_nc_u32_e32 v7, 1, v3
	v_cndmask_b32_e32 v5, v5, v9, vcc_lo
	s_delay_alu instid0(VALU_DEP_1) | instskip(NEXT) | instid1(VALU_DEP_3)
	v_cmp_le_u32_e32 vcc_lo, s48, v5
	v_cndmask_b32_e32 v14, v3, v7, vcc_lo
.LBB73_34:                              ;   in Loop: Header=BB73_22 Depth=2
	s_or_b32 exec_lo, exec_lo, s0
	s_add_u32 s28, s36, s24
	s_addc_u32 s29, s37, s25
	s_add_i32 s22, s16, -3
	s_mov_b32 s23, s17
                                        ; implicit-def: $vgpr16_vgpr17
	s_delay_alu instid0(SALU_CYCLE_1) | instskip(NEXT) | instid1(SALU_CYCLE_1)
	s_lshl_b64 s[24:25], s[22:23], 2
	s_add_u32 s22, s31, s24
	s_addc_u32 s23, s33, s25
	s_clause 0x2
	s_load_b32 s51, s[22:23], 0x8
	s_load_b32 s49, s[26:27], 0x6c
	s_load_b32 s50, s[28:29], 0x0
	s_mov_b32 s26, exec_lo
	s_waitcnt lgkmcnt(0)
	s_ashr_i32 s0, s51, 31
	s_delay_alu instid0(SALU_CYCLE_1) | instskip(NEXT) | instid1(VALU_DEP_1)
	v_or_b32_e32 v3, s0, v15
	v_cmpx_ne_u64_e32 0, v[2:3]
	s_xor_b32 s52, exec_lo, s26
	s_cbranch_execz .LBB73_36
; %bb.35:                               ;   in Loop: Header=BB73_22 Depth=2
	s_add_u32 s28, s51, s0
	s_mov_b32 s26, s0
	s_mov_b32 s27, s0
	s_addc_u32 s29, s0, s0
	s_delay_alu instid0(SALU_CYCLE_1) | instskip(NEXT) | instid1(SALU_CYCLE_1)
	s_xor_b64 s[28:29], s[28:29], s[26:27]
	v_cvt_f32_u32_e32 v3, s28
	v_cvt_f32_u32_e32 v5, s29
	s_sub_u32 s0, 0, s28
	s_subb_u32 s53, 0, s29
	s_delay_alu instid0(VALU_DEP_1) | instskip(NEXT) | instid1(VALU_DEP_1)
	v_fmac_f32_e32 v3, 0x4f800000, v5
	v_rcp_f32_e32 v3, v3
	s_waitcnt_depctr 0xfff
	v_mul_f32_e32 v3, 0x5f7ffffc, v3
	s_delay_alu instid0(VALU_DEP_1) | instskip(NEXT) | instid1(VALU_DEP_1)
	v_mul_f32_e32 v5, 0x2f800000, v3
	v_trunc_f32_e32 v5, v5
	s_delay_alu instid0(VALU_DEP_1) | instskip(SKIP_1) | instid1(VALU_DEP_2)
	v_fmac_f32_e32 v3, 0xcf800000, v5
	v_cvt_u32_f32_e32 v5, v5
	v_cvt_u32_f32_e32 v3, v3
	s_delay_alu instid0(VALU_DEP_2) | instskip(NEXT) | instid1(VALU_DEP_2)
	v_mul_lo_u32 v7, s0, v5
	v_mul_hi_u32 v9, s0, v3
	v_mul_lo_u32 v11, s53, v3
	s_delay_alu instid0(VALU_DEP_2) | instskip(SKIP_1) | instid1(VALU_DEP_2)
	v_add_nc_u32_e32 v7, v9, v7
	v_mul_lo_u32 v9, s0, v3
	v_add_nc_u32_e32 v7, v7, v11
	s_delay_alu instid0(VALU_DEP_2) | instskip(NEXT) | instid1(VALU_DEP_2)
	v_mul_hi_u32 v11, v3, v9
	v_mul_lo_u32 v13, v3, v7
	v_mul_hi_u32 v16, v3, v7
	v_mul_hi_u32 v17, v5, v9
	v_mul_lo_u32 v9, v5, v9
	v_mul_hi_u32 v21, v5, v7
	v_mul_lo_u32 v7, v5, v7
	v_add_co_u32 v11, vcc_lo, v11, v13
	v_add_co_ci_u32_e32 v13, vcc_lo, 0, v16, vcc_lo
	s_delay_alu instid0(VALU_DEP_2) | instskip(NEXT) | instid1(VALU_DEP_2)
	v_add_co_u32 v9, vcc_lo, v11, v9
	v_add_co_ci_u32_e32 v9, vcc_lo, v13, v17, vcc_lo
	v_add_co_ci_u32_e32 v11, vcc_lo, 0, v21, vcc_lo
	v_ashrrev_i32_e32 v17, 31, v15
	s_delay_alu instid0(VALU_DEP_3) | instskip(NEXT) | instid1(VALU_DEP_3)
	v_add_co_u32 v7, vcc_lo, v9, v7
	v_add_co_ci_u32_e32 v9, vcc_lo, 0, v11, vcc_lo
	s_delay_alu instid0(VALU_DEP_2) | instskip(NEXT) | instid1(VALU_DEP_2)
	v_add_co_u32 v3, vcc_lo, v3, v7
	v_add_co_ci_u32_e32 v5, vcc_lo, v5, v9, vcc_lo
	s_delay_alu instid0(VALU_DEP_2) | instskip(SKIP_1) | instid1(VALU_DEP_3)
	v_mul_hi_u32 v7, s0, v3
	v_mul_lo_u32 v11, s53, v3
	v_mul_lo_u32 v9, s0, v5
	s_delay_alu instid0(VALU_DEP_1) | instskip(SKIP_1) | instid1(VALU_DEP_2)
	v_add_nc_u32_e32 v7, v7, v9
	v_mul_lo_u32 v9, s0, v3
	v_add_nc_u32_e32 v7, v7, v11
	s_delay_alu instid0(VALU_DEP_2) | instskip(NEXT) | instid1(VALU_DEP_2)
	v_mul_hi_u32 v11, v3, v9
	v_mul_lo_u32 v13, v3, v7
	v_mul_hi_u32 v16, v3, v7
	v_mul_hi_u32 v21, v5, v9
	v_mul_lo_u32 v9, v5, v9
	v_mul_hi_u32 v22, v5, v7
	v_mul_lo_u32 v7, v5, v7
	v_add_co_u32 v11, vcc_lo, v11, v13
	v_add_co_ci_u32_e32 v13, vcc_lo, 0, v16, vcc_lo
	s_delay_alu instid0(VALU_DEP_2) | instskip(NEXT) | instid1(VALU_DEP_2)
	v_add_co_u32 v9, vcc_lo, v11, v9
	v_add_co_ci_u32_e32 v9, vcc_lo, v13, v21, vcc_lo
	v_add_co_ci_u32_e32 v11, vcc_lo, 0, v22, vcc_lo
	v_add_co_u32 v13, vcc_lo, v14, v17
	v_add_co_ci_u32_e32 v15, vcc_lo, v15, v17, vcc_lo
	s_delay_alu instid0(VALU_DEP_4) | instskip(NEXT) | instid1(VALU_DEP_4)
	v_add_co_u32 v7, vcc_lo, v9, v7
	v_add_co_ci_u32_e32 v9, vcc_lo, 0, v11, vcc_lo
	s_delay_alu instid0(VALU_DEP_4) | instskip(NEXT) | instid1(VALU_DEP_3)
	v_xor_b32_e32 v11, v13, v17
	v_add_co_u32 v3, vcc_lo, v3, v7
	s_delay_alu instid0(VALU_DEP_3) | instskip(SKIP_1) | instid1(VALU_DEP_3)
	v_add_co_ci_u32_e32 v5, vcc_lo, v5, v9, vcc_lo
	v_xor_b32_e32 v7, v15, v17
	v_mul_hi_u32 v9, v11, v3
	s_delay_alu instid0(VALU_DEP_3) | instskip(NEXT) | instid1(VALU_DEP_3)
	v_mad_u64_u32 v[15:16], null, v11, v5, 0
	v_mad_u64_u32 v[21:22], null, v7, v3, 0
	;; [unrolled: 1-line block ×3, first 2 shown]
	s_delay_alu instid0(VALU_DEP_3) | instskip(NEXT) | instid1(VALU_DEP_4)
	v_add_co_u32 v3, vcc_lo, v9, v15
	v_add_co_ci_u32_e32 v5, vcc_lo, 0, v16, vcc_lo
	s_delay_alu instid0(VALU_DEP_2) | instskip(NEXT) | instid1(VALU_DEP_2)
	v_add_co_u32 v3, vcc_lo, v3, v21
	v_add_co_ci_u32_e32 v3, vcc_lo, v5, v22, vcc_lo
	v_add_co_ci_u32_e32 v5, vcc_lo, 0, v24, vcc_lo
	s_delay_alu instid0(VALU_DEP_2) | instskip(NEXT) | instid1(VALU_DEP_2)
	v_add_co_u32 v3, vcc_lo, v3, v23
	v_add_co_ci_u32_e32 v5, vcc_lo, 0, v5, vcc_lo
	s_delay_alu instid0(VALU_DEP_2) | instskip(SKIP_1) | instid1(VALU_DEP_3)
	v_mul_lo_u32 v9, s29, v3
	v_mad_u64_u32 v[15:16], null, s28, v3, 0
	v_mul_lo_u32 v13, s28, v5
	s_delay_alu instid0(VALU_DEP_2) | instskip(NEXT) | instid1(VALU_DEP_2)
	v_sub_co_u32 v11, vcc_lo, v11, v15
	v_add3_u32 v9, v16, v13, v9
	s_delay_alu instid0(VALU_DEP_1) | instskip(NEXT) | instid1(VALU_DEP_1)
	v_sub_nc_u32_e32 v13, v7, v9
	v_subrev_co_ci_u32_e64 v13, s0, s29, v13, vcc_lo
	v_add_co_u32 v15, s0, v3, 2
	s_delay_alu instid0(VALU_DEP_1) | instskip(SKIP_3) | instid1(VALU_DEP_3)
	v_add_co_ci_u32_e64 v16, s0, 0, v5, s0
	v_sub_co_u32 v21, s0, v11, s28
	v_sub_co_ci_u32_e32 v7, vcc_lo, v7, v9, vcc_lo
	v_subrev_co_ci_u32_e64 v13, s0, 0, v13, s0
	v_cmp_le_u32_e32 vcc_lo, s28, v21
	s_delay_alu instid0(VALU_DEP_3) | instskip(SKIP_1) | instid1(VALU_DEP_4)
	v_cmp_eq_u32_e64 s0, s29, v7
	v_cndmask_b32_e64 v9, 0, -1, vcc_lo
	v_cmp_le_u32_e32 vcc_lo, s29, v13
	v_cndmask_b32_e64 v21, 0, -1, vcc_lo
	v_cmp_le_u32_e32 vcc_lo, s28, v11
	;; [unrolled: 2-line block ×3, first 2 shown]
	v_cndmask_b32_e64 v22, 0, -1, vcc_lo
	v_cmp_eq_u32_e32 vcc_lo, s29, v13
	s_delay_alu instid0(VALU_DEP_2) | instskip(SKIP_3) | instid1(VALU_DEP_3)
	v_cndmask_b32_e64 v7, v22, v11, s0
	v_cndmask_b32_e32 v9, v21, v9, vcc_lo
	v_add_co_u32 v13, vcc_lo, v3, 1
	v_add_co_ci_u32_e32 v21, vcc_lo, 0, v5, vcc_lo
	v_cmp_ne_u32_e32 vcc_lo, 0, v9
	s_delay_alu instid0(VALU_DEP_2) | instskip(NEXT) | instid1(VALU_DEP_4)
	v_cndmask_b32_e32 v9, v21, v16, vcc_lo
	v_cndmask_b32_e32 v11, v13, v15, vcc_lo
	v_cmp_ne_u32_e32 vcc_lo, 0, v7
	v_xor_b32_e32 v7, s26, v17
	s_delay_alu instid0(VALU_DEP_3) | instskip(SKIP_2) | instid1(VALU_DEP_3)
	v_cndmask_b32_e32 v3, v3, v11, vcc_lo
	v_cndmask_b32_e32 v5, v5, v9, vcc_lo
	v_xor_b32_e32 v9, s27, v17
	v_xor_b32_e32 v3, v3, v7
	s_delay_alu instid0(VALU_DEP_2) | instskip(NEXT) | instid1(VALU_DEP_2)
	v_xor_b32_e32 v5, v5, v9
	v_sub_co_u32 v16, vcc_lo, v3, v7
	s_delay_alu instid0(VALU_DEP_2)
	v_sub_co_ci_u32_e32 v17, vcc_lo, v5, v9, vcc_lo
.LBB73_36:                              ;   in Loop: Header=BB73_22 Depth=2
	s_and_not1_saveexec_b32 s0, s52
	s_cbranch_execz .LBB73_38
; %bb.37:                               ;   in Loop: Header=BB73_22 Depth=2
	v_cvt_f32_u32_e32 v3, s51
	s_sub_i32 s26, 0, s51
	v_mov_b32_e32 v17, v2
	s_delay_alu instid0(VALU_DEP_2) | instskip(SKIP_2) | instid1(VALU_DEP_1)
	v_rcp_iflag_f32_e32 v3, v3
	s_waitcnt_depctr 0xfff
	v_mul_f32_e32 v3, 0x4f7ffffe, v3
	v_cvt_u32_f32_e32 v3, v3
	s_delay_alu instid0(VALU_DEP_1) | instskip(NEXT) | instid1(VALU_DEP_1)
	v_mul_lo_u32 v5, s26, v3
	v_mul_hi_u32 v5, v3, v5
	s_delay_alu instid0(VALU_DEP_1) | instskip(NEXT) | instid1(VALU_DEP_1)
	v_add_nc_u32_e32 v3, v3, v5
	v_mul_hi_u32 v3, v14, v3
	s_delay_alu instid0(VALU_DEP_1) | instskip(SKIP_1) | instid1(VALU_DEP_2)
	v_mul_lo_u32 v5, v3, s51
	v_add_nc_u32_e32 v7, 1, v3
	v_sub_nc_u32_e32 v5, v14, v5
	s_delay_alu instid0(VALU_DEP_1) | instskip(SKIP_1) | instid1(VALU_DEP_4)
	v_cmp_le_u32_e32 vcc_lo, s51, v5
	v_subrev_nc_u32_e32 v9, s51, v5
	v_cndmask_b32_e32 v3, v3, v7, vcc_lo
	s_delay_alu instid0(VALU_DEP_1) | instskip(NEXT) | instid1(VALU_DEP_3)
	v_add_nc_u32_e32 v7, 1, v3
	v_cndmask_b32_e32 v5, v5, v9, vcc_lo
	s_delay_alu instid0(VALU_DEP_1) | instskip(NEXT) | instid1(VALU_DEP_3)
	v_cmp_le_u32_e32 vcc_lo, s51, v5
	v_cndmask_b32_e32 v16, v3, v7, vcc_lo
.LBB73_38:                              ;   in Loop: Header=BB73_22 Depth=2
	s_or_b32 exec_lo, exec_lo, s0
	s_add_u32 s24, s36, s24
	s_addc_u32 s25, s37, s25
	v_mul_lo_u32 v3, v10, s13
	s_clause 0x1
	s_load_b32 s0, s[22:23], 0x6c
	s_load_b32 s13, s[24:25], 0x0
	v_mul_lo_u32 v5, v12, s45
	v_mul_lo_u32 v7, v14, s48
	;; [unrolled: 1-line block ×3, first 2 shown]
	s_add_i32 s16, s16, -4
	s_delay_alu instid0(SALU_CYCLE_1) | instskip(SKIP_1) | instid1(VALU_DEP_4)
	s_cmp_eq_u32 s16, -1
	v_sub_nc_u32_e32 v3, v8, v3
	v_sub_nc_u32_e32 v5, v10, v5
	s_delay_alu instid0(VALU_DEP_4) | instskip(NEXT) | instid1(VALU_DEP_4)
	v_sub_nc_u32_e32 v7, v12, v7
	v_sub_nc_u32_e32 v8, v14, v9
	s_delay_alu instid0(VALU_DEP_4)
	v_mul_lo_u32 v9, s43, v3
	v_mul_lo_u32 v3, s44, v3
	;; [unrolled: 1-line block ×6, first 2 shown]
	s_waitcnt lgkmcnt(0)
	v_mul_lo_u32 v12, s0, v8
	v_mul_lo_u32 v8, s13, v8
	v_add3_u32 v6, v9, v6, v10
	v_add3_u32 v3, v3, v4, v5
	s_delay_alu instid0(VALU_DEP_2) | instskip(NEXT) | instid1(VALU_DEP_2)
	v_add3_u32 v6, v11, v6, v12
	v_add3_u32 v4, v7, v3, v8
	s_cbranch_scc1 .LBB73_40
; %bb.39:                               ;   in Loop: Header=BB73_22 Depth=2
	v_dual_mov_b32 v8, v16 :: v_dual_mov_b32 v9, v17
	s_branch .LBB73_22
.LBB73_40:                              ;   in Loop: Header=BB73_3 Depth=1
	v_sub_nc_u32_e32 v5, v19, v20
	v_mov_b32_e32 v7, 0
	s_mov_b32 s13, exec_lo
	s_delay_alu instid0(VALU_DEP_2) | instskip(NEXT) | instid1(VALU_DEP_1)
	v_dual_mov_b32 v8, 0 :: v_dual_add_nc_u32 v9, 2, v5
	v_dual_mov_b32 v12, v8 :: v_dual_mov_b32 v11, v7
	s_delay_alu instid0(VALU_DEP_2) | instskip(NEXT) | instid1(VALU_DEP_1)
	v_ashrrev_i32_e32 v10, 31, v9
	v_cmpx_le_i64_e64 s[4:5], v[9:10]
	s_cbranch_execz .LBB73_46
; %bb.41:                               ;   in Loop: Header=BB73_3 Depth=1
	v_mov_b32_e32 v7, 0
	v_mov_b32_e32 v8, 0
	s_mov_b32 s0, exec_lo
	s_delay_alu instid0(VALU_DEP_1)
	v_dual_mov_b32 v10, v8 :: v_dual_mov_b32 v9, v7
	v_cmpx_gt_i32_e64 s9, v19
	s_cbranch_execz .LBB73_45
; %bb.42:                               ;   in Loop: Header=BB73_3 Depth=1
	v_ashrrev_i32_e32 v7, 31, v6
	v_mov_b32_e32 v9, 0
	v_dual_mov_b32 v10, 0 :: v_dual_add_nc_u32 v3, 1, v19
	s_mov_b32 s16, exec_lo
	s_delay_alu instid0(VALU_DEP_3) | instskip(NEXT) | instid1(VALU_DEP_1)
	v_lshlrev_b64 v[6:7], 3, v[6:7]
	v_add_co_u32 v11, vcc_lo, s2, v6
	s_delay_alu instid0(VALU_DEP_2)
	v_add_co_ci_u32_e32 v12, vcc_lo, s3, v7, vcc_lo
	global_load_b64 v[7:8], v[11:12], off
	v_cmpx_gt_i32_e64 s9, v3
	s_xor_b32 s16, exec_lo, s16
	s_cbranch_execz .LBB73_44
; %bb.43:                               ;   in Loop: Header=BB73_3 Depth=1
	s_lshl_b64 s[22:23], s[18:19], 3
	s_delay_alu instid0(SALU_CYCLE_1)
	v_add_co_u32 v9, vcc_lo, v11, s22
	v_add_co_ci_u32_e32 v10, vcc_lo, s23, v12, vcc_lo
	global_load_b64 v[9:10], v[9:10], off
.LBB73_44:                              ;   in Loop: Header=BB73_3 Depth=1
	s_or_b32 exec_lo, exec_lo, s16
.LBB73_45:                              ;   in Loop: Header=BB73_3 Depth=1
	s_delay_alu instid0(SALU_CYCLE_1) | instskip(SKIP_1) | instid1(VALU_DEP_1)
	s_or_b32 exec_lo, exec_lo, s0
	v_ashrrev_i32_e32 v6, 31, v5
	v_cmp_le_i64_e32 vcc_lo, s[4:5], v[5:6]
	v_add_nc_u32_e32 v11, 1, v5
	s_delay_alu instid0(VALU_DEP_1) | instskip(NEXT) | instid1(VALU_DEP_1)
	v_ashrrev_i32_e32 v12, 31, v11
	v_cmp_le_i64_e64 s0, s[4:5], v[11:12]
	s_waitcnt vmcnt(0)
	v_dual_cndmask_b32 v12, 0, v8 :: v_dual_cndmask_b32 v11, 0, v7
	s_delay_alu instid0(VALU_DEP_2)
	v_cndmask_b32_e64 v8, 0, v10, s0
	v_cndmask_b32_e64 v7, 0, v9, s0
.LBB73_46:                              ;   in Loop: Header=BB73_3 Depth=1
	s_or_b32 exec_lo, exec_lo, s13
	s_delay_alu instid0(SALU_CYCLE_1)
	s_mov_b32 s0, exec_lo
	v_cmpx_gt_i32_e64 s9, v19
	s_cbranch_execz .LBB73_2
; %bb.47:                               ;   in Loop: Header=BB73_3 Depth=1
	v_ashrrev_i32_e32 v5, 31, v4
	s_mov_b32 s13, exec_lo
	s_delay_alu instid0(VALU_DEP_1) | instskip(SKIP_1) | instid1(VALU_DEP_2)
	v_lshlrev_b64 v[3:4], 3, v[4:5]
	v_add_nc_u32_e32 v5, 1, v19
	v_add_co_u32 v3, vcc_lo, s14, v3
	s_delay_alu instid0(VALU_DEP_3)
	v_add_co_ci_u32_e32 v4, vcc_lo, s15, v4, vcc_lo
	global_store_b64 v[3:4], v[11:12], off
	v_cmpx_gt_i32_e64 s9, v5
	s_xor_b32 s13, exec_lo, s13
	s_cbranch_execz .LBB73_2
; %bb.48:                               ;   in Loop: Header=BB73_3 Depth=1
	s_lshl_b64 s[22:23], s[20:21], 3
	s_delay_alu instid0(SALU_CYCLE_1)
	v_add_co_u32 v3, vcc_lo, v3, s22
	v_add_co_ci_u32_e32 v4, vcc_lo, s23, v4, vcc_lo
	global_store_b64 v[3:4], v[7:8], off
	s_branch .LBB73_2
.LBB73_49:
	s_nop 0
	s_sendmsg sendmsg(MSG_DEALLOC_VGPRS)
	s_endpgm
	.section	.rodata,"a",@progbits
	.p2align	6, 0x0
	.amdhsa_kernel _ZN2at6native16triu_tril_kernelIdiLb1ELi2ELb0EEEvNS_4cuda6detail10TensorInfoIT_T0_EENS4_IKS5_S6_EEllS6_
		.amdhsa_group_segment_fixed_size 0
		.amdhsa_private_segment_fixed_size 0
		.amdhsa_kernarg_size 712
		.amdhsa_user_sgpr_count 15
		.amdhsa_user_sgpr_dispatch_ptr 0
		.amdhsa_user_sgpr_queue_ptr 0
		.amdhsa_user_sgpr_kernarg_segment_ptr 1
		.amdhsa_user_sgpr_dispatch_id 0
		.amdhsa_user_sgpr_private_segment_size 0
		.amdhsa_wavefront_size32 1
		.amdhsa_uses_dynamic_stack 0
		.amdhsa_enable_private_segment 0
		.amdhsa_system_sgpr_workgroup_id_x 1
		.amdhsa_system_sgpr_workgroup_id_y 0
		.amdhsa_system_sgpr_workgroup_id_z 0
		.amdhsa_system_sgpr_workgroup_info 0
		.amdhsa_system_vgpr_workitem_id 0
		.amdhsa_next_free_vgpr 25
		.amdhsa_next_free_sgpr 54
		.amdhsa_reserve_vcc 1
		.amdhsa_float_round_mode_32 0
		.amdhsa_float_round_mode_16_64 0
		.amdhsa_float_denorm_mode_32 3
		.amdhsa_float_denorm_mode_16_64 3
		.amdhsa_dx10_clamp 1
		.amdhsa_ieee_mode 1
		.amdhsa_fp16_overflow 0
		.amdhsa_workgroup_processor_mode 1
		.amdhsa_memory_ordered 1
		.amdhsa_forward_progress 0
		.amdhsa_shared_vgpr_count 0
		.amdhsa_exception_fp_ieee_invalid_op 0
		.amdhsa_exception_fp_denorm_src 0
		.amdhsa_exception_fp_ieee_div_zero 0
		.amdhsa_exception_fp_ieee_overflow 0
		.amdhsa_exception_fp_ieee_underflow 0
		.amdhsa_exception_fp_ieee_inexact 0
		.amdhsa_exception_int_div_zero 0
	.end_amdhsa_kernel
	.section	.text._ZN2at6native16triu_tril_kernelIdiLb1ELi2ELb0EEEvNS_4cuda6detail10TensorInfoIT_T0_EENS4_IKS5_S6_EEllS6_,"axG",@progbits,_ZN2at6native16triu_tril_kernelIdiLb1ELi2ELb0EEEvNS_4cuda6detail10TensorInfoIT_T0_EENS4_IKS5_S6_EEllS6_,comdat
.Lfunc_end73:
	.size	_ZN2at6native16triu_tril_kernelIdiLb1ELi2ELb0EEEvNS_4cuda6detail10TensorInfoIT_T0_EENS4_IKS5_S6_EEllS6_, .Lfunc_end73-_ZN2at6native16triu_tril_kernelIdiLb1ELi2ELb0EEEvNS_4cuda6detail10TensorInfoIT_T0_EENS4_IKS5_S6_EEllS6_
                                        ; -- End function
	.section	.AMDGPU.csdata,"",@progbits
; Kernel info:
; codeLenInByte = 8400
; NumSgprs: 56
; NumVgprs: 25
; ScratchSize: 0
; MemoryBound: 0
; FloatMode: 240
; IeeeMode: 1
; LDSByteSize: 0 bytes/workgroup (compile time only)
; SGPRBlocks: 6
; VGPRBlocks: 3
; NumSGPRsForWavesPerEU: 56
; NumVGPRsForWavesPerEU: 25
; Occupancy: 16
; WaveLimiterHint : 0
; COMPUTE_PGM_RSRC2:SCRATCH_EN: 0
; COMPUTE_PGM_RSRC2:USER_SGPR: 15
; COMPUTE_PGM_RSRC2:TRAP_HANDLER: 0
; COMPUTE_PGM_RSRC2:TGID_X_EN: 1
; COMPUTE_PGM_RSRC2:TGID_Y_EN: 0
; COMPUTE_PGM_RSRC2:TGID_Z_EN: 0
; COMPUTE_PGM_RSRC2:TIDIG_COMP_CNT: 0
	.section	.text._ZN2at6native16triu_tril_kernelIdlLb1ELi2ELb1EEEvNS_4cuda6detail10TensorInfoIT_T0_EENS4_IKS5_S6_EEllS6_,"axG",@progbits,_ZN2at6native16triu_tril_kernelIdlLb1ELi2ELb1EEEvNS_4cuda6detail10TensorInfoIT_T0_EENS4_IKS5_S6_EEllS6_,comdat
	.protected	_ZN2at6native16triu_tril_kernelIdlLb1ELi2ELb1EEEvNS_4cuda6detail10TensorInfoIT_T0_EENS4_IKS5_S6_EEllS6_ ; -- Begin function _ZN2at6native16triu_tril_kernelIdlLb1ELi2ELb1EEEvNS_4cuda6detail10TensorInfoIT_T0_EENS4_IKS5_S6_EEllS6_
	.globl	_ZN2at6native16triu_tril_kernelIdlLb1ELi2ELb1EEEvNS_4cuda6detail10TensorInfoIT_T0_EENS4_IKS5_S6_EEllS6_
	.p2align	8
	.type	_ZN2at6native16triu_tril_kernelIdlLb1ELi2ELb1EEEvNS_4cuda6detail10TensorInfoIT_T0_EENS4_IKS5_S6_EEllS6_,@function
_ZN2at6native16triu_tril_kernelIdlLb1ELi2ELb1EEEvNS_4cuda6detail10TensorInfoIT_T0_EENS4_IKS5_S6_EEllS6_: ; @_ZN2at6native16triu_tril_kernelIdlLb1ELi2ELb1EEEvNS_4cuda6detail10TensorInfoIT_T0_EENS4_IKS5_S6_EEllS6_
; %bb.0:
	s_clause 0x1
	s_load_b32 s2, s[0:1], 0x364
	s_load_b128 s[4:7], s[0:1], 0x340
	v_mov_b32_e32 v2, 0
	s_add_u32 s8, s0, 0x358
	s_addc_u32 s9, s1, 0
	s_delay_alu instid0(VALU_DEP_1) | instskip(SKIP_3) | instid1(VALU_DEP_1)
	v_mov_b32_e32 v1, v2
	s_waitcnt lgkmcnt(0)
	s_and_b32 s10, s2, 0xffff
	s_mov_b32 s2, exec_lo
	v_mad_u64_u32 v[3:4], null, s10, s15, v[0:1]
	s_delay_alu instid0(VALU_DEP_1) | instskip(NEXT) | instid1(VALU_DEP_1)
	v_lshlrev_b64 v[0:1], 1, v[3:4]
	v_cmpx_gt_i64_e64 s[6:7], v[0:1]
	s_cbranch_execz .LBB74_21
; %bb.1:
	s_clause 0x1
	s_load_b32 s24, s[0:1], 0x338
	s_load_b64 s[2:3], s[0:1], 0x350
	s_load_b32 s11, s[8:9], 0x0
	s_load_b64 s[8:9], s[0:1], 0x0
	s_mov_b32 s45, 0
	s_waitcnt lgkmcnt(0)
	s_ashr_i32 s25, s24, 31
	s_add_u32 s20, s0, 0x1a8
	s_addc_u32 s21, s1, 0
	s_lshl_b64 s[12:13], s[24:25], 3
	v_cvt_f32_u32_e32 v3, s2
	s_add_u32 s14, s12, -16
	s_addc_u32 s15, s13, -1
	s_add_u32 s22, s20, s14
	s_addc_u32 s23, s21, s15
	v_rcp_iflag_f32_e32 v3, v3
	s_add_u32 s17, s12, -8
	s_addc_u32 s18, s13, -1
	s_add_u32 s26, s0, 0xd0
	s_addc_u32 s27, s1, 0
	s_mul_i32 s16, s11, s10
	s_add_u32 s10, s26, s17
	s_addc_u32 s11, s27, s18
	s_add_u32 s12, s26, s14
	s_addc_u32 s13, s27, s15
	s_add_i32 s0, s24, -3
	s_waitcnt_depctr 0xfff
	v_mul_f32_e32 v3, 0x4f7ffffe, v3
	s_ashr_i32 s1, s0, 31
	s_add_u32 s14, s20, s17
	s_addc_u32 s15, s21, s18
	s_lshl_b64 s[18:19], s[0:1], 3
	s_lshl_b32 s33, s16, 1
	s_add_u32 s16, s26, s18
	s_addc_u32 s17, s27, s19
	v_cvt_u32_f32_e32 v3, v3
	s_add_u32 s18, s20, s18
	s_addc_u32 s19, s21, s19
	s_add_u32 s20, s0, 1
	s_addc_u32 s21, s1, 0
	s_sub_i32 s0, 0, s2
	s_load_b64 s[22:23], s[22:23], 0x0
	v_mul_lo_u32 v4, s0, v3
	v_cmp_gt_i64_e64 s44, s[24:25], 2
	s_ashr_i32 s24, s3, 31
	s_delay_alu instid0(VALU_DEP_2) | instskip(NEXT) | instid1(VALU_DEP_1)
	v_mul_hi_u32 v4, v3, v4
	v_add_nc_u32_e32 v14, v3, v4
	s_waitcnt lgkmcnt(0)
	s_ashr_i32 s26, s23, 31
	s_branch .LBB74_3
.LBB74_2:                               ;   in Loop: Header=BB74_3 Depth=1
	s_or_b32 exec_lo, exec_lo, s25
	v_add_co_u32 v0, vcc_lo, v0, s33
	v_add_co_ci_u32_e32 v1, vcc_lo, 0, v1, vcc_lo
	s_delay_alu instid0(VALU_DEP_1) | instskip(SKIP_1) | instid1(SALU_CYCLE_1)
	v_cmp_le_i64_e32 vcc_lo, s[6:7], v[0:1]
	s_or_b32 s45, vcc_lo, s45
	s_and_not1_b32 exec_lo, exec_lo, s45
	s_cbranch_execz .LBB74_21
.LBB74_3:                               ; =>This Loop Header: Depth=1
                                        ;     Child Loop BB74_17 Depth 2
	v_or_b32_e32 v3, s3, v1
                                        ; implicit-def: $vgpr8_vgpr9
	s_mov_b32 s0, exec_lo
	s_delay_alu instid0(VALU_DEP_1)
	v_cmpx_ne_u64_e32 0, v[2:3]
	s_xor_b32 s1, exec_lo, s0
	s_cbranch_execz .LBB74_5
; %bb.4:                                ;   in Loop: Header=BB74_3 Depth=1
	s_add_u32 s28, s2, s24
	s_mov_b32 s25, s24
	s_addc_u32 s29, s3, s24
	s_delay_alu instid0(SALU_CYCLE_1) | instskip(NEXT) | instid1(SALU_CYCLE_1)
	s_xor_b64 s[28:29], s[28:29], s[24:25]
	v_cvt_f32_u32_e32 v3, s28
	v_cvt_f32_u32_e32 v4, s29
	s_sub_u32 s0, 0, s28
	s_subb_u32 s25, 0, s29
	s_delay_alu instid0(VALU_DEP_1) | instskip(NEXT) | instid1(VALU_DEP_1)
	v_fmac_f32_e32 v3, 0x4f800000, v4
	v_rcp_f32_e32 v3, v3
	s_waitcnt_depctr 0xfff
	v_mul_f32_e32 v3, 0x5f7ffffc, v3
	s_delay_alu instid0(VALU_DEP_1) | instskip(NEXT) | instid1(VALU_DEP_1)
	v_mul_f32_e32 v4, 0x2f800000, v3
	v_trunc_f32_e32 v4, v4
	s_delay_alu instid0(VALU_DEP_1) | instskip(SKIP_1) | instid1(VALU_DEP_2)
	v_fmac_f32_e32 v3, 0xcf800000, v4
	v_cvt_u32_f32_e32 v4, v4
	v_cvt_u32_f32_e32 v3, v3
	s_delay_alu instid0(VALU_DEP_2) | instskip(NEXT) | instid1(VALU_DEP_2)
	v_mul_lo_u32 v5, s0, v4
	v_mul_hi_u32 v6, s0, v3
	v_mul_lo_u32 v7, s25, v3
	s_delay_alu instid0(VALU_DEP_2) | instskip(SKIP_1) | instid1(VALU_DEP_2)
	v_add_nc_u32_e32 v5, v6, v5
	v_mul_lo_u32 v6, s0, v3
	v_add_nc_u32_e32 v5, v5, v7
	s_delay_alu instid0(VALU_DEP_2) | instskip(NEXT) | instid1(VALU_DEP_2)
	v_mul_hi_u32 v7, v3, v6
	v_mul_lo_u32 v8, v3, v5
	v_mul_hi_u32 v9, v3, v5
	v_mul_hi_u32 v10, v4, v6
	v_mul_lo_u32 v6, v4, v6
	v_mul_hi_u32 v11, v4, v5
	v_mul_lo_u32 v5, v4, v5
	v_add_co_u32 v7, vcc_lo, v7, v8
	v_add_co_ci_u32_e32 v8, vcc_lo, 0, v9, vcc_lo
	s_delay_alu instid0(VALU_DEP_2) | instskip(NEXT) | instid1(VALU_DEP_2)
	v_add_co_u32 v6, vcc_lo, v7, v6
	v_add_co_ci_u32_e32 v6, vcc_lo, v8, v10, vcc_lo
	v_add_co_ci_u32_e32 v7, vcc_lo, 0, v11, vcc_lo
	v_ashrrev_i32_e32 v10, 31, v1
	s_delay_alu instid0(VALU_DEP_3) | instskip(NEXT) | instid1(VALU_DEP_3)
	v_add_co_u32 v5, vcc_lo, v6, v5
	v_add_co_ci_u32_e32 v6, vcc_lo, 0, v7, vcc_lo
	s_delay_alu instid0(VALU_DEP_2) | instskip(NEXT) | instid1(VALU_DEP_2)
	v_add_co_u32 v3, vcc_lo, v3, v5
	v_add_co_ci_u32_e32 v4, vcc_lo, v4, v6, vcc_lo
	s_delay_alu instid0(VALU_DEP_2) | instskip(SKIP_1) | instid1(VALU_DEP_3)
	v_mul_hi_u32 v5, s0, v3
	v_mul_lo_u32 v7, s25, v3
	v_mul_lo_u32 v6, s0, v4
	s_delay_alu instid0(VALU_DEP_1) | instskip(SKIP_1) | instid1(VALU_DEP_2)
	v_add_nc_u32_e32 v5, v5, v6
	v_mul_lo_u32 v6, s0, v3
	v_add_nc_u32_e32 v5, v5, v7
	s_delay_alu instid0(VALU_DEP_2) | instskip(NEXT) | instid1(VALU_DEP_2)
	v_mul_hi_u32 v7, v3, v6
	v_mul_lo_u32 v8, v3, v5
	v_mul_hi_u32 v9, v3, v5
	v_mul_hi_u32 v11, v4, v6
	v_mul_lo_u32 v6, v4, v6
	v_mul_hi_u32 v12, v4, v5
	v_mul_lo_u32 v5, v4, v5
	v_add_co_u32 v7, vcc_lo, v7, v8
	v_add_co_ci_u32_e32 v8, vcc_lo, 0, v9, vcc_lo
	s_delay_alu instid0(VALU_DEP_2) | instskip(NEXT) | instid1(VALU_DEP_2)
	v_add_co_u32 v6, vcc_lo, v7, v6
	v_add_co_ci_u32_e32 v6, vcc_lo, v8, v11, vcc_lo
	v_add_co_ci_u32_e32 v7, vcc_lo, 0, v12, vcc_lo
	v_add_co_u32 v8, vcc_lo, v0, v10
	v_add_co_ci_u32_e32 v9, vcc_lo, v1, v10, vcc_lo
	s_delay_alu instid0(VALU_DEP_4) | instskip(NEXT) | instid1(VALU_DEP_4)
	v_add_co_u32 v5, vcc_lo, v6, v5
	v_add_co_ci_u32_e32 v6, vcc_lo, 0, v7, vcc_lo
	s_delay_alu instid0(VALU_DEP_4) | instskip(NEXT) | instid1(VALU_DEP_3)
	v_xor_b32_e32 v11, v8, v10
	v_add_co_u32 v7, vcc_lo, v3, v5
	s_delay_alu instid0(VALU_DEP_3) | instskip(SKIP_1) | instid1(VALU_DEP_3)
	v_add_co_ci_u32_e32 v12, vcc_lo, v4, v6, vcc_lo
	v_xor_b32_e32 v9, v9, v10
	v_mul_hi_u32 v13, v11, v7
	s_delay_alu instid0(VALU_DEP_3) | instskip(NEXT) | instid1(VALU_DEP_3)
	v_mad_u64_u32 v[3:4], null, v11, v12, 0
	v_mad_u64_u32 v[5:6], null, v9, v7, 0
	;; [unrolled: 1-line block ×3, first 2 shown]
	s_delay_alu instid0(VALU_DEP_3) | instskip(NEXT) | instid1(VALU_DEP_4)
	v_add_co_u32 v3, vcc_lo, v13, v3
	v_add_co_ci_u32_e32 v4, vcc_lo, 0, v4, vcc_lo
	s_delay_alu instid0(VALU_DEP_2) | instskip(NEXT) | instid1(VALU_DEP_2)
	v_add_co_u32 v3, vcc_lo, v3, v5
	v_add_co_ci_u32_e32 v3, vcc_lo, v4, v6, vcc_lo
	v_add_co_ci_u32_e32 v4, vcc_lo, 0, v8, vcc_lo
	s_delay_alu instid0(VALU_DEP_2) | instskip(NEXT) | instid1(VALU_DEP_2)
	v_add_co_u32 v5, vcc_lo, v3, v7
	v_add_co_ci_u32_e32 v6, vcc_lo, 0, v4, vcc_lo
	s_delay_alu instid0(VALU_DEP_2) | instskip(SKIP_1) | instid1(VALU_DEP_3)
	v_mul_lo_u32 v7, s29, v5
	v_mad_u64_u32 v[3:4], null, s28, v5, 0
	v_mul_lo_u32 v8, s28, v6
	s_delay_alu instid0(VALU_DEP_2) | instskip(NEXT) | instid1(VALU_DEP_2)
	v_sub_co_u32 v3, vcc_lo, v11, v3
	v_add3_u32 v4, v4, v8, v7
	s_delay_alu instid0(VALU_DEP_1) | instskip(NEXT) | instid1(VALU_DEP_1)
	v_sub_nc_u32_e32 v7, v9, v4
	v_subrev_co_ci_u32_e64 v7, s0, s29, v7, vcc_lo
	v_add_co_u32 v8, s0, v5, 2
	s_delay_alu instid0(VALU_DEP_1) | instskip(SKIP_3) | instid1(VALU_DEP_3)
	v_add_co_ci_u32_e64 v11, s0, 0, v6, s0
	v_sub_co_u32 v12, s0, v3, s28
	v_sub_co_ci_u32_e32 v4, vcc_lo, v9, v4, vcc_lo
	v_subrev_co_ci_u32_e64 v7, s0, 0, v7, s0
	v_cmp_le_u32_e32 vcc_lo, s28, v12
	s_delay_alu instid0(VALU_DEP_3) | instskip(SKIP_1) | instid1(VALU_DEP_4)
	v_cmp_eq_u32_e64 s0, s29, v4
	v_cndmask_b32_e64 v9, 0, -1, vcc_lo
	v_cmp_le_u32_e32 vcc_lo, s29, v7
	v_cndmask_b32_e64 v12, 0, -1, vcc_lo
	v_cmp_le_u32_e32 vcc_lo, s28, v3
	;; [unrolled: 2-line block ×3, first 2 shown]
	v_cndmask_b32_e64 v13, 0, -1, vcc_lo
	v_cmp_eq_u32_e32 vcc_lo, s29, v7
	s_delay_alu instid0(VALU_DEP_2) | instskip(SKIP_3) | instid1(VALU_DEP_3)
	v_cndmask_b32_e64 v3, v13, v3, s0
	v_cndmask_b32_e32 v7, v12, v9, vcc_lo
	v_add_co_u32 v9, vcc_lo, v5, 1
	v_add_co_ci_u32_e32 v12, vcc_lo, 0, v6, vcc_lo
	v_cmp_ne_u32_e32 vcc_lo, 0, v7
	s_delay_alu instid0(VALU_DEP_2) | instskip(SKIP_2) | instid1(VALU_DEP_3)
	v_dual_cndmask_b32 v4, v12, v11 :: v_dual_cndmask_b32 v7, v9, v8
	v_cmp_ne_u32_e32 vcc_lo, 0, v3
	v_xor_b32_e32 v3, s24, v10
	v_dual_cndmask_b32 v5, v5, v7 :: v_dual_cndmask_b32 v4, v6, v4
	s_delay_alu instid0(VALU_DEP_1) | instskip(NEXT) | instid1(VALU_DEP_2)
	v_xor_b32_e32 v5, v5, v3
	v_xor_b32_e32 v4, v4, v3
	s_delay_alu instid0(VALU_DEP_2) | instskip(NEXT) | instid1(VALU_DEP_2)
	v_sub_co_u32 v8, vcc_lo, v5, v3
	v_sub_co_ci_u32_e32 v9, vcc_lo, v4, v3, vcc_lo
.LBB74_5:                               ;   in Loop: Header=BB74_3 Depth=1
	s_and_not1_saveexec_b32 s0, s1
; %bb.6:                                ;   in Loop: Header=BB74_3 Depth=1
	v_mul_hi_u32 v3, v0, v14
	v_mov_b32_e32 v9, v2
	s_delay_alu instid0(VALU_DEP_2) | instskip(NEXT) | instid1(VALU_DEP_1)
	v_mul_lo_u32 v4, v3, s2
	v_sub_nc_u32_e32 v4, v0, v4
	s_delay_alu instid0(VALU_DEP_1) | instskip(SKIP_1) | instid1(VALU_DEP_2)
	v_subrev_nc_u32_e32 v6, s2, v4
	v_cmp_le_u32_e32 vcc_lo, s2, v4
	v_dual_cndmask_b32 v4, v4, v6 :: v_dual_add_nc_u32 v5, 1, v3
	s_delay_alu instid0(VALU_DEP_1) | instskip(NEXT) | instid1(VALU_DEP_2)
	v_cndmask_b32_e32 v3, v3, v5, vcc_lo
	v_cmp_le_u32_e32 vcc_lo, s2, v4
	s_delay_alu instid0(VALU_DEP_2) | instskip(NEXT) | instid1(VALU_DEP_1)
	v_add_nc_u32_e32 v5, 1, v3
	v_cndmask_b32_e32 v8, v3, v5, vcc_lo
; %bb.7:                                ;   in Loop: Header=BB74_3 Depth=1
	s_or_b32 exec_lo, exec_lo, s0
	v_or_b32_e32 v3, s23, v9
                                        ; implicit-def: $vgpr6_vgpr7
	s_mov_b32 s0, exec_lo
	s_delay_alu instid0(VALU_DEP_1)
	v_cmpx_ne_u64_e32 0, v[2:3]
	s_xor_b32 s1, exec_lo, s0
	s_cbranch_execz .LBB74_9
; %bb.8:                                ;   in Loop: Header=BB74_3 Depth=1
	s_add_u32 s28, s22, s26
	s_mov_b32 s27, s26
	s_addc_u32 s29, s23, s26
	s_delay_alu instid0(SALU_CYCLE_1) | instskip(NEXT) | instid1(SALU_CYCLE_1)
	s_xor_b64 s[28:29], s[28:29], s[26:27]
	v_cvt_f32_u32_e32 v3, s28
	v_cvt_f32_u32_e32 v4, s29
	s_sub_u32 s0, 0, s28
	s_subb_u32 s25, 0, s29
	s_delay_alu instid0(VALU_DEP_1) | instskip(NEXT) | instid1(VALU_DEP_1)
	v_fmac_f32_e32 v3, 0x4f800000, v4
	v_rcp_f32_e32 v3, v3
	s_waitcnt_depctr 0xfff
	v_mul_f32_e32 v3, 0x5f7ffffc, v3
	s_delay_alu instid0(VALU_DEP_1) | instskip(NEXT) | instid1(VALU_DEP_1)
	v_mul_f32_e32 v4, 0x2f800000, v3
	v_trunc_f32_e32 v4, v4
	s_delay_alu instid0(VALU_DEP_1) | instskip(SKIP_1) | instid1(VALU_DEP_2)
	v_fmac_f32_e32 v3, 0xcf800000, v4
	v_cvt_u32_f32_e32 v4, v4
	v_cvt_u32_f32_e32 v3, v3
	s_delay_alu instid0(VALU_DEP_2) | instskip(NEXT) | instid1(VALU_DEP_2)
	v_mul_lo_u32 v5, s0, v4
	v_mul_hi_u32 v6, s0, v3
	v_mul_lo_u32 v7, s25, v3
	s_delay_alu instid0(VALU_DEP_2) | instskip(SKIP_1) | instid1(VALU_DEP_2)
	v_add_nc_u32_e32 v5, v6, v5
	v_mul_lo_u32 v6, s0, v3
	v_add_nc_u32_e32 v5, v5, v7
	s_delay_alu instid0(VALU_DEP_2) | instskip(NEXT) | instid1(VALU_DEP_2)
	v_mul_hi_u32 v7, v3, v6
	v_mul_lo_u32 v10, v3, v5
	v_mul_hi_u32 v11, v3, v5
	v_mul_hi_u32 v12, v4, v6
	v_mul_lo_u32 v6, v4, v6
	v_mul_hi_u32 v13, v4, v5
	v_mul_lo_u32 v5, v4, v5
	v_add_co_u32 v7, vcc_lo, v7, v10
	v_add_co_ci_u32_e32 v10, vcc_lo, 0, v11, vcc_lo
	s_delay_alu instid0(VALU_DEP_2) | instskip(NEXT) | instid1(VALU_DEP_2)
	v_add_co_u32 v6, vcc_lo, v7, v6
	v_add_co_ci_u32_e32 v6, vcc_lo, v10, v12, vcc_lo
	v_add_co_ci_u32_e32 v7, vcc_lo, 0, v13, vcc_lo
	v_ashrrev_i32_e32 v12, 31, v9
	s_delay_alu instid0(VALU_DEP_3) | instskip(NEXT) | instid1(VALU_DEP_3)
	v_add_co_u32 v5, vcc_lo, v6, v5
	v_add_co_ci_u32_e32 v6, vcc_lo, 0, v7, vcc_lo
	s_delay_alu instid0(VALU_DEP_2) | instskip(NEXT) | instid1(VALU_DEP_2)
	v_add_co_u32 v3, vcc_lo, v3, v5
	v_add_co_ci_u32_e32 v4, vcc_lo, v4, v6, vcc_lo
	s_delay_alu instid0(VALU_DEP_2) | instskip(SKIP_1) | instid1(VALU_DEP_3)
	v_mul_hi_u32 v5, s0, v3
	v_mul_lo_u32 v7, s25, v3
	v_mul_lo_u32 v6, s0, v4
	s_delay_alu instid0(VALU_DEP_1) | instskip(SKIP_1) | instid1(VALU_DEP_2)
	v_add_nc_u32_e32 v5, v5, v6
	v_mul_lo_u32 v6, s0, v3
	v_add_nc_u32_e32 v5, v5, v7
	s_delay_alu instid0(VALU_DEP_2) | instskip(NEXT) | instid1(VALU_DEP_2)
	v_mul_hi_u32 v7, v3, v6
	v_mul_lo_u32 v10, v3, v5
	v_mul_hi_u32 v11, v3, v5
	v_mul_hi_u32 v13, v4, v6
	v_mul_lo_u32 v6, v4, v6
	v_mul_hi_u32 v15, v4, v5
	v_mul_lo_u32 v5, v4, v5
	v_add_co_u32 v7, vcc_lo, v7, v10
	v_add_co_ci_u32_e32 v10, vcc_lo, 0, v11, vcc_lo
	s_delay_alu instid0(VALU_DEP_2) | instskip(NEXT) | instid1(VALU_DEP_2)
	v_add_co_u32 v6, vcc_lo, v7, v6
	v_add_co_ci_u32_e32 v6, vcc_lo, v10, v13, vcc_lo
	v_add_co_ci_u32_e32 v7, vcc_lo, 0, v15, vcc_lo
	v_add_co_u32 v10, vcc_lo, v8, v12
	v_add_co_ci_u32_e32 v11, vcc_lo, v9, v12, vcc_lo
	s_delay_alu instid0(VALU_DEP_4) | instskip(NEXT) | instid1(VALU_DEP_4)
	v_add_co_u32 v5, vcc_lo, v6, v5
	v_add_co_ci_u32_e32 v6, vcc_lo, 0, v7, vcc_lo
	s_delay_alu instid0(VALU_DEP_4) | instskip(NEXT) | instid1(VALU_DEP_3)
	v_xor_b32_e32 v7, v10, v12
	v_add_co_u32 v10, vcc_lo, v3, v5
	s_delay_alu instid0(VALU_DEP_3) | instskip(SKIP_1) | instid1(VALU_DEP_3)
	v_add_co_ci_u32_e32 v13, vcc_lo, v4, v6, vcc_lo
	v_xor_b32_e32 v15, v11, v12
	v_mul_hi_u32 v16, v7, v10
	s_delay_alu instid0(VALU_DEP_3) | instskip(NEXT) | instid1(VALU_DEP_3)
	v_mad_u64_u32 v[3:4], null, v7, v13, 0
	v_mad_u64_u32 v[5:6], null, v15, v10, 0
	;; [unrolled: 1-line block ×3, first 2 shown]
	s_delay_alu instid0(VALU_DEP_3) | instskip(NEXT) | instid1(VALU_DEP_4)
	v_add_co_u32 v3, vcc_lo, v16, v3
	v_add_co_ci_u32_e32 v4, vcc_lo, 0, v4, vcc_lo
	s_delay_alu instid0(VALU_DEP_2) | instskip(NEXT) | instid1(VALU_DEP_2)
	v_add_co_u32 v3, vcc_lo, v3, v5
	v_add_co_ci_u32_e32 v3, vcc_lo, v4, v6, vcc_lo
	v_add_co_ci_u32_e32 v4, vcc_lo, 0, v11, vcc_lo
	s_delay_alu instid0(VALU_DEP_2) | instskip(NEXT) | instid1(VALU_DEP_2)
	v_add_co_u32 v5, vcc_lo, v3, v10
	v_add_co_ci_u32_e32 v6, vcc_lo, 0, v4, vcc_lo
	s_delay_alu instid0(VALU_DEP_2) | instskip(SKIP_1) | instid1(VALU_DEP_3)
	v_mul_lo_u32 v10, s29, v5
	v_mad_u64_u32 v[3:4], null, s28, v5, 0
	v_mul_lo_u32 v11, s28, v6
	s_delay_alu instid0(VALU_DEP_2) | instskip(NEXT) | instid1(VALU_DEP_2)
	v_sub_co_u32 v3, vcc_lo, v7, v3
	v_add3_u32 v4, v4, v11, v10
	s_delay_alu instid0(VALU_DEP_1) | instskip(NEXT) | instid1(VALU_DEP_1)
	v_sub_nc_u32_e32 v10, v15, v4
	v_subrev_co_ci_u32_e64 v7, s0, s29, v10, vcc_lo
	v_add_co_u32 v10, s0, v5, 2
	s_delay_alu instid0(VALU_DEP_1) | instskip(SKIP_3) | instid1(VALU_DEP_3)
	v_add_co_ci_u32_e64 v11, s0, 0, v6, s0
	v_sub_co_u32 v13, s0, v3, s28
	v_sub_co_ci_u32_e32 v4, vcc_lo, v15, v4, vcc_lo
	v_subrev_co_ci_u32_e64 v7, s0, 0, v7, s0
	v_cmp_le_u32_e32 vcc_lo, s28, v13
	s_delay_alu instid0(VALU_DEP_3) | instskip(SKIP_1) | instid1(VALU_DEP_4)
	v_cmp_eq_u32_e64 s0, s29, v4
	v_cndmask_b32_e64 v13, 0, -1, vcc_lo
	v_cmp_le_u32_e32 vcc_lo, s29, v7
	v_cndmask_b32_e64 v15, 0, -1, vcc_lo
	v_cmp_le_u32_e32 vcc_lo, s28, v3
	;; [unrolled: 2-line block ×3, first 2 shown]
	v_cndmask_b32_e64 v16, 0, -1, vcc_lo
	v_cmp_eq_u32_e32 vcc_lo, s29, v7
	s_delay_alu instid0(VALU_DEP_2) | instskip(SKIP_3) | instid1(VALU_DEP_3)
	v_cndmask_b32_e64 v3, v16, v3, s0
	v_cndmask_b32_e32 v7, v15, v13, vcc_lo
	v_add_co_u32 v13, vcc_lo, v5, 1
	v_add_co_ci_u32_e32 v15, vcc_lo, 0, v6, vcc_lo
	v_cmp_ne_u32_e32 vcc_lo, 0, v7
	s_delay_alu instid0(VALU_DEP_2) | instskip(SKIP_2) | instid1(VALU_DEP_3)
	v_dual_cndmask_b32 v4, v15, v11 :: v_dual_cndmask_b32 v7, v13, v10
	v_cmp_ne_u32_e32 vcc_lo, 0, v3
	v_xor_b32_e32 v3, s26, v12
	v_dual_cndmask_b32 v5, v5, v7 :: v_dual_cndmask_b32 v4, v6, v4
	s_delay_alu instid0(VALU_DEP_1) | instskip(NEXT) | instid1(VALU_DEP_2)
	v_xor_b32_e32 v5, v5, v3
	v_xor_b32_e32 v4, v4, v3
	s_delay_alu instid0(VALU_DEP_2) | instskip(NEXT) | instid1(VALU_DEP_2)
	v_sub_co_u32 v6, vcc_lo, v5, v3
	v_sub_co_ci_u32_e32 v7, vcc_lo, v4, v3, vcc_lo
.LBB74_9:                               ;   in Loop: Header=BB74_3 Depth=1
	s_and_not1_saveexec_b32 s0, s1
	s_cbranch_execz .LBB74_11
; %bb.10:                               ;   in Loop: Header=BB74_3 Depth=1
	v_cvt_f32_u32_e32 v3, s22
	s_sub_i32 s1, 0, s22
	v_mov_b32_e32 v7, v2
	s_delay_alu instid0(VALU_DEP_2) | instskip(SKIP_2) | instid1(VALU_DEP_1)
	v_rcp_iflag_f32_e32 v3, v3
	s_waitcnt_depctr 0xfff
	v_mul_f32_e32 v3, 0x4f7ffffe, v3
	v_cvt_u32_f32_e32 v3, v3
	s_delay_alu instid0(VALU_DEP_1) | instskip(NEXT) | instid1(VALU_DEP_1)
	v_mul_lo_u32 v4, s1, v3
	v_mul_hi_u32 v4, v3, v4
	s_delay_alu instid0(VALU_DEP_1) | instskip(NEXT) | instid1(VALU_DEP_1)
	v_add_nc_u32_e32 v3, v3, v4
	v_mul_hi_u32 v3, v8, v3
	s_delay_alu instid0(VALU_DEP_1) | instskip(SKIP_1) | instid1(VALU_DEP_2)
	v_mul_lo_u32 v4, v3, s22
	v_add_nc_u32_e32 v5, 1, v3
	v_sub_nc_u32_e32 v4, v8, v4
	s_delay_alu instid0(VALU_DEP_1) | instskip(SKIP_1) | instid1(VALU_DEP_2)
	v_subrev_nc_u32_e32 v6, s22, v4
	v_cmp_le_u32_e32 vcc_lo, s22, v4
	v_dual_cndmask_b32 v4, v4, v6 :: v_dual_cndmask_b32 v3, v3, v5
	s_delay_alu instid0(VALU_DEP_1) | instskip(NEXT) | instid1(VALU_DEP_2)
	v_cmp_le_u32_e32 vcc_lo, s22, v4
	v_add_nc_u32_e32 v5, 1, v3
	s_delay_alu instid0(VALU_DEP_1)
	v_cndmask_b32_e32 v6, v3, v5, vcc_lo
.LBB74_11:                              ;   in Loop: Header=BB74_3 Depth=1
	s_or_b32 exec_lo, exec_lo, s0
	v_mul_lo_u32 v5, v9, s2
	v_mul_lo_u32 v12, v8, s3
	v_mad_u64_u32 v[3:4], null, v8, s2, 0
	v_mul_lo_u32 v13, v7, s22
	v_mul_lo_u32 v15, v6, s23
	v_mad_u64_u32 v[10:11], null, v6, s22, 0
	s_mov_b32 s25, exec_lo
	s_delay_alu instid0(VALU_DEP_4) | instskip(SKIP_1) | instid1(VALU_DEP_3)
	v_add3_u32 v5, v4, v12, v5
	v_sub_co_u32 v4, vcc_lo, v0, v3
	v_add3_u32 v11, v11, v15, v13
	s_delay_alu instid0(VALU_DEP_3) | instskip(SKIP_1) | instid1(VALU_DEP_3)
	v_sub_co_ci_u32_e32 v5, vcc_lo, v1, v5, vcc_lo
	v_sub_co_u32 v15, vcc_lo, v8, v10
	v_sub_co_ci_u32_e32 v16, vcc_lo, v9, v11, vcc_lo
	s_delay_alu instid0(VALU_DEP_2) | instskip(NEXT) | instid1(VALU_DEP_2)
	v_sub_co_u32 v8, vcc_lo, v4, v15
	v_sub_co_ci_u32_e32 v9, vcc_lo, v5, v16, vcc_lo
	s_delay_alu instid0(VALU_DEP_1)
	v_cmpx_gt_i64_e64 s[4:5], v[8:9]
	s_cbranch_execz .LBB74_2
; %bb.12:                               ;   in Loop: Header=BB74_3 Depth=1
	s_clause 0x1
	s_load_b64 s[28:29], s[10:11], 0x0
	s_load_b64 s[0:1], s[12:13], 0x0
	s_and_b32 vcc_lo, exec_lo, s44
	s_mov_b64 s[30:31], s[20:21]
	s_mov_b64 s[34:35], s[18:19]
	;; [unrolled: 1-line block ×3, first 2 shown]
	s_waitcnt lgkmcnt(0)
	v_mul_lo_u32 v3, s29, v4
	v_mul_lo_u32 v10, s28, v5
	v_mad_u64_u32 v[8:9], null, s28, v4, 0
	s_delay_alu instid0(VALU_DEP_1) | instskip(SKIP_1) | instid1(VALU_DEP_2)
	v_add3_u32 v9, v9, v10, v3
	v_mul_lo_u32 v3, s0, v16
	v_mad_u64_u32 v[12:13], null, s0, v15, v[8:9]
	v_mul_lo_u32 v8, s1, v15
	s_delay_alu instid0(VALU_DEP_1) | instskip(NEXT) | instid1(VALU_DEP_1)
	v_add3_u32 v13, v8, v13, v3
	v_dual_mov_b32 v8, v12 :: v_dual_mov_b32 v9, v13
	s_cbranch_vccnz .LBB74_17
.LBB74_13:                              ;   in Loop: Header=BB74_3 Depth=1
	s_load_b64 s[0:1], s[14:15], 0x0
	s_waitcnt lgkmcnt(0)
	v_cmp_gt_i64_e32 vcc_lo, s[0:1], v[4:5]
	s_and_b32 exec_lo, exec_lo, vcc_lo
	s_cbranch_execz .LBB74_2
; %bb.14:                               ;   in Loop: Header=BB74_3 Depth=1
	v_add_co_u32 v3, vcc_lo, v4, 1
	v_add_co_ci_u32_e32 v4, vcc_lo, 0, v5, vcc_lo
	v_lshlrev_b64 v[7:8], 3, v[12:13]
	s_delay_alu instid0(VALU_DEP_3) | instskip(NEXT) | instid1(VALU_DEP_3)
	v_sub_co_u32 v5, vcc_lo, v3, v15
	v_sub_co_ci_u32_e32 v6, vcc_lo, v4, v16, vcc_lo
	v_cmp_gt_i64_e32 vcc_lo, s[0:1], v[3:4]
	s_delay_alu instid0(VALU_DEP_4) | instskip(NEXT) | instid1(VALU_DEP_3)
	v_add_co_u32 v4, s1, s8, v7
	v_cmp_gt_i64_e64 s0, s[4:5], v[5:6]
	v_add_co_ci_u32_e64 v5, s1, s9, v8, s1
	v_mov_b32_e32 v3, v2
	s_delay_alu instid0(VALU_DEP_3)
	s_and_b32 s0, vcc_lo, s0
	global_store_b64 v[4:5], v[2:3], off
	s_and_b32 exec_lo, exec_lo, s0
	s_cbranch_execz .LBB74_2
; %bb.15:                               ;   in Loop: Header=BB74_3 Depth=1
	s_lshl_b64 s[0:1], s[28:29], 3
	s_delay_alu instid0(SALU_CYCLE_1)
	v_add_co_u32 v4, vcc_lo, v4, s0
	v_add_co_ci_u32_e32 v5, vcc_lo, s1, v5, vcc_lo
	global_store_b64 v[4:5], v[2:3], off
	s_branch .LBB74_2
.LBB74_16:                              ;   in Loop: Header=BB74_17 Depth=2
	s_or_b32 exec_lo, exec_lo, s0
	s_load_b64 s[0:1], s[36:37], 0x0
	s_delay_alu instid0(VALU_DEP_1)
	v_mul_lo_u32 v3, v11, s38
	v_mul_lo_u32 v17, v10, s39
	v_mad_u64_u32 v[12:13], null, v10, s38, 0
	s_add_u32 s36, s36, -8
	s_addc_u32 s37, s37, -1
	s_add_u32 s34, s34, -8
	s_addc_u32 s35, s35, -1
	;; [unrolled: 2-line block ×3, first 2 shown]
	s_delay_alu instid0(VALU_DEP_1) | instskip(SKIP_1) | instid1(VALU_DEP_2)
	v_add3_u32 v3, v13, v17, v3
	v_sub_co_u32 v6, vcc_lo, v6, v12
	v_sub_co_ci_u32_e32 v3, vcc_lo, v7, v3, vcc_lo
	s_waitcnt lgkmcnt(0)
	s_delay_alu instid0(VALU_DEP_2) | instskip(NEXT) | instid1(VALU_DEP_2)
	v_mul_lo_u32 v7, s1, v6
	v_mul_lo_u32 v3, s0, v3
	v_mad_u64_u32 v[12:13], null, s0, v6, v[8:9]
	v_cmp_lt_i64_e64 s0, s[30:31], 1
	s_delay_alu instid0(VALU_DEP_1) | instskip(NEXT) | instid1(VALU_DEP_2)
	s_and_b32 vcc_lo, exec_lo, s0
	v_add3_u32 v13, v7, v13, v3
	s_delay_alu instid0(VALU_DEP_3) | instskip(SKIP_1) | instid1(VALU_DEP_3)
	v_mov_b32_e32 v8, v12
	v_dual_mov_b32 v6, v10 :: v_dual_mov_b32 v7, v11
	v_mov_b32_e32 v9, v13
	s_cbranch_vccnz .LBB74_13
.LBB74_17:                              ;   Parent Loop BB74_3 Depth=1
                                        ; =>  This Inner Loop Header: Depth=2
	s_load_b64 s[38:39], s[34:35], 0x0
                                        ; implicit-def: $vgpr10_vgpr11
	s_mov_b32 s0, exec_lo
	s_waitcnt lgkmcnt(0)
	v_or_b32_e32 v3, s39, v7
	s_delay_alu instid0(VALU_DEP_1)
	v_cmpx_ne_u64_e32 0, v[2:3]
	s_xor_b32 s1, exec_lo, s0
	s_cbranch_execz .LBB74_19
; %bb.18:                               ;   in Loop: Header=BB74_17 Depth=2
	s_ashr_i32 s40, s39, 31
	s_delay_alu instid0(SALU_CYCLE_1) | instskip(SKIP_2) | instid1(SALU_CYCLE_1)
	s_add_u32 s42, s38, s40
	s_mov_b32 s41, s40
	s_addc_u32 s43, s39, s40
	s_xor_b64 s[42:43], s[42:43], s[40:41]
	s_delay_alu instid0(SALU_CYCLE_1) | instskip(SKIP_3) | instid1(VALU_DEP_1)
	v_cvt_f32_u32_e32 v3, s42
	v_cvt_f32_u32_e32 v10, s43
	s_sub_u32 s0, 0, s42
	s_subb_u32 s27, 0, s43
	v_fmac_f32_e32 v3, 0x4f800000, v10
	s_delay_alu instid0(VALU_DEP_1) | instskip(SKIP_2) | instid1(VALU_DEP_1)
	v_rcp_f32_e32 v3, v3
	s_waitcnt_depctr 0xfff
	v_mul_f32_e32 v3, 0x5f7ffffc, v3
	v_mul_f32_e32 v10, 0x2f800000, v3
	s_delay_alu instid0(VALU_DEP_1) | instskip(NEXT) | instid1(VALU_DEP_1)
	v_trunc_f32_e32 v10, v10
	v_fmac_f32_e32 v3, 0xcf800000, v10
	v_cvt_u32_f32_e32 v10, v10
	s_delay_alu instid0(VALU_DEP_2) | instskip(NEXT) | instid1(VALU_DEP_2)
	v_cvt_u32_f32_e32 v3, v3
	v_mul_lo_u32 v11, s0, v10
	s_delay_alu instid0(VALU_DEP_2) | instskip(SKIP_1) | instid1(VALU_DEP_2)
	v_mul_hi_u32 v12, s0, v3
	v_mul_lo_u32 v13, s27, v3
	v_add_nc_u32_e32 v11, v12, v11
	v_mul_lo_u32 v12, s0, v3
	s_delay_alu instid0(VALU_DEP_2) | instskip(NEXT) | instid1(VALU_DEP_2)
	v_add_nc_u32_e32 v11, v11, v13
	v_mul_hi_u32 v13, v3, v12
	s_delay_alu instid0(VALU_DEP_2)
	v_mul_lo_u32 v17, v3, v11
	v_mul_hi_u32 v18, v3, v11
	v_mul_hi_u32 v19, v10, v12
	v_mul_lo_u32 v12, v10, v12
	v_mul_hi_u32 v20, v10, v11
	v_mul_lo_u32 v11, v10, v11
	v_add_co_u32 v13, vcc_lo, v13, v17
	v_add_co_ci_u32_e32 v17, vcc_lo, 0, v18, vcc_lo
	s_delay_alu instid0(VALU_DEP_2) | instskip(NEXT) | instid1(VALU_DEP_2)
	v_add_co_u32 v12, vcc_lo, v13, v12
	v_add_co_ci_u32_e32 v12, vcc_lo, v17, v19, vcc_lo
	v_add_co_ci_u32_e32 v13, vcc_lo, 0, v20, vcc_lo
	v_ashrrev_i32_e32 v19, 31, v7
	s_delay_alu instid0(VALU_DEP_3) | instskip(NEXT) | instid1(VALU_DEP_3)
	v_add_co_u32 v11, vcc_lo, v12, v11
	v_add_co_ci_u32_e32 v12, vcc_lo, 0, v13, vcc_lo
	s_delay_alu instid0(VALU_DEP_2) | instskip(NEXT) | instid1(VALU_DEP_2)
	v_add_co_u32 v3, vcc_lo, v3, v11
	v_add_co_ci_u32_e32 v10, vcc_lo, v10, v12, vcc_lo
	s_delay_alu instid0(VALU_DEP_2) | instskip(SKIP_1) | instid1(VALU_DEP_3)
	v_mul_hi_u32 v11, s0, v3
	v_mul_lo_u32 v13, s27, v3
	v_mul_lo_u32 v12, s0, v10
	s_delay_alu instid0(VALU_DEP_1) | instskip(SKIP_1) | instid1(VALU_DEP_2)
	v_add_nc_u32_e32 v11, v11, v12
	v_mul_lo_u32 v12, s0, v3
	v_add_nc_u32_e32 v11, v11, v13
	s_delay_alu instid0(VALU_DEP_2) | instskip(NEXT) | instid1(VALU_DEP_2)
	v_mul_hi_u32 v13, v3, v12
	v_mul_lo_u32 v17, v3, v11
	v_mul_hi_u32 v18, v3, v11
	v_mul_hi_u32 v20, v10, v12
	v_mul_lo_u32 v12, v10, v12
	v_mul_hi_u32 v21, v10, v11
	v_mul_lo_u32 v11, v10, v11
	v_add_co_u32 v13, vcc_lo, v13, v17
	v_add_co_ci_u32_e32 v17, vcc_lo, 0, v18, vcc_lo
	s_delay_alu instid0(VALU_DEP_2) | instskip(NEXT) | instid1(VALU_DEP_2)
	v_add_co_u32 v12, vcc_lo, v13, v12
	v_add_co_ci_u32_e32 v12, vcc_lo, v17, v20, vcc_lo
	v_add_co_ci_u32_e32 v13, vcc_lo, 0, v21, vcc_lo
	v_add_co_u32 v17, vcc_lo, v6, v19
	v_add_co_ci_u32_e32 v18, vcc_lo, v7, v19, vcc_lo
	s_delay_alu instid0(VALU_DEP_4) | instskip(NEXT) | instid1(VALU_DEP_4)
	v_add_co_u32 v11, vcc_lo, v12, v11
	v_add_co_ci_u32_e32 v12, vcc_lo, 0, v13, vcc_lo
	s_delay_alu instid0(VALU_DEP_4) | instskip(NEXT) | instid1(VALU_DEP_3)
	v_xor_b32_e32 v20, v17, v19
	v_add_co_u32 v3, vcc_lo, v3, v11
	s_delay_alu instid0(VALU_DEP_3) | instskip(SKIP_1) | instid1(VALU_DEP_3)
	v_add_co_ci_u32_e32 v21, vcc_lo, v10, v12, vcc_lo
	v_xor_b32_e32 v22, v18, v19
	v_mul_hi_u32 v23, v20, v3
	s_delay_alu instid0(VALU_DEP_3) | instskip(NEXT) | instid1(VALU_DEP_3)
	v_mad_u64_u32 v[10:11], null, v20, v21, 0
	v_mad_u64_u32 v[12:13], null, v22, v3, 0
	v_mad_u64_u32 v[17:18], null, v22, v21, 0
	s_delay_alu instid0(VALU_DEP_3) | instskip(NEXT) | instid1(VALU_DEP_4)
	v_add_co_u32 v3, vcc_lo, v23, v10
	v_add_co_ci_u32_e32 v10, vcc_lo, 0, v11, vcc_lo
	s_delay_alu instid0(VALU_DEP_2) | instskip(NEXT) | instid1(VALU_DEP_2)
	v_add_co_u32 v3, vcc_lo, v3, v12
	v_add_co_ci_u32_e32 v3, vcc_lo, v10, v13, vcc_lo
	v_add_co_ci_u32_e32 v10, vcc_lo, 0, v18, vcc_lo
	s_delay_alu instid0(VALU_DEP_2) | instskip(NEXT) | instid1(VALU_DEP_2)
	v_add_co_u32 v3, vcc_lo, v3, v17
	v_add_co_ci_u32_e32 v12, vcc_lo, 0, v10, vcc_lo
	s_delay_alu instid0(VALU_DEP_2) | instskip(SKIP_1) | instid1(VALU_DEP_3)
	v_mul_lo_u32 v13, s43, v3
	v_mad_u64_u32 v[10:11], null, s42, v3, 0
	v_mul_lo_u32 v17, s42, v12
	s_delay_alu instid0(VALU_DEP_2) | instskip(NEXT) | instid1(VALU_DEP_2)
	v_sub_co_u32 v10, vcc_lo, v20, v10
	v_add3_u32 v11, v11, v17, v13
	s_delay_alu instid0(VALU_DEP_1) | instskip(NEXT) | instid1(VALU_DEP_1)
	v_sub_nc_u32_e32 v13, v22, v11
	v_subrev_co_ci_u32_e64 v13, s0, s43, v13, vcc_lo
	v_add_co_u32 v17, s0, v3, 2
	s_delay_alu instid0(VALU_DEP_1) | instskip(SKIP_3) | instid1(VALU_DEP_3)
	v_add_co_ci_u32_e64 v18, s0, 0, v12, s0
	v_sub_co_u32 v20, s0, v10, s42
	v_sub_co_ci_u32_e32 v11, vcc_lo, v22, v11, vcc_lo
	v_subrev_co_ci_u32_e64 v13, s0, 0, v13, s0
	v_cmp_le_u32_e32 vcc_lo, s42, v20
	s_delay_alu instid0(VALU_DEP_3) | instskip(SKIP_1) | instid1(VALU_DEP_4)
	v_cmp_eq_u32_e64 s0, s43, v11
	v_cndmask_b32_e64 v20, 0, -1, vcc_lo
	v_cmp_le_u32_e32 vcc_lo, s43, v13
	v_cndmask_b32_e64 v21, 0, -1, vcc_lo
	v_cmp_le_u32_e32 vcc_lo, s42, v10
	;; [unrolled: 2-line block ×3, first 2 shown]
	v_cndmask_b32_e64 v22, 0, -1, vcc_lo
	v_cmp_eq_u32_e32 vcc_lo, s43, v13
	s_delay_alu instid0(VALU_DEP_2) | instskip(SKIP_3) | instid1(VALU_DEP_3)
	v_cndmask_b32_e64 v10, v22, v10, s0
	v_cndmask_b32_e32 v13, v21, v20, vcc_lo
	v_add_co_u32 v20, vcc_lo, v3, 1
	v_add_co_ci_u32_e32 v21, vcc_lo, 0, v12, vcc_lo
	v_cmp_ne_u32_e32 vcc_lo, 0, v13
	s_delay_alu instid0(VALU_DEP_2) | instskip(NEXT) | instid1(VALU_DEP_4)
	v_cndmask_b32_e32 v11, v21, v18, vcc_lo
	v_cndmask_b32_e32 v13, v20, v17, vcc_lo
	v_cmp_ne_u32_e32 vcc_lo, 0, v10
	v_xor_b32_e32 v17, s40, v19
	s_delay_alu instid0(VALU_DEP_3) | instskip(NEXT) | instid1(VALU_DEP_1)
	v_dual_cndmask_b32 v3, v3, v13 :: v_dual_cndmask_b32 v10, v12, v11
	v_xor_b32_e32 v3, v3, v17
	s_delay_alu instid0(VALU_DEP_2) | instskip(NEXT) | instid1(VALU_DEP_2)
	v_xor_b32_e32 v11, v10, v17
	v_sub_co_u32 v10, vcc_lo, v3, v17
	s_delay_alu instid0(VALU_DEP_2)
	v_sub_co_ci_u32_e32 v11, vcc_lo, v11, v17, vcc_lo
.LBB74_19:                              ;   in Loop: Header=BB74_17 Depth=2
	s_and_not1_saveexec_b32 s0, s1
	s_cbranch_execz .LBB74_16
; %bb.20:                               ;   in Loop: Header=BB74_17 Depth=2
	v_cvt_f32_u32_e32 v3, s38
	s_sub_i32 s1, 0, s38
	s_delay_alu instid0(VALU_DEP_1) | instskip(SKIP_2) | instid1(VALU_DEP_1)
	v_rcp_iflag_f32_e32 v3, v3
	s_waitcnt_depctr 0xfff
	v_mul_f32_e32 v3, 0x4f7ffffe, v3
	v_cvt_u32_f32_e32 v3, v3
	s_delay_alu instid0(VALU_DEP_1) | instskip(NEXT) | instid1(VALU_DEP_1)
	v_mul_lo_u32 v10, s1, v3
	v_mul_hi_u32 v10, v3, v10
	s_delay_alu instid0(VALU_DEP_1) | instskip(NEXT) | instid1(VALU_DEP_1)
	v_add_nc_u32_e32 v3, v3, v10
	v_mul_hi_u32 v3, v6, v3
	s_delay_alu instid0(VALU_DEP_1) | instskip(SKIP_1) | instid1(VALU_DEP_2)
	v_mul_lo_u32 v10, v3, s38
	v_add_nc_u32_e32 v11, 1, v3
	v_sub_nc_u32_e32 v10, v6, v10
	s_delay_alu instid0(VALU_DEP_1) | instskip(SKIP_1) | instid1(VALU_DEP_2)
	v_subrev_nc_u32_e32 v12, s38, v10
	v_cmp_le_u32_e32 vcc_lo, s38, v10
	v_dual_cndmask_b32 v10, v10, v12 :: v_dual_cndmask_b32 v3, v3, v11
	s_delay_alu instid0(VALU_DEP_1) | instskip(NEXT) | instid1(VALU_DEP_2)
	v_cmp_le_u32_e32 vcc_lo, s38, v10
	v_add_nc_u32_e32 v11, 1, v3
	s_delay_alu instid0(VALU_DEP_1)
	v_dual_cndmask_b32 v10, v3, v11 :: v_dual_mov_b32 v11, v2
	s_branch .LBB74_16
.LBB74_21:
	s_nop 0
	s_sendmsg sendmsg(MSG_DEALLOC_VGPRS)
	s_endpgm
	.section	.rodata,"a",@progbits
	.p2align	6, 0x0
	.amdhsa_kernel _ZN2at6native16triu_tril_kernelIdlLb1ELi2ELb1EEEvNS_4cuda6detail10TensorInfoIT_T0_EENS4_IKS5_S6_EEllS6_
		.amdhsa_group_segment_fixed_size 0
		.amdhsa_private_segment_fixed_size 0
		.amdhsa_kernarg_size 1112
		.amdhsa_user_sgpr_count 15
		.amdhsa_user_sgpr_dispatch_ptr 0
		.amdhsa_user_sgpr_queue_ptr 0
		.amdhsa_user_sgpr_kernarg_segment_ptr 1
		.amdhsa_user_sgpr_dispatch_id 0
		.amdhsa_user_sgpr_private_segment_size 0
		.amdhsa_wavefront_size32 1
		.amdhsa_uses_dynamic_stack 0
		.amdhsa_enable_private_segment 0
		.amdhsa_system_sgpr_workgroup_id_x 1
		.amdhsa_system_sgpr_workgroup_id_y 0
		.amdhsa_system_sgpr_workgroup_id_z 0
		.amdhsa_system_sgpr_workgroup_info 0
		.amdhsa_system_vgpr_workitem_id 0
		.amdhsa_next_free_vgpr 24
		.amdhsa_next_free_sgpr 46
		.amdhsa_reserve_vcc 1
		.amdhsa_float_round_mode_32 0
		.amdhsa_float_round_mode_16_64 0
		.amdhsa_float_denorm_mode_32 3
		.amdhsa_float_denorm_mode_16_64 3
		.amdhsa_dx10_clamp 1
		.amdhsa_ieee_mode 1
		.amdhsa_fp16_overflow 0
		.amdhsa_workgroup_processor_mode 1
		.amdhsa_memory_ordered 1
		.amdhsa_forward_progress 0
		.amdhsa_shared_vgpr_count 0
		.amdhsa_exception_fp_ieee_invalid_op 0
		.amdhsa_exception_fp_denorm_src 0
		.amdhsa_exception_fp_ieee_div_zero 0
		.amdhsa_exception_fp_ieee_overflow 0
		.amdhsa_exception_fp_ieee_underflow 0
		.amdhsa_exception_fp_ieee_inexact 0
		.amdhsa_exception_int_div_zero 0
	.end_amdhsa_kernel
	.section	.text._ZN2at6native16triu_tril_kernelIdlLb1ELi2ELb1EEEvNS_4cuda6detail10TensorInfoIT_T0_EENS4_IKS5_S6_EEllS6_,"axG",@progbits,_ZN2at6native16triu_tril_kernelIdlLb1ELi2ELb1EEEvNS_4cuda6detail10TensorInfoIT_T0_EENS4_IKS5_S6_EEllS6_,comdat
.Lfunc_end74:
	.size	_ZN2at6native16triu_tril_kernelIdlLb1ELi2ELb1EEEvNS_4cuda6detail10TensorInfoIT_T0_EENS4_IKS5_S6_EEllS6_, .Lfunc_end74-_ZN2at6native16triu_tril_kernelIdlLb1ELi2ELb1EEEvNS_4cuda6detail10TensorInfoIT_T0_EENS4_IKS5_S6_EEllS6_
                                        ; -- End function
	.section	.AMDGPU.csdata,"",@progbits
; Kernel info:
; codeLenInByte = 3880
; NumSgprs: 48
; NumVgprs: 24
; ScratchSize: 0
; MemoryBound: 0
; FloatMode: 240
; IeeeMode: 1
; LDSByteSize: 0 bytes/workgroup (compile time only)
; SGPRBlocks: 5
; VGPRBlocks: 2
; NumSGPRsForWavesPerEU: 48
; NumVGPRsForWavesPerEU: 24
; Occupancy: 16
; WaveLimiterHint : 0
; COMPUTE_PGM_RSRC2:SCRATCH_EN: 0
; COMPUTE_PGM_RSRC2:USER_SGPR: 15
; COMPUTE_PGM_RSRC2:TRAP_HANDLER: 0
; COMPUTE_PGM_RSRC2:TGID_X_EN: 1
; COMPUTE_PGM_RSRC2:TGID_Y_EN: 0
; COMPUTE_PGM_RSRC2:TGID_Z_EN: 0
; COMPUTE_PGM_RSRC2:TIDIG_COMP_CNT: 0
	.section	.text._ZN2at6native16triu_tril_kernelIdlLb1ELi2ELb0EEEvNS_4cuda6detail10TensorInfoIT_T0_EENS4_IKS5_S6_EEllS6_,"axG",@progbits,_ZN2at6native16triu_tril_kernelIdlLb1ELi2ELb0EEEvNS_4cuda6detail10TensorInfoIT_T0_EENS4_IKS5_S6_EEllS6_,comdat
	.protected	_ZN2at6native16triu_tril_kernelIdlLb1ELi2ELb0EEEvNS_4cuda6detail10TensorInfoIT_T0_EENS4_IKS5_S6_EEllS6_ ; -- Begin function _ZN2at6native16triu_tril_kernelIdlLb1ELi2ELb0EEEvNS_4cuda6detail10TensorInfoIT_T0_EENS4_IKS5_S6_EEllS6_
	.globl	_ZN2at6native16triu_tril_kernelIdlLb1ELi2ELb0EEEvNS_4cuda6detail10TensorInfoIT_T0_EENS4_IKS5_S6_EEllS6_
	.p2align	8
	.type	_ZN2at6native16triu_tril_kernelIdlLb1ELi2ELb0EEEvNS_4cuda6detail10TensorInfoIT_T0_EENS4_IKS5_S6_EEllS6_,@function
_ZN2at6native16triu_tril_kernelIdlLb1ELi2ELb0EEEvNS_4cuda6detail10TensorInfoIT_T0_EENS4_IKS5_S6_EEllS6_: ; @_ZN2at6native16triu_tril_kernelIdlLb1ELi2ELb0EEEvNS_4cuda6detail10TensorInfoIT_T0_EENS4_IKS5_S6_EEllS6_
; %bb.0:
	s_clause 0x1
	s_load_b32 s2, s[0:1], 0x364
	s_load_b128 s[4:7], s[0:1], 0x340
	v_mov_b32_e32 v2, 0
	s_add_u32 s8, s0, 0x358
	s_addc_u32 s9, s1, 0
	s_delay_alu instid0(VALU_DEP_1) | instskip(SKIP_3) | instid1(VALU_DEP_1)
	v_mov_b32_e32 v1, v2
	s_waitcnt lgkmcnt(0)
	s_and_b32 s24, s2, 0xffff
	s_mov_b32 s2, exec_lo
	v_mad_u64_u32 v[3:4], null, s24, s15, v[0:1]
	s_delay_alu instid0(VALU_DEP_1) | instskip(NEXT) | instid1(VALU_DEP_1)
	v_lshlrev_b64 v[0:1], 1, v[3:4]
	v_cmpx_gt_i64_e64 s[6:7], v[0:1]
	s_cbranch_execz .LBB75_26
; %bb.1:
	s_clause 0x1
	s_load_b32 s26, s[0:1], 0x338
	s_load_b64 s[2:3], s[0:1], 0x350
	s_add_u32 s10, s0, 0x1a0
	s_addc_u32 s11, s1, 0
	s_load_b32 s25, s[8:9], 0x0
	s_clause 0x1
	s_load_b64 s[20:21], s[0:1], 0x1a0
	s_load_b64 s[22:23], s[0:1], 0x0
	s_mov_b32 s46, 0
	s_waitcnt lgkmcnt(0)
	s_ashr_i32 s27, s26, 31
	s_add_u32 s30, s0, 0x1a8
	s_addc_u32 s31, s1, 0
	s_lshl_b64 s[8:9], s[26:27], 3
	v_cvt_f32_u32_e32 v3, s2
	s_add_u32 s14, s8, -16
	s_addc_u32 s15, s9, -1
	s_add_u32 s8, s30, s14
	s_addc_u32 s9, s31, s15
	s_add_u32 s12, s10, s14
	s_addc_u32 s13, s11, s15
	;; [unrolled: 2-line block ×4, first 2 shown]
	s_clause 0x2
	s_load_b128 s[8:11], s[8:9], 0x0
	s_load_b128 s[12:15], s[12:13], 0xd0
	;; [unrolled: 1-line block ×3, first 2 shown]
	v_rcp_iflag_f32_e32 v3, v3
	s_add_i32 s28, s26, -3
	s_mul_i32 s25, s25, s24
	s_ashr_i32 s29, s28, 31
	v_cmp_gt_i64_e64 s1, s[26:27], 2
	s_lshl_b64 s[26:27], s[28:29], 3
	s_lshl_b32 s33, s25, 1
	s_add_u32 s24, s34, s26
	s_addc_u32 s25, s35, s27
	s_add_u32 s26, s30, s26
	s_waitcnt_depctr 0xfff
	v_mul_f32_e32 v3, 0x4f7ffffe, v3
	s_addc_u32 s27, s31, s27
	s_add_u32 s28, s28, 1
	s_addc_u32 s29, s29, 0
	s_ashr_i32 s30, s3, 31
	v_cvt_u32_f32_e32 v18, v3
	s_branch .LBB75_3
.LBB75_2:                               ;   in Loop: Header=BB75_3 Depth=1
	s_or_b32 exec_lo, exec_lo, s0
	v_add_co_u32 v0, vcc_lo, v0, s33
	v_add_co_ci_u32_e32 v1, vcc_lo, 0, v1, vcc_lo
	s_delay_alu instid0(VALU_DEP_1) | instskip(SKIP_1) | instid1(SALU_CYCLE_1)
	v_cmp_le_i64_e32 vcc_lo, s[6:7], v[0:1]
	s_or_b32 s46, vcc_lo, s46
	s_and_not1_b32 exec_lo, exec_lo, s46
	s_cbranch_execz .LBB75_26
.LBB75_3:                               ; =>This Loop Header: Depth=1
                                        ;     Child Loop BB75_22 Depth 2
	v_or_b32_e32 v3, s3, v1
                                        ; implicit-def: $vgpr8_vgpr9
	s_mov_b32 s0, exec_lo
	s_delay_alu instid0(VALU_DEP_1)
	v_cmpx_ne_u64_e32 0, v[2:3]
	s_xor_b32 s36, exec_lo, s0
	s_cbranch_execz .LBB75_5
; %bb.4:                                ;   in Loop: Header=BB75_3 Depth=1
	s_add_u32 s34, s2, s30
	s_mov_b32 s31, s30
	s_addc_u32 s35, s3, s30
	s_delay_alu instid0(SALU_CYCLE_1) | instskip(NEXT) | instid1(SALU_CYCLE_1)
	s_xor_b64 s[34:35], s[34:35], s[30:31]
	v_cvt_f32_u32_e32 v3, s34
	v_cvt_f32_u32_e32 v4, s35
	s_sub_u32 s0, 0, s34
	s_subb_u32 s31, 0, s35
	s_delay_alu instid0(VALU_DEP_1) | instskip(NEXT) | instid1(VALU_DEP_1)
	v_fmac_f32_e32 v3, 0x4f800000, v4
	v_rcp_f32_e32 v3, v3
	s_waitcnt_depctr 0xfff
	v_mul_f32_e32 v3, 0x5f7ffffc, v3
	s_delay_alu instid0(VALU_DEP_1) | instskip(NEXT) | instid1(VALU_DEP_1)
	v_mul_f32_e32 v4, 0x2f800000, v3
	v_trunc_f32_e32 v4, v4
	s_delay_alu instid0(VALU_DEP_1) | instskip(SKIP_1) | instid1(VALU_DEP_2)
	v_fmac_f32_e32 v3, 0xcf800000, v4
	v_cvt_u32_f32_e32 v4, v4
	v_cvt_u32_f32_e32 v3, v3
	s_delay_alu instid0(VALU_DEP_2) | instskip(NEXT) | instid1(VALU_DEP_2)
	v_mul_lo_u32 v5, s0, v4
	v_mul_hi_u32 v6, s0, v3
	v_mul_lo_u32 v7, s31, v3
	s_delay_alu instid0(VALU_DEP_2) | instskip(SKIP_1) | instid1(VALU_DEP_2)
	v_add_nc_u32_e32 v5, v6, v5
	v_mul_lo_u32 v6, s0, v3
	v_add_nc_u32_e32 v5, v5, v7
	s_delay_alu instid0(VALU_DEP_2) | instskip(NEXT) | instid1(VALU_DEP_2)
	v_mul_hi_u32 v7, v3, v6
	v_mul_lo_u32 v8, v3, v5
	v_mul_hi_u32 v9, v3, v5
	v_mul_hi_u32 v10, v4, v6
	v_mul_lo_u32 v6, v4, v6
	v_mul_hi_u32 v11, v4, v5
	v_mul_lo_u32 v5, v4, v5
	v_add_co_u32 v7, vcc_lo, v7, v8
	v_add_co_ci_u32_e32 v8, vcc_lo, 0, v9, vcc_lo
	s_delay_alu instid0(VALU_DEP_2) | instskip(NEXT) | instid1(VALU_DEP_2)
	v_add_co_u32 v6, vcc_lo, v7, v6
	v_add_co_ci_u32_e32 v6, vcc_lo, v8, v10, vcc_lo
	v_add_co_ci_u32_e32 v7, vcc_lo, 0, v11, vcc_lo
	v_ashrrev_i32_e32 v10, 31, v1
	s_delay_alu instid0(VALU_DEP_3) | instskip(NEXT) | instid1(VALU_DEP_3)
	v_add_co_u32 v5, vcc_lo, v6, v5
	v_add_co_ci_u32_e32 v6, vcc_lo, 0, v7, vcc_lo
	s_delay_alu instid0(VALU_DEP_2) | instskip(NEXT) | instid1(VALU_DEP_2)
	v_add_co_u32 v3, vcc_lo, v3, v5
	v_add_co_ci_u32_e32 v4, vcc_lo, v4, v6, vcc_lo
	s_delay_alu instid0(VALU_DEP_2) | instskip(SKIP_1) | instid1(VALU_DEP_3)
	v_mul_hi_u32 v5, s0, v3
	v_mul_lo_u32 v7, s31, v3
	v_mul_lo_u32 v6, s0, v4
	s_delay_alu instid0(VALU_DEP_1) | instskip(SKIP_1) | instid1(VALU_DEP_2)
	v_add_nc_u32_e32 v5, v5, v6
	v_mul_lo_u32 v6, s0, v3
	v_add_nc_u32_e32 v5, v5, v7
	s_delay_alu instid0(VALU_DEP_2) | instskip(NEXT) | instid1(VALU_DEP_2)
	v_mul_hi_u32 v7, v3, v6
	v_mul_lo_u32 v8, v3, v5
	v_mul_hi_u32 v9, v3, v5
	v_mul_hi_u32 v11, v4, v6
	v_mul_lo_u32 v6, v4, v6
	v_mul_hi_u32 v12, v4, v5
	v_mul_lo_u32 v5, v4, v5
	v_add_co_u32 v7, vcc_lo, v7, v8
	v_add_co_ci_u32_e32 v8, vcc_lo, 0, v9, vcc_lo
	s_delay_alu instid0(VALU_DEP_2) | instskip(NEXT) | instid1(VALU_DEP_2)
	v_add_co_u32 v6, vcc_lo, v7, v6
	v_add_co_ci_u32_e32 v6, vcc_lo, v8, v11, vcc_lo
	v_add_co_ci_u32_e32 v7, vcc_lo, 0, v12, vcc_lo
	v_add_co_u32 v8, vcc_lo, v0, v10
	v_add_co_ci_u32_e32 v9, vcc_lo, v1, v10, vcc_lo
	s_delay_alu instid0(VALU_DEP_4) | instskip(NEXT) | instid1(VALU_DEP_4)
	v_add_co_u32 v5, vcc_lo, v6, v5
	v_add_co_ci_u32_e32 v6, vcc_lo, 0, v7, vcc_lo
	s_delay_alu instid0(VALU_DEP_4) | instskip(NEXT) | instid1(VALU_DEP_3)
	v_xor_b32_e32 v11, v8, v10
	v_add_co_u32 v7, vcc_lo, v3, v5
	s_delay_alu instid0(VALU_DEP_3) | instskip(SKIP_1) | instid1(VALU_DEP_3)
	v_add_co_ci_u32_e32 v12, vcc_lo, v4, v6, vcc_lo
	v_xor_b32_e32 v9, v9, v10
	v_mul_hi_u32 v13, v11, v7
	s_delay_alu instid0(VALU_DEP_3) | instskip(NEXT) | instid1(VALU_DEP_3)
	v_mad_u64_u32 v[3:4], null, v11, v12, 0
	v_mad_u64_u32 v[5:6], null, v9, v7, 0
	;; [unrolled: 1-line block ×3, first 2 shown]
	s_delay_alu instid0(VALU_DEP_3) | instskip(NEXT) | instid1(VALU_DEP_4)
	v_add_co_u32 v3, vcc_lo, v13, v3
	v_add_co_ci_u32_e32 v4, vcc_lo, 0, v4, vcc_lo
	s_delay_alu instid0(VALU_DEP_2) | instskip(NEXT) | instid1(VALU_DEP_2)
	v_add_co_u32 v3, vcc_lo, v3, v5
	v_add_co_ci_u32_e32 v3, vcc_lo, v4, v6, vcc_lo
	v_add_co_ci_u32_e32 v4, vcc_lo, 0, v8, vcc_lo
	s_delay_alu instid0(VALU_DEP_2) | instskip(NEXT) | instid1(VALU_DEP_2)
	v_add_co_u32 v5, vcc_lo, v3, v7
	v_add_co_ci_u32_e32 v6, vcc_lo, 0, v4, vcc_lo
	s_delay_alu instid0(VALU_DEP_2) | instskip(SKIP_1) | instid1(VALU_DEP_3)
	v_mul_lo_u32 v7, s35, v5
	v_mad_u64_u32 v[3:4], null, s34, v5, 0
	v_mul_lo_u32 v8, s34, v6
	s_delay_alu instid0(VALU_DEP_2) | instskip(NEXT) | instid1(VALU_DEP_2)
	v_sub_co_u32 v3, vcc_lo, v11, v3
	v_add3_u32 v4, v4, v8, v7
	s_delay_alu instid0(VALU_DEP_1) | instskip(NEXT) | instid1(VALU_DEP_1)
	v_sub_nc_u32_e32 v7, v9, v4
	v_subrev_co_ci_u32_e64 v7, s0, s35, v7, vcc_lo
	v_add_co_u32 v8, s0, v5, 2
	s_delay_alu instid0(VALU_DEP_1) | instskip(SKIP_3) | instid1(VALU_DEP_3)
	v_add_co_ci_u32_e64 v11, s0, 0, v6, s0
	v_sub_co_u32 v12, s0, v3, s34
	v_sub_co_ci_u32_e32 v4, vcc_lo, v9, v4, vcc_lo
	v_subrev_co_ci_u32_e64 v7, s0, 0, v7, s0
	v_cmp_le_u32_e32 vcc_lo, s34, v12
	s_delay_alu instid0(VALU_DEP_3) | instskip(SKIP_1) | instid1(VALU_DEP_4)
	v_cmp_eq_u32_e64 s0, s35, v4
	v_cndmask_b32_e64 v9, 0, -1, vcc_lo
	v_cmp_le_u32_e32 vcc_lo, s35, v7
	v_cndmask_b32_e64 v12, 0, -1, vcc_lo
	v_cmp_le_u32_e32 vcc_lo, s34, v3
	;; [unrolled: 2-line block ×3, first 2 shown]
	v_cndmask_b32_e64 v13, 0, -1, vcc_lo
	v_cmp_eq_u32_e32 vcc_lo, s35, v7
	s_delay_alu instid0(VALU_DEP_2) | instskip(SKIP_3) | instid1(VALU_DEP_3)
	v_cndmask_b32_e64 v3, v13, v3, s0
	v_cndmask_b32_e32 v7, v12, v9, vcc_lo
	v_add_co_u32 v9, vcc_lo, v5, 1
	v_add_co_ci_u32_e32 v12, vcc_lo, 0, v6, vcc_lo
	v_cmp_ne_u32_e32 vcc_lo, 0, v7
	s_delay_alu instid0(VALU_DEP_2) | instskip(SKIP_2) | instid1(VALU_DEP_3)
	v_dual_cndmask_b32 v4, v12, v11 :: v_dual_cndmask_b32 v7, v9, v8
	v_cmp_ne_u32_e32 vcc_lo, 0, v3
	v_xor_b32_e32 v3, s30, v10
	v_dual_cndmask_b32 v5, v5, v7 :: v_dual_cndmask_b32 v4, v6, v4
	s_delay_alu instid0(VALU_DEP_1) | instskip(NEXT) | instid1(VALU_DEP_2)
	v_xor_b32_e32 v5, v5, v3
	v_xor_b32_e32 v4, v4, v3
	s_delay_alu instid0(VALU_DEP_2) | instskip(NEXT) | instid1(VALU_DEP_2)
	v_sub_co_u32 v8, vcc_lo, v5, v3
	v_sub_co_ci_u32_e32 v9, vcc_lo, v4, v3, vcc_lo
.LBB75_5:                               ;   in Loop: Header=BB75_3 Depth=1
	s_and_not1_saveexec_b32 s0, s36
	s_cbranch_execz .LBB75_7
; %bb.6:                                ;   in Loop: Header=BB75_3 Depth=1
	s_sub_i32 s31, 0, s2
	v_mov_b32_e32 v9, v2
	v_mul_lo_u32 v3, s31, v18
	s_delay_alu instid0(VALU_DEP_1) | instskip(NEXT) | instid1(VALU_DEP_1)
	v_mul_hi_u32 v3, v18, v3
	v_add_nc_u32_e32 v3, v18, v3
	s_delay_alu instid0(VALU_DEP_1) | instskip(NEXT) | instid1(VALU_DEP_1)
	v_mul_hi_u32 v3, v0, v3
	v_mul_lo_u32 v4, v3, s2
	v_add_nc_u32_e32 v5, 1, v3
	s_delay_alu instid0(VALU_DEP_2) | instskip(NEXT) | instid1(VALU_DEP_1)
	v_sub_nc_u32_e32 v4, v0, v4
	v_subrev_nc_u32_e32 v6, s2, v4
	v_cmp_le_u32_e32 vcc_lo, s2, v4
	s_delay_alu instid0(VALU_DEP_2) | instskip(NEXT) | instid1(VALU_DEP_1)
	v_dual_cndmask_b32 v4, v4, v6 :: v_dual_cndmask_b32 v3, v3, v5
	v_cmp_le_u32_e32 vcc_lo, s2, v4
	s_delay_alu instid0(VALU_DEP_2) | instskip(NEXT) | instid1(VALU_DEP_1)
	v_add_nc_u32_e32 v5, 1, v3
	v_cndmask_b32_e32 v8, v3, v5, vcc_lo
.LBB75_7:                               ;   in Loop: Header=BB75_3 Depth=1
	s_or_b32 exec_lo, exec_lo, s0
	s_waitcnt lgkmcnt(0)
	v_or_b32_e32 v3, s9, v9
                                        ; implicit-def: $vgpr6_vgpr7
	s_mov_b32 s0, exec_lo
	s_delay_alu instid0(VALU_DEP_1)
	v_cmpx_ne_u64_e32 0, v[2:3]
	s_xor_b32 s31, exec_lo, s0
	s_cbranch_execz .LBB75_9
; %bb.8:                                ;   in Loop: Header=BB75_3 Depth=1
	s_ashr_i32 s34, s9, 31
	s_delay_alu instid0(SALU_CYCLE_1) | instskip(SKIP_2) | instid1(SALU_CYCLE_1)
	s_add_u32 s36, s8, s34
	s_mov_b32 s35, s34
	s_addc_u32 s37, s9, s34
	s_xor_b64 s[36:37], s[36:37], s[34:35]
	s_delay_alu instid0(SALU_CYCLE_1) | instskip(SKIP_3) | instid1(VALU_DEP_1)
	v_cvt_f32_u32_e32 v3, s36
	v_cvt_f32_u32_e32 v4, s37
	s_sub_u32 s0, 0, s36
	s_subb_u32 s35, 0, s37
	v_fmac_f32_e32 v3, 0x4f800000, v4
	s_delay_alu instid0(VALU_DEP_1) | instskip(SKIP_2) | instid1(VALU_DEP_1)
	v_rcp_f32_e32 v3, v3
	s_waitcnt_depctr 0xfff
	v_mul_f32_e32 v3, 0x5f7ffffc, v3
	v_mul_f32_e32 v4, 0x2f800000, v3
	s_delay_alu instid0(VALU_DEP_1) | instskip(NEXT) | instid1(VALU_DEP_1)
	v_trunc_f32_e32 v4, v4
	v_fmac_f32_e32 v3, 0xcf800000, v4
	v_cvt_u32_f32_e32 v4, v4
	s_delay_alu instid0(VALU_DEP_2) | instskip(NEXT) | instid1(VALU_DEP_2)
	v_cvt_u32_f32_e32 v3, v3
	v_mul_lo_u32 v5, s0, v4
	s_delay_alu instid0(VALU_DEP_2) | instskip(SKIP_1) | instid1(VALU_DEP_2)
	v_mul_hi_u32 v6, s0, v3
	v_mul_lo_u32 v7, s35, v3
	v_add_nc_u32_e32 v5, v6, v5
	v_mul_lo_u32 v6, s0, v3
	s_delay_alu instid0(VALU_DEP_2) | instskip(NEXT) | instid1(VALU_DEP_2)
	v_add_nc_u32_e32 v5, v5, v7
	v_mul_hi_u32 v7, v3, v6
	s_delay_alu instid0(VALU_DEP_2)
	v_mul_lo_u32 v10, v3, v5
	v_mul_hi_u32 v11, v3, v5
	v_mul_hi_u32 v12, v4, v6
	v_mul_lo_u32 v6, v4, v6
	v_mul_hi_u32 v13, v4, v5
	v_mul_lo_u32 v5, v4, v5
	v_add_co_u32 v7, vcc_lo, v7, v10
	v_add_co_ci_u32_e32 v10, vcc_lo, 0, v11, vcc_lo
	s_delay_alu instid0(VALU_DEP_2) | instskip(NEXT) | instid1(VALU_DEP_2)
	v_add_co_u32 v6, vcc_lo, v7, v6
	v_add_co_ci_u32_e32 v6, vcc_lo, v10, v12, vcc_lo
	v_add_co_ci_u32_e32 v7, vcc_lo, 0, v13, vcc_lo
	v_ashrrev_i32_e32 v12, 31, v9
	s_delay_alu instid0(VALU_DEP_3) | instskip(NEXT) | instid1(VALU_DEP_3)
	v_add_co_u32 v5, vcc_lo, v6, v5
	v_add_co_ci_u32_e32 v6, vcc_lo, 0, v7, vcc_lo
	s_delay_alu instid0(VALU_DEP_2) | instskip(NEXT) | instid1(VALU_DEP_2)
	v_add_co_u32 v3, vcc_lo, v3, v5
	v_add_co_ci_u32_e32 v4, vcc_lo, v4, v6, vcc_lo
	s_delay_alu instid0(VALU_DEP_2) | instskip(SKIP_1) | instid1(VALU_DEP_3)
	v_mul_hi_u32 v5, s0, v3
	v_mul_lo_u32 v7, s35, v3
	v_mul_lo_u32 v6, s0, v4
	s_delay_alu instid0(VALU_DEP_1) | instskip(SKIP_1) | instid1(VALU_DEP_2)
	v_add_nc_u32_e32 v5, v5, v6
	v_mul_lo_u32 v6, s0, v3
	v_add_nc_u32_e32 v5, v5, v7
	s_delay_alu instid0(VALU_DEP_2) | instskip(NEXT) | instid1(VALU_DEP_2)
	v_mul_hi_u32 v7, v3, v6
	v_mul_lo_u32 v10, v3, v5
	v_mul_hi_u32 v11, v3, v5
	v_mul_hi_u32 v13, v4, v6
	v_mul_lo_u32 v6, v4, v6
	v_mul_hi_u32 v14, v4, v5
	v_mul_lo_u32 v5, v4, v5
	v_add_co_u32 v7, vcc_lo, v7, v10
	v_add_co_ci_u32_e32 v10, vcc_lo, 0, v11, vcc_lo
	s_delay_alu instid0(VALU_DEP_2) | instskip(NEXT) | instid1(VALU_DEP_2)
	v_add_co_u32 v6, vcc_lo, v7, v6
	v_add_co_ci_u32_e32 v6, vcc_lo, v10, v13, vcc_lo
	v_add_co_ci_u32_e32 v7, vcc_lo, 0, v14, vcc_lo
	v_add_co_u32 v10, vcc_lo, v8, v12
	v_add_co_ci_u32_e32 v11, vcc_lo, v9, v12, vcc_lo
	s_delay_alu instid0(VALU_DEP_4) | instskip(NEXT) | instid1(VALU_DEP_4)
	v_add_co_u32 v5, vcc_lo, v6, v5
	v_add_co_ci_u32_e32 v6, vcc_lo, 0, v7, vcc_lo
	s_delay_alu instid0(VALU_DEP_4) | instskip(NEXT) | instid1(VALU_DEP_3)
	v_xor_b32_e32 v7, v10, v12
	v_add_co_u32 v10, vcc_lo, v3, v5
	s_delay_alu instid0(VALU_DEP_3) | instskip(SKIP_1) | instid1(VALU_DEP_3)
	v_add_co_ci_u32_e32 v13, vcc_lo, v4, v6, vcc_lo
	v_xor_b32_e32 v14, v11, v12
	v_mul_hi_u32 v15, v7, v10
	s_delay_alu instid0(VALU_DEP_3) | instskip(NEXT) | instid1(VALU_DEP_3)
	v_mad_u64_u32 v[3:4], null, v7, v13, 0
	v_mad_u64_u32 v[5:6], null, v14, v10, 0
	v_mad_u64_u32 v[10:11], null, v14, v13, 0
	s_delay_alu instid0(VALU_DEP_3) | instskip(NEXT) | instid1(VALU_DEP_4)
	v_add_co_u32 v3, vcc_lo, v15, v3
	v_add_co_ci_u32_e32 v4, vcc_lo, 0, v4, vcc_lo
	s_delay_alu instid0(VALU_DEP_2) | instskip(NEXT) | instid1(VALU_DEP_2)
	v_add_co_u32 v3, vcc_lo, v3, v5
	v_add_co_ci_u32_e32 v3, vcc_lo, v4, v6, vcc_lo
	v_add_co_ci_u32_e32 v4, vcc_lo, 0, v11, vcc_lo
	s_delay_alu instid0(VALU_DEP_2) | instskip(NEXT) | instid1(VALU_DEP_2)
	v_add_co_u32 v5, vcc_lo, v3, v10
	v_add_co_ci_u32_e32 v6, vcc_lo, 0, v4, vcc_lo
	s_delay_alu instid0(VALU_DEP_2) | instskip(SKIP_1) | instid1(VALU_DEP_3)
	v_mul_lo_u32 v10, s37, v5
	v_mad_u64_u32 v[3:4], null, s36, v5, 0
	v_mul_lo_u32 v11, s36, v6
	s_delay_alu instid0(VALU_DEP_2) | instskip(NEXT) | instid1(VALU_DEP_2)
	v_sub_co_u32 v3, vcc_lo, v7, v3
	v_add3_u32 v4, v4, v11, v10
	s_delay_alu instid0(VALU_DEP_1) | instskip(NEXT) | instid1(VALU_DEP_1)
	v_sub_nc_u32_e32 v10, v14, v4
	v_subrev_co_ci_u32_e64 v7, s0, s37, v10, vcc_lo
	v_add_co_u32 v10, s0, v5, 2
	s_delay_alu instid0(VALU_DEP_1) | instskip(SKIP_3) | instid1(VALU_DEP_3)
	v_add_co_ci_u32_e64 v11, s0, 0, v6, s0
	v_sub_co_u32 v13, s0, v3, s36
	v_sub_co_ci_u32_e32 v4, vcc_lo, v14, v4, vcc_lo
	v_subrev_co_ci_u32_e64 v7, s0, 0, v7, s0
	v_cmp_le_u32_e32 vcc_lo, s36, v13
	s_delay_alu instid0(VALU_DEP_3) | instskip(SKIP_1) | instid1(VALU_DEP_4)
	v_cmp_eq_u32_e64 s0, s37, v4
	v_cndmask_b32_e64 v13, 0, -1, vcc_lo
	v_cmp_le_u32_e32 vcc_lo, s37, v7
	v_cndmask_b32_e64 v14, 0, -1, vcc_lo
	v_cmp_le_u32_e32 vcc_lo, s36, v3
	v_cndmask_b32_e64 v3, 0, -1, vcc_lo
	v_cmp_le_u32_e32 vcc_lo, s37, v4
	v_cndmask_b32_e64 v15, 0, -1, vcc_lo
	v_cmp_eq_u32_e32 vcc_lo, s37, v7
	s_delay_alu instid0(VALU_DEP_2) | instskip(SKIP_3) | instid1(VALU_DEP_3)
	v_cndmask_b32_e64 v3, v15, v3, s0
	v_cndmask_b32_e32 v7, v14, v13, vcc_lo
	v_add_co_u32 v13, vcc_lo, v5, 1
	v_add_co_ci_u32_e32 v14, vcc_lo, 0, v6, vcc_lo
	v_cmp_ne_u32_e32 vcc_lo, 0, v7
	s_delay_alu instid0(VALU_DEP_2) | instskip(SKIP_2) | instid1(VALU_DEP_3)
	v_dual_cndmask_b32 v4, v14, v11 :: v_dual_cndmask_b32 v7, v13, v10
	v_cmp_ne_u32_e32 vcc_lo, 0, v3
	v_xor_b32_e32 v3, s34, v12
	v_dual_cndmask_b32 v5, v5, v7 :: v_dual_cndmask_b32 v4, v6, v4
	s_delay_alu instid0(VALU_DEP_1) | instskip(NEXT) | instid1(VALU_DEP_2)
	v_xor_b32_e32 v5, v5, v3
	v_xor_b32_e32 v4, v4, v3
	s_delay_alu instid0(VALU_DEP_2) | instskip(NEXT) | instid1(VALU_DEP_2)
	v_sub_co_u32 v6, vcc_lo, v5, v3
	v_sub_co_ci_u32_e32 v7, vcc_lo, v4, v3, vcc_lo
.LBB75_9:                               ;   in Loop: Header=BB75_3 Depth=1
	s_and_not1_saveexec_b32 s0, s31
	s_cbranch_execz .LBB75_11
; %bb.10:                               ;   in Loop: Header=BB75_3 Depth=1
	v_cvt_f32_u32_e32 v3, s8
	s_sub_i32 s31, 0, s8
	v_mov_b32_e32 v7, v2
	s_delay_alu instid0(VALU_DEP_2) | instskip(SKIP_2) | instid1(VALU_DEP_1)
	v_rcp_iflag_f32_e32 v3, v3
	s_waitcnt_depctr 0xfff
	v_mul_f32_e32 v3, 0x4f7ffffe, v3
	v_cvt_u32_f32_e32 v3, v3
	s_delay_alu instid0(VALU_DEP_1) | instskip(NEXT) | instid1(VALU_DEP_1)
	v_mul_lo_u32 v4, s31, v3
	v_mul_hi_u32 v4, v3, v4
	s_delay_alu instid0(VALU_DEP_1) | instskip(NEXT) | instid1(VALU_DEP_1)
	v_add_nc_u32_e32 v3, v3, v4
	v_mul_hi_u32 v3, v8, v3
	s_delay_alu instid0(VALU_DEP_1) | instskip(SKIP_1) | instid1(VALU_DEP_2)
	v_mul_lo_u32 v4, v3, s8
	v_add_nc_u32_e32 v5, 1, v3
	v_sub_nc_u32_e32 v4, v8, v4
	s_delay_alu instid0(VALU_DEP_1) | instskip(SKIP_1) | instid1(VALU_DEP_2)
	v_subrev_nc_u32_e32 v6, s8, v4
	v_cmp_le_u32_e32 vcc_lo, s8, v4
	v_dual_cndmask_b32 v4, v4, v6 :: v_dual_cndmask_b32 v3, v3, v5
	s_delay_alu instid0(VALU_DEP_1) | instskip(NEXT) | instid1(VALU_DEP_2)
	v_cmp_le_u32_e32 vcc_lo, s8, v4
	v_add_nc_u32_e32 v5, 1, v3
	s_delay_alu instid0(VALU_DEP_1)
	v_cndmask_b32_e32 v6, v3, v5, vcc_lo
.LBB75_11:                              ;   in Loop: Header=BB75_3 Depth=1
	s_or_b32 exec_lo, exec_lo, s0
	v_mul_lo_u32 v5, v9, s2
	v_mul_lo_u32 v12, v8, s3
	v_mad_u64_u32 v[3:4], null, v8, s2, 0
	v_mul_lo_u32 v13, v7, s8
	v_mul_lo_u32 v14, v6, s9
	v_mad_u64_u32 v[10:11], null, v6, s8, 0
	s_mov_b64 s[34:35], s[28:29]
	s_mov_b64 s[36:37], s[26:27]
	s_delay_alu instid0(VALU_DEP_4) | instskip(SKIP_2) | instid1(VALU_DEP_3)
	v_add3_u32 v5, v4, v12, v5
	v_sub_co_u32 v4, vcc_lo, v0, v3
	s_mov_b64 s[38:39], s[24:25]
	v_add3_u32 v3, v11, v14, v13
	s_delay_alu instid0(VALU_DEP_3) | instskip(NEXT) | instid1(VALU_DEP_3)
	v_sub_co_ci_u32_e32 v5, vcc_lo, v1, v5, vcc_lo
	v_mul_lo_u32 v11, s15, v4
	v_mul_lo_u32 v12, s19, v4
	v_mad_u64_u32 v[14:15], null, s18, v4, 0
	s_delay_alu instid0(VALU_DEP_4)
	v_mul_lo_u32 v13, s14, v5
	v_mul_lo_u32 v16, s18, v5
	v_mad_u64_u32 v[21:22], null, s14, v4, 0
	v_sub_co_u32 v19, vcc_lo, v8, v10
	v_sub_co_ci_u32_e32 v20, vcc_lo, v9, v3, vcc_lo
	s_and_b32 vcc_lo, exec_lo, s1
	s_delay_alu instid0(VALU_DEP_4) | instskip(NEXT) | instid1(VALU_DEP_4)
	v_add3_u32 v15, v15, v16, v12
	v_add3_u32 v22, v22, v13, v11
	v_mul_lo_u32 v3, s13, v19
	v_mul_lo_u32 v8, s12, v20
	;; [unrolled: 1-line block ×3, first 2 shown]
	v_mad_u64_u32 v[12:13], null, s16, v19, v[14:15]
	v_mul_lo_u32 v10, s17, v19
	v_mad_u64_u32 v[16:17], null, s12, v19, v[21:22]
	s_delay_alu instid0(VALU_DEP_2) | instskip(NEXT) | instid1(VALU_DEP_2)
	v_add3_u32 v13, v10, v13, v9
	v_add3_u32 v17, v3, v17, v8
	v_mov_b32_e32 v8, v12
	s_delay_alu instid0(VALU_DEP_3) | instskip(NEXT) | instid1(VALU_DEP_3)
	v_dual_mov_b32 v10, v16 :: v_dual_mov_b32 v9, v13
	v_mov_b32_e32 v11, v17
	s_cbranch_vccnz .LBB75_22
.LBB75_12:                              ;   in Loop: Header=BB75_3 Depth=1
	v_sub_co_u32 v6, vcc_lo, v4, v19
	v_mov_b32_e32 v8, 0
	v_sub_co_ci_u32_e32 v7, vcc_lo, v5, v20, vcc_lo
	v_mov_b32_e32 v9, 0
	s_delay_alu instid0(VALU_DEP_4) | instskip(NEXT) | instid1(VALU_DEP_3)
	v_add_co_u32 v10, vcc_lo, v6, 2
	v_add_co_ci_u32_e32 v11, vcc_lo, 0, v7, vcc_lo
	s_delay_alu instid0(VALU_DEP_3) | instskip(SKIP_1) | instid1(VALU_DEP_2)
	v_dual_mov_b32 v15, v9 :: v_dual_mov_b32 v14, v8
	s_mov_b32 s31, exec_lo
	v_cmpx_le_i64_e64 s[4:5], v[10:11]
	s_cbranch_execz .LBB75_18
; %bb.13:                               ;   in Loop: Header=BB75_3 Depth=1
	v_mov_b32_e32 v8, 0
	v_mov_b32_e32 v9, 0
	s_mov_b32 s0, exec_lo
	s_delay_alu instid0(VALU_DEP_1)
	v_dual_mov_b32 v11, v9 :: v_dual_mov_b32 v10, v8
	v_cmpx_gt_i64_e64 s[10:11], v[4:5]
	s_cbranch_execz .LBB75_17
; %bb.14:                               ;   in Loop: Header=BB75_3 Depth=1
	v_lshlrev_b64 v[8:9], 3, v[16:17]
	s_delay_alu instid0(VALU_DEP_1) | instskip(NEXT) | instid1(VALU_DEP_2)
	v_add_co_u32 v14, vcc_lo, s20, v8
	v_add_co_ci_u32_e32 v15, vcc_lo, s21, v9, vcc_lo
	v_add_co_u32 v10, vcc_lo, v4, 1
	v_add_co_ci_u32_e32 v11, vcc_lo, 0, v5, vcc_lo
	global_load_b64 v[8:9], v[14:15], off
	v_cmp_gt_i64_e32 vcc_lo, s[10:11], v[10:11]
	v_mov_b32_e32 v10, 0
	v_mov_b32_e32 v11, 0
	s_and_saveexec_b32 s34, vcc_lo
	s_delay_alu instid0(SALU_CYCLE_1)
	s_xor_b32 s34, exec_lo, s34
	s_cbranch_execz .LBB75_16
; %bb.15:                               ;   in Loop: Header=BB75_3 Depth=1
	s_lshl_b64 s[36:37], s[14:15], 3
	s_delay_alu instid0(SALU_CYCLE_1)
	v_add_co_u32 v10, vcc_lo, v14, s36
	v_add_co_ci_u32_e32 v11, vcc_lo, s37, v15, vcc_lo
	global_load_b64 v[10:11], v[10:11], off
.LBB75_16:                              ;   in Loop: Header=BB75_3 Depth=1
	s_or_b32 exec_lo, exec_lo, s34
.LBB75_17:                              ;   in Loop: Header=BB75_3 Depth=1
	s_delay_alu instid0(SALU_CYCLE_1) | instskip(SKIP_3) | instid1(VALU_DEP_2)
	s_or_b32 exec_lo, exec_lo, s0
	v_add_co_u32 v14, vcc_lo, v6, 1
	v_add_co_ci_u32_e32 v15, vcc_lo, 0, v7, vcc_lo
	v_cmp_le_i64_e32 vcc_lo, s[4:5], v[6:7]
	v_cmp_le_i64_e64 s0, s[4:5], v[14:15]
	s_waitcnt vmcnt(0)
	v_dual_cndmask_b32 v15, 0, v9 :: v_dual_cndmask_b32 v14, 0, v8
	s_delay_alu instid0(VALU_DEP_2)
	v_cndmask_b32_e64 v9, 0, v11, s0
	v_cndmask_b32_e64 v8, 0, v10, s0
.LBB75_18:                              ;   in Loop: Header=BB75_3 Depth=1
	s_or_b32 exec_lo, exec_lo, s31
	s_delay_alu instid0(SALU_CYCLE_1)
	s_mov_b32 s0, exec_lo
	v_cmpx_gt_i64_e64 s[10:11], v[4:5]
	s_cbranch_execz .LBB75_2
; %bb.19:                               ;   in Loop: Header=BB75_3 Depth=1
	v_lshlrev_b64 v[6:7], 3, v[12:13]
	v_add_co_u32 v10, vcc_lo, v4, 1
	v_add_co_ci_u32_e32 v11, vcc_lo, 0, v5, vcc_lo
	s_mov_b32 s31, exec_lo
	s_delay_alu instid0(VALU_DEP_3) | instskip(NEXT) | instid1(VALU_DEP_4)
	v_add_co_u32 v3, vcc_lo, s22, v6
	v_add_co_ci_u32_e32 v4, vcc_lo, s23, v7, vcc_lo
	global_store_b64 v[3:4], v[14:15], off
	v_cmpx_gt_i64_e64 s[10:11], v[10:11]
	s_xor_b32 s31, exec_lo, s31
	s_cbranch_execz .LBB75_2
; %bb.20:                               ;   in Loop: Header=BB75_3 Depth=1
	s_lshl_b64 s[34:35], s[18:19], 3
	s_delay_alu instid0(SALU_CYCLE_1)
	v_add_co_u32 v3, vcc_lo, v3, s34
	v_add_co_ci_u32_e32 v4, vcc_lo, s35, v4, vcc_lo
	global_store_b64 v[3:4], v[8:9], off
	s_branch .LBB75_2
.LBB75_21:                              ;   in Loop: Header=BB75_22 Depth=2
	s_or_b32 exec_lo, exec_lo, s0
	s_delay_alu instid0(VALU_DEP_1) | instskip(NEXT) | instid1(VALU_DEP_2)
	v_mul_lo_u32 v3, v15, s40
	v_mul_lo_u32 v16, v14, s41
	s_load_b64 s[42:43], s[36:37], 0xc8
	v_mad_u64_u32 v[12:13], null, v14, s40, 0
	s_load_b64 s[40:41], s[38:39], 0x0
	s_add_u32 s38, s38, -8
	s_addc_u32 s39, s39, -1
	s_add_u32 s36, s36, -8
	s_addc_u32 s37, s37, -1
	s_add_u32 s34, s34, -1
	s_delay_alu instid0(VALU_DEP_1) | instskip(SKIP_2) | instid1(VALU_DEP_2)
	v_add3_u32 v3, v13, v16, v3
	v_sub_co_u32 v6, vcc_lo, v6, v12
	s_addc_u32 s35, s35, -1
	v_sub_co_ci_u32_e32 v3, vcc_lo, v7, v3, vcc_lo
	v_cmp_lt_i64_e64 s0, s[34:35], 1
	s_waitcnt lgkmcnt(0)
	s_delay_alu instid0(VALU_DEP_2)
	v_mul_lo_u32 v7, s42, v3
	v_mul_lo_u32 v21, s43, v6
	v_mad_u64_u32 v[16:17], null, s42, v6, v[10:11]
	v_mul_lo_u32 v3, s40, v3
	v_mul_lo_u32 v10, s41, v6
	v_mad_u64_u32 v[12:13], null, s40, v6, v[8:9]
	s_and_b32 vcc_lo, exec_lo, s0
	s_delay_alu instid0(VALU_DEP_4) | instskip(SKIP_1) | instid1(VALU_DEP_3)
	v_add3_u32 v17, v21, v17, v7
	v_dual_mov_b32 v6, v14 :: v_dual_mov_b32 v7, v15
	v_add3_u32 v13, v10, v13, v3
	s_delay_alu instid0(VALU_DEP_4) | instskip(NEXT) | instid1(VALU_DEP_4)
	v_mov_b32_e32 v8, v12
	v_dual_mov_b32 v10, v16 :: v_dual_mov_b32 v11, v17
	s_delay_alu instid0(VALU_DEP_3)
	v_mov_b32_e32 v9, v13
	s_cbranch_vccnz .LBB75_12
.LBB75_22:                              ;   Parent Loop BB75_3 Depth=1
                                        ; =>  This Inner Loop Header: Depth=2
	s_load_b64 s[40:41], s[36:37], 0x0
                                        ; implicit-def: $vgpr14_vgpr15
	s_mov_b32 s0, exec_lo
	s_waitcnt lgkmcnt(0)
	v_or_b32_e32 v3, s41, v7
	s_delay_alu instid0(VALU_DEP_1)
	v_cmpx_ne_u64_e32 0, v[2:3]
	s_xor_b32 s31, exec_lo, s0
	s_cbranch_execz .LBB75_24
; %bb.23:                               ;   in Loop: Header=BB75_22 Depth=2
	s_ashr_i32 s42, s41, 31
	s_delay_alu instid0(SALU_CYCLE_1) | instskip(SKIP_2) | instid1(SALU_CYCLE_1)
	s_add_u32 s44, s40, s42
	s_mov_b32 s43, s42
	s_addc_u32 s45, s41, s42
	s_xor_b64 s[44:45], s[44:45], s[42:43]
	s_delay_alu instid0(SALU_CYCLE_1) | instskip(SKIP_3) | instid1(VALU_DEP_1)
	v_cvt_f32_u32_e32 v3, s44
	v_cvt_f32_u32_e32 v12, s45
	s_sub_u32 s0, 0, s44
	s_subb_u32 s43, 0, s45
	v_fmac_f32_e32 v3, 0x4f800000, v12
	s_delay_alu instid0(VALU_DEP_1) | instskip(SKIP_2) | instid1(VALU_DEP_1)
	v_rcp_f32_e32 v3, v3
	s_waitcnt_depctr 0xfff
	v_mul_f32_e32 v3, 0x5f7ffffc, v3
	v_mul_f32_e32 v12, 0x2f800000, v3
	s_delay_alu instid0(VALU_DEP_1) | instskip(NEXT) | instid1(VALU_DEP_1)
	v_trunc_f32_e32 v12, v12
	v_fmac_f32_e32 v3, 0xcf800000, v12
	v_cvt_u32_f32_e32 v12, v12
	s_delay_alu instid0(VALU_DEP_2) | instskip(NEXT) | instid1(VALU_DEP_2)
	v_cvt_u32_f32_e32 v3, v3
	v_mul_lo_u32 v13, s0, v12
	s_delay_alu instid0(VALU_DEP_2) | instskip(SKIP_1) | instid1(VALU_DEP_2)
	v_mul_hi_u32 v14, s0, v3
	v_mul_lo_u32 v15, s43, v3
	v_add_nc_u32_e32 v13, v14, v13
	v_mul_lo_u32 v14, s0, v3
	s_delay_alu instid0(VALU_DEP_2) | instskip(NEXT) | instid1(VALU_DEP_2)
	v_add_nc_u32_e32 v13, v13, v15
	v_mul_hi_u32 v15, v3, v14
	s_delay_alu instid0(VALU_DEP_2)
	v_mul_lo_u32 v16, v3, v13
	v_mul_hi_u32 v17, v3, v13
	v_mul_hi_u32 v21, v12, v14
	v_mul_lo_u32 v14, v12, v14
	v_mul_hi_u32 v22, v12, v13
	v_mul_lo_u32 v13, v12, v13
	v_add_co_u32 v15, vcc_lo, v15, v16
	v_add_co_ci_u32_e32 v16, vcc_lo, 0, v17, vcc_lo
	s_delay_alu instid0(VALU_DEP_2) | instskip(NEXT) | instid1(VALU_DEP_2)
	v_add_co_u32 v14, vcc_lo, v15, v14
	v_add_co_ci_u32_e32 v14, vcc_lo, v16, v21, vcc_lo
	v_add_co_ci_u32_e32 v15, vcc_lo, 0, v22, vcc_lo
	v_ashrrev_i32_e32 v21, 31, v7
	s_delay_alu instid0(VALU_DEP_3) | instskip(NEXT) | instid1(VALU_DEP_3)
	v_add_co_u32 v13, vcc_lo, v14, v13
	v_add_co_ci_u32_e32 v14, vcc_lo, 0, v15, vcc_lo
	s_delay_alu instid0(VALU_DEP_2) | instskip(NEXT) | instid1(VALU_DEP_2)
	v_add_co_u32 v3, vcc_lo, v3, v13
	v_add_co_ci_u32_e32 v12, vcc_lo, v12, v14, vcc_lo
	s_delay_alu instid0(VALU_DEP_2) | instskip(SKIP_1) | instid1(VALU_DEP_3)
	v_mul_hi_u32 v13, s0, v3
	v_mul_lo_u32 v15, s43, v3
	v_mul_lo_u32 v14, s0, v12
	s_delay_alu instid0(VALU_DEP_1) | instskip(SKIP_1) | instid1(VALU_DEP_2)
	v_add_nc_u32_e32 v13, v13, v14
	v_mul_lo_u32 v14, s0, v3
	v_add_nc_u32_e32 v13, v13, v15
	s_delay_alu instid0(VALU_DEP_2) | instskip(NEXT) | instid1(VALU_DEP_2)
	v_mul_hi_u32 v15, v3, v14
	v_mul_lo_u32 v16, v3, v13
	v_mul_hi_u32 v17, v3, v13
	v_mul_hi_u32 v22, v12, v14
	v_mul_lo_u32 v14, v12, v14
	v_mul_hi_u32 v23, v12, v13
	v_mul_lo_u32 v13, v12, v13
	v_add_co_u32 v15, vcc_lo, v15, v16
	v_add_co_ci_u32_e32 v16, vcc_lo, 0, v17, vcc_lo
	s_delay_alu instid0(VALU_DEP_2) | instskip(NEXT) | instid1(VALU_DEP_2)
	v_add_co_u32 v14, vcc_lo, v15, v14
	v_add_co_ci_u32_e32 v14, vcc_lo, v16, v22, vcc_lo
	v_add_co_ci_u32_e32 v15, vcc_lo, 0, v23, vcc_lo
	v_add_co_u32 v16, vcc_lo, v6, v21
	v_add_co_ci_u32_e32 v17, vcc_lo, v7, v21, vcc_lo
	s_delay_alu instid0(VALU_DEP_4) | instskip(NEXT) | instid1(VALU_DEP_4)
	v_add_co_u32 v13, vcc_lo, v14, v13
	v_add_co_ci_u32_e32 v14, vcc_lo, 0, v15, vcc_lo
	s_delay_alu instid0(VALU_DEP_4) | instskip(NEXT) | instid1(VALU_DEP_3)
	v_xor_b32_e32 v22, v16, v21
	v_add_co_u32 v3, vcc_lo, v3, v13
	s_delay_alu instid0(VALU_DEP_3) | instskip(SKIP_1) | instid1(VALU_DEP_3)
	v_add_co_ci_u32_e32 v23, vcc_lo, v12, v14, vcc_lo
	v_xor_b32_e32 v24, v17, v21
	v_mul_hi_u32 v25, v22, v3
	s_delay_alu instid0(VALU_DEP_3) | instskip(NEXT) | instid1(VALU_DEP_3)
	v_mad_u64_u32 v[12:13], null, v22, v23, 0
	v_mad_u64_u32 v[14:15], null, v24, v3, 0
	;; [unrolled: 1-line block ×3, first 2 shown]
	s_delay_alu instid0(VALU_DEP_3) | instskip(NEXT) | instid1(VALU_DEP_4)
	v_add_co_u32 v3, vcc_lo, v25, v12
	v_add_co_ci_u32_e32 v12, vcc_lo, 0, v13, vcc_lo
	s_delay_alu instid0(VALU_DEP_2) | instskip(NEXT) | instid1(VALU_DEP_2)
	v_add_co_u32 v3, vcc_lo, v3, v14
	v_add_co_ci_u32_e32 v3, vcc_lo, v12, v15, vcc_lo
	v_add_co_ci_u32_e32 v12, vcc_lo, 0, v17, vcc_lo
	s_delay_alu instid0(VALU_DEP_2) | instskip(NEXT) | instid1(VALU_DEP_2)
	v_add_co_u32 v3, vcc_lo, v3, v16
	v_add_co_ci_u32_e32 v14, vcc_lo, 0, v12, vcc_lo
	s_delay_alu instid0(VALU_DEP_2) | instskip(SKIP_1) | instid1(VALU_DEP_3)
	v_mul_lo_u32 v15, s45, v3
	v_mad_u64_u32 v[12:13], null, s44, v3, 0
	v_mul_lo_u32 v16, s44, v14
	s_delay_alu instid0(VALU_DEP_2) | instskip(NEXT) | instid1(VALU_DEP_2)
	v_sub_co_u32 v12, vcc_lo, v22, v12
	v_add3_u32 v13, v13, v16, v15
	s_delay_alu instid0(VALU_DEP_1) | instskip(NEXT) | instid1(VALU_DEP_1)
	v_sub_nc_u32_e32 v15, v24, v13
	v_subrev_co_ci_u32_e64 v15, s0, s45, v15, vcc_lo
	v_add_co_u32 v16, s0, v3, 2
	s_delay_alu instid0(VALU_DEP_1) | instskip(SKIP_3) | instid1(VALU_DEP_3)
	v_add_co_ci_u32_e64 v17, s0, 0, v14, s0
	v_sub_co_u32 v22, s0, v12, s44
	v_sub_co_ci_u32_e32 v13, vcc_lo, v24, v13, vcc_lo
	v_subrev_co_ci_u32_e64 v15, s0, 0, v15, s0
	v_cmp_le_u32_e32 vcc_lo, s44, v22
	s_delay_alu instid0(VALU_DEP_3) | instskip(SKIP_1) | instid1(VALU_DEP_4)
	v_cmp_eq_u32_e64 s0, s45, v13
	v_cndmask_b32_e64 v22, 0, -1, vcc_lo
	v_cmp_le_u32_e32 vcc_lo, s45, v15
	v_cndmask_b32_e64 v23, 0, -1, vcc_lo
	v_cmp_le_u32_e32 vcc_lo, s44, v12
	v_cndmask_b32_e64 v12, 0, -1, vcc_lo
	v_cmp_le_u32_e32 vcc_lo, s45, v13
	v_cndmask_b32_e64 v24, 0, -1, vcc_lo
	v_cmp_eq_u32_e32 vcc_lo, s45, v15
	s_delay_alu instid0(VALU_DEP_2) | instskip(SKIP_3) | instid1(VALU_DEP_3)
	v_cndmask_b32_e64 v12, v24, v12, s0
	v_cndmask_b32_e32 v15, v23, v22, vcc_lo
	v_add_co_u32 v22, vcc_lo, v3, 1
	v_add_co_ci_u32_e32 v23, vcc_lo, 0, v14, vcc_lo
	v_cmp_ne_u32_e32 vcc_lo, 0, v15
	s_delay_alu instid0(VALU_DEP_2) | instskip(NEXT) | instid1(VALU_DEP_4)
	v_cndmask_b32_e32 v13, v23, v17, vcc_lo
	v_cndmask_b32_e32 v15, v22, v16, vcc_lo
	v_cmp_ne_u32_e32 vcc_lo, 0, v12
	v_xor_b32_e32 v12, s42, v21
	s_delay_alu instid0(VALU_DEP_3) | instskip(SKIP_1) | instid1(VALU_DEP_2)
	v_cndmask_b32_e32 v3, v3, v15, vcc_lo
	v_cndmask_b32_e32 v13, v14, v13, vcc_lo
	v_xor_b32_e32 v3, v3, v12
	s_delay_alu instid0(VALU_DEP_2) | instskip(NEXT) | instid1(VALU_DEP_2)
	v_xor_b32_e32 v13, v13, v12
	v_sub_co_u32 v14, vcc_lo, v3, v12
	s_delay_alu instid0(VALU_DEP_2)
	v_sub_co_ci_u32_e32 v15, vcc_lo, v13, v12, vcc_lo
.LBB75_24:                              ;   in Loop: Header=BB75_22 Depth=2
	s_and_not1_saveexec_b32 s0, s31
	s_cbranch_execz .LBB75_21
; %bb.25:                               ;   in Loop: Header=BB75_22 Depth=2
	v_cvt_f32_u32_e32 v3, s40
	s_sub_i32 s31, 0, s40
	v_mov_b32_e32 v15, v2
	s_delay_alu instid0(VALU_DEP_2) | instskip(SKIP_2) | instid1(VALU_DEP_1)
	v_rcp_iflag_f32_e32 v3, v3
	s_waitcnt_depctr 0xfff
	v_mul_f32_e32 v3, 0x4f7ffffe, v3
	v_cvt_u32_f32_e32 v3, v3
	s_delay_alu instid0(VALU_DEP_1) | instskip(NEXT) | instid1(VALU_DEP_1)
	v_mul_lo_u32 v12, s31, v3
	v_mul_hi_u32 v12, v3, v12
	s_delay_alu instid0(VALU_DEP_1) | instskip(NEXT) | instid1(VALU_DEP_1)
	v_add_nc_u32_e32 v3, v3, v12
	v_mul_hi_u32 v3, v6, v3
	s_delay_alu instid0(VALU_DEP_1) | instskip(SKIP_1) | instid1(VALU_DEP_2)
	v_mul_lo_u32 v12, v3, s40
	v_add_nc_u32_e32 v13, 1, v3
	v_sub_nc_u32_e32 v12, v6, v12
	s_delay_alu instid0(VALU_DEP_1) | instskip(SKIP_1) | instid1(VALU_DEP_2)
	v_subrev_nc_u32_e32 v14, s40, v12
	v_cmp_le_u32_e32 vcc_lo, s40, v12
	v_dual_cndmask_b32 v12, v12, v14 :: v_dual_cndmask_b32 v3, v3, v13
	s_delay_alu instid0(VALU_DEP_1) | instskip(NEXT) | instid1(VALU_DEP_2)
	v_cmp_le_u32_e32 vcc_lo, s40, v12
	v_add_nc_u32_e32 v13, 1, v3
	s_delay_alu instid0(VALU_DEP_1)
	v_cndmask_b32_e32 v14, v3, v13, vcc_lo
	s_branch .LBB75_21
.LBB75_26:
	s_nop 0
	s_sendmsg sendmsg(MSG_DEALLOC_VGPRS)
	s_endpgm
	.section	.rodata,"a",@progbits
	.p2align	6, 0x0
	.amdhsa_kernel _ZN2at6native16triu_tril_kernelIdlLb1ELi2ELb0EEEvNS_4cuda6detail10TensorInfoIT_T0_EENS4_IKS5_S6_EEllS6_
		.amdhsa_group_segment_fixed_size 0
		.amdhsa_private_segment_fixed_size 0
		.amdhsa_kernarg_size 1112
		.amdhsa_user_sgpr_count 15
		.amdhsa_user_sgpr_dispatch_ptr 0
		.amdhsa_user_sgpr_queue_ptr 0
		.amdhsa_user_sgpr_kernarg_segment_ptr 1
		.amdhsa_user_sgpr_dispatch_id 0
		.amdhsa_user_sgpr_private_segment_size 0
		.amdhsa_wavefront_size32 1
		.amdhsa_uses_dynamic_stack 0
		.amdhsa_enable_private_segment 0
		.amdhsa_system_sgpr_workgroup_id_x 1
		.amdhsa_system_sgpr_workgroup_id_y 0
		.amdhsa_system_sgpr_workgroup_id_z 0
		.amdhsa_system_sgpr_workgroup_info 0
		.amdhsa_system_vgpr_workitem_id 0
		.amdhsa_next_free_vgpr 26
		.amdhsa_next_free_sgpr 47
		.amdhsa_reserve_vcc 1
		.amdhsa_float_round_mode_32 0
		.amdhsa_float_round_mode_16_64 0
		.amdhsa_float_denorm_mode_32 3
		.amdhsa_float_denorm_mode_16_64 3
		.amdhsa_dx10_clamp 1
		.amdhsa_ieee_mode 1
		.amdhsa_fp16_overflow 0
		.amdhsa_workgroup_processor_mode 1
		.amdhsa_memory_ordered 1
		.amdhsa_forward_progress 0
		.amdhsa_shared_vgpr_count 0
		.amdhsa_exception_fp_ieee_invalid_op 0
		.amdhsa_exception_fp_denorm_src 0
		.amdhsa_exception_fp_ieee_div_zero 0
		.amdhsa_exception_fp_ieee_overflow 0
		.amdhsa_exception_fp_ieee_underflow 0
		.amdhsa_exception_fp_ieee_inexact 0
		.amdhsa_exception_int_div_zero 0
	.end_amdhsa_kernel
	.section	.text._ZN2at6native16triu_tril_kernelIdlLb1ELi2ELb0EEEvNS_4cuda6detail10TensorInfoIT_T0_EENS4_IKS5_S6_EEllS6_,"axG",@progbits,_ZN2at6native16triu_tril_kernelIdlLb1ELi2ELb0EEEvNS_4cuda6detail10TensorInfoIT_T0_EENS4_IKS5_S6_EEllS6_,comdat
.Lfunc_end75:
	.size	_ZN2at6native16triu_tril_kernelIdlLb1ELi2ELb0EEEvNS_4cuda6detail10TensorInfoIT_T0_EENS4_IKS5_S6_EEllS6_, .Lfunc_end75-_ZN2at6native16triu_tril_kernelIdlLb1ELi2ELb0EEEvNS_4cuda6detail10TensorInfoIT_T0_EENS4_IKS5_S6_EEllS6_
                                        ; -- End function
	.section	.AMDGPU.csdata,"",@progbits
; Kernel info:
; codeLenInByte = 4224
; NumSgprs: 49
; NumVgprs: 26
; ScratchSize: 0
; MemoryBound: 0
; FloatMode: 240
; IeeeMode: 1
; LDSByteSize: 0 bytes/workgroup (compile time only)
; SGPRBlocks: 6
; VGPRBlocks: 3
; NumSGPRsForWavesPerEU: 49
; NumVGPRsForWavesPerEU: 26
; Occupancy: 16
; WaveLimiterHint : 0
; COMPUTE_PGM_RSRC2:SCRATCH_EN: 0
; COMPUTE_PGM_RSRC2:USER_SGPR: 15
; COMPUTE_PGM_RSRC2:TRAP_HANDLER: 0
; COMPUTE_PGM_RSRC2:TGID_X_EN: 1
; COMPUTE_PGM_RSRC2:TGID_Y_EN: 0
; COMPUTE_PGM_RSRC2:TGID_Z_EN: 0
; COMPUTE_PGM_RSRC2:TIDIG_COMP_CNT: 0
	.section	.text._ZN2at6native16triu_tril_kernelIfiLb1ELi2ELb1EEEvNS_4cuda6detail10TensorInfoIT_T0_EENS4_IKS5_S6_EEllS6_,"axG",@progbits,_ZN2at6native16triu_tril_kernelIfiLb1ELi2ELb1EEEvNS_4cuda6detail10TensorInfoIT_T0_EENS4_IKS5_S6_EEllS6_,comdat
	.protected	_ZN2at6native16triu_tril_kernelIfiLb1ELi2ELb1EEEvNS_4cuda6detail10TensorInfoIT_T0_EENS4_IKS5_S6_EEllS6_ ; -- Begin function _ZN2at6native16triu_tril_kernelIfiLb1ELi2ELb1EEEvNS_4cuda6detail10TensorInfoIT_T0_EENS4_IKS5_S6_EEllS6_
	.globl	_ZN2at6native16triu_tril_kernelIfiLb1ELi2ELb1EEEvNS_4cuda6detail10TensorInfoIT_T0_EENS4_IKS5_S6_EEllS6_
	.p2align	8
	.type	_ZN2at6native16triu_tril_kernelIfiLb1ELi2ELb1EEEvNS_4cuda6detail10TensorInfoIT_T0_EENS4_IKS5_S6_EEllS6_,@function
_ZN2at6native16triu_tril_kernelIfiLb1ELi2ELb1EEEvNS_4cuda6detail10TensorInfoIT_T0_EENS4_IKS5_S6_EEllS6_: ; @_ZN2at6native16triu_tril_kernelIfiLb1ELi2ELb1EEEvNS_4cuda6detail10TensorInfoIT_T0_EENS4_IKS5_S6_EEllS6_
; %bb.0:
	s_clause 0x1
	s_load_b32 s2, s[0:1], 0x1d4
	s_load_b128 s[4:7], s[0:1], 0x1b0
	v_mov_b32_e32 v2, 0
	s_add_u32 s8, s0, 0x1c8
	s_addc_u32 s9, s1, 0
	s_delay_alu instid0(VALU_DEP_1) | instskip(SKIP_3) | instid1(VALU_DEP_1)
	v_mov_b32_e32 v1, v2
	s_waitcnt lgkmcnt(0)
	s_and_b32 s14, s2, 0xffff
	s_mov_b32 s2, exec_lo
	v_mad_u64_u32 v[3:4], null, s14, s15, v[0:1]
	s_delay_alu instid0(VALU_DEP_1) | instskip(NEXT) | instid1(VALU_DEP_1)
	v_lshlrev_b64 v[0:1], 1, v[3:4]
	v_cmpx_gt_i64_e64 s[6:7], v[0:1]
	s_cbranch_execz .LBB76_62
; %bb.1:
	s_clause 0x2
	s_load_b32 s24, s[0:1], 0x1c0
	s_load_b32 s16, s[0:1], 0x1a8
	s_load_b64 s[2:3], s[0:1], 0x0
	s_load_b32 s19, s[8:9], 0x0
	s_mov_b32 s38, 0
	s_waitcnt lgkmcnt(0)
	s_ashr_i32 s25, s24, 31
	s_ashr_i32 s17, s16, 31
	s_add_u32 s26, s0, 0xe0
	s_addc_u32 s27, s1, 0
	s_lshl_b64 s[10:11], s[16:17], 2
	v_cvt_f32_u32_e32 v3, s24
	s_add_u32 s15, s10, -8
	s_addc_u32 s18, s11, -1
	s_add_u32 s12, s26, s15
	s_addc_u32 s13, s27, s18
	v_rcp_iflag_f32_e32 v3, v3
	s_load_b32 s28, s[12:13], 0x0
	s_mul_i32 s19, s19, s14
	v_cmp_gt_i64_e64 s37, s[16:17], 2
	s_waitcnt_depctr 0xfff
	v_mul_f32_e32 v3, 0x4f7ffffe, v3
	s_delay_alu instid0(VALU_DEP_1)
	v_cvt_u32_f32_e32 v3, v3
	s_waitcnt lgkmcnt(0)
	s_ashr_i32 s29, s28, 31
	s_add_u32 s12, s10, -4
	s_addc_u32 s13, s11, -1
	s_add_u32 s30, s0, 0x6c
	s_addc_u32 s1, s1, 0
	s_add_u32 s8, s30, s12
	s_addc_u32 s9, s1, s13
	;; [unrolled: 2-line block ×3, first 2 shown]
	s_add_i32 s31, s16, -3
	s_add_u32 s12, s26, s12
	s_addc_u32 s13, s27, s13
	s_add_i32 s0, s16, 6
	s_lshl_b32 s34, s19, 1
	s_and_b32 s33, s0, 7
	s_mov_b32 s15, 0
	s_cmp_lg_u32 s33, 0
	s_cselect_b32 s35, -1, 0
	s_cmp_gt_u32 s31, 6
	s_cselect_b32 s36, -1, 0
	s_sub_i32 s0, 0, s24
	s_delay_alu instid0(SALU_CYCLE_1) | instskip(NEXT) | instid1(VALU_DEP_1)
	v_mul_lo_u32 v4, s0, v3
	v_mul_hi_u32 v4, v3, v4
	s_delay_alu instid0(VALU_DEP_1)
	v_add_nc_u32_e32 v24, v3, v4
	s_branch .LBB76_3
.LBB76_2:                               ;   in Loop: Header=BB76_3 Depth=1
	s_or_b32 exec_lo, exec_lo, s39
	v_add_co_u32 v0, vcc_lo, v0, s34
	v_add_co_ci_u32_e32 v1, vcc_lo, 0, v1, vcc_lo
	s_delay_alu instid0(VALU_DEP_1) | instskip(SKIP_1) | instid1(SALU_CYCLE_1)
	v_cmp_le_i64_e32 vcc_lo, s[6:7], v[0:1]
	s_or_b32 s38, vcc_lo, s38
	s_and_not1_b32 exec_lo, exec_lo, s38
	s_cbranch_execz .LBB76_62
.LBB76_3:                               ; =>This Loop Header: Depth=1
                                        ;     Child Loop BB76_15 Depth 2
                                        ;     Child Loop BB76_24 Depth 2
	v_or_b32_e32 v3, s25, v1
                                        ; implicit-def: $vgpr4_vgpr5
	s_mov_b32 s0, exec_lo
	s_delay_alu instid0(VALU_DEP_1)
	v_cmpx_ne_u64_e32 0, v[2:3]
	s_xor_b32 s14, exec_lo, s0
	s_cbranch_execz .LBB76_5
; %bb.4:                                ;   in Loop: Header=BB76_3 Depth=1
	s_add_u32 s18, s24, s25
	s_mov_b32 s16, s25
	s_mov_b32 s17, s25
	s_addc_u32 s19, s25, s25
	s_delay_alu instid0(SALU_CYCLE_1) | instskip(NEXT) | instid1(SALU_CYCLE_1)
	s_xor_b64 s[18:19], s[18:19], s[16:17]
	v_cvt_f32_u32_e32 v3, s18
	v_cvt_f32_u32_e32 v4, s19
	s_sub_u32 s0, 0, s18
	s_subb_u32 s20, 0, s19
	s_delay_alu instid0(VALU_DEP_1) | instskip(NEXT) | instid1(VALU_DEP_1)
	v_fmac_f32_e32 v3, 0x4f800000, v4
	v_rcp_f32_e32 v3, v3
	s_waitcnt_depctr 0xfff
	v_mul_f32_e32 v3, 0x5f7ffffc, v3
	s_delay_alu instid0(VALU_DEP_1) | instskip(NEXT) | instid1(VALU_DEP_1)
	v_mul_f32_e32 v4, 0x2f800000, v3
	v_trunc_f32_e32 v4, v4
	s_delay_alu instid0(VALU_DEP_1) | instskip(SKIP_1) | instid1(VALU_DEP_2)
	v_fmac_f32_e32 v3, 0xcf800000, v4
	v_cvt_u32_f32_e32 v4, v4
	v_cvt_u32_f32_e32 v3, v3
	s_delay_alu instid0(VALU_DEP_2) | instskip(NEXT) | instid1(VALU_DEP_2)
	v_mul_lo_u32 v5, s0, v4
	v_mul_hi_u32 v6, s0, v3
	v_mul_lo_u32 v7, s20, v3
	s_delay_alu instid0(VALU_DEP_2) | instskip(SKIP_1) | instid1(VALU_DEP_2)
	v_add_nc_u32_e32 v5, v6, v5
	v_mul_lo_u32 v6, s0, v3
	v_add_nc_u32_e32 v5, v5, v7
	s_delay_alu instid0(VALU_DEP_2) | instskip(NEXT) | instid1(VALU_DEP_2)
	v_mul_hi_u32 v7, v3, v6
	v_mul_lo_u32 v8, v3, v5
	v_mul_hi_u32 v9, v3, v5
	v_mul_hi_u32 v10, v4, v6
	v_mul_lo_u32 v6, v4, v6
	v_mul_hi_u32 v11, v4, v5
	v_mul_lo_u32 v5, v4, v5
	v_add_co_u32 v7, vcc_lo, v7, v8
	v_add_co_ci_u32_e32 v8, vcc_lo, 0, v9, vcc_lo
	s_delay_alu instid0(VALU_DEP_2) | instskip(NEXT) | instid1(VALU_DEP_2)
	v_add_co_u32 v6, vcc_lo, v7, v6
	v_add_co_ci_u32_e32 v6, vcc_lo, v8, v10, vcc_lo
	v_add_co_ci_u32_e32 v7, vcc_lo, 0, v11, vcc_lo
	v_ashrrev_i32_e32 v10, 31, v1
	s_delay_alu instid0(VALU_DEP_3) | instskip(NEXT) | instid1(VALU_DEP_3)
	v_add_co_u32 v5, vcc_lo, v6, v5
	v_add_co_ci_u32_e32 v6, vcc_lo, 0, v7, vcc_lo
	s_delay_alu instid0(VALU_DEP_2) | instskip(NEXT) | instid1(VALU_DEP_2)
	v_add_co_u32 v3, vcc_lo, v3, v5
	v_add_co_ci_u32_e32 v4, vcc_lo, v4, v6, vcc_lo
	s_delay_alu instid0(VALU_DEP_2) | instskip(SKIP_1) | instid1(VALU_DEP_3)
	v_mul_hi_u32 v5, s0, v3
	v_mul_lo_u32 v7, s20, v3
	v_mul_lo_u32 v6, s0, v4
	s_delay_alu instid0(VALU_DEP_1) | instskip(SKIP_1) | instid1(VALU_DEP_2)
	v_add_nc_u32_e32 v5, v5, v6
	v_mul_lo_u32 v6, s0, v3
	v_add_nc_u32_e32 v5, v5, v7
	s_delay_alu instid0(VALU_DEP_2) | instskip(NEXT) | instid1(VALU_DEP_2)
	v_mul_hi_u32 v7, v3, v6
	v_mul_lo_u32 v8, v3, v5
	v_mul_hi_u32 v9, v3, v5
	v_mul_hi_u32 v11, v4, v6
	v_mul_lo_u32 v6, v4, v6
	v_mul_hi_u32 v12, v4, v5
	v_mul_lo_u32 v5, v4, v5
	v_add_co_u32 v7, vcc_lo, v7, v8
	v_add_co_ci_u32_e32 v8, vcc_lo, 0, v9, vcc_lo
	s_delay_alu instid0(VALU_DEP_2) | instskip(NEXT) | instid1(VALU_DEP_2)
	v_add_co_u32 v6, vcc_lo, v7, v6
	v_add_co_ci_u32_e32 v6, vcc_lo, v8, v11, vcc_lo
	v_add_co_ci_u32_e32 v7, vcc_lo, 0, v12, vcc_lo
	v_add_co_u32 v8, vcc_lo, v0, v10
	v_add_co_ci_u32_e32 v9, vcc_lo, v1, v10, vcc_lo
	s_delay_alu instid0(VALU_DEP_4) | instskip(NEXT) | instid1(VALU_DEP_4)
	v_add_co_u32 v5, vcc_lo, v6, v5
	v_add_co_ci_u32_e32 v6, vcc_lo, 0, v7, vcc_lo
	s_delay_alu instid0(VALU_DEP_4) | instskip(NEXT) | instid1(VALU_DEP_3)
	v_xor_b32_e32 v11, v8, v10
	v_add_co_u32 v7, vcc_lo, v3, v5
	s_delay_alu instid0(VALU_DEP_3) | instskip(SKIP_1) | instid1(VALU_DEP_3)
	v_add_co_ci_u32_e32 v12, vcc_lo, v4, v6, vcc_lo
	v_xor_b32_e32 v9, v9, v10
	v_mul_hi_u32 v13, v11, v7
	s_delay_alu instid0(VALU_DEP_3) | instskip(NEXT) | instid1(VALU_DEP_3)
	v_mad_u64_u32 v[3:4], null, v11, v12, 0
	v_mad_u64_u32 v[5:6], null, v9, v7, 0
	;; [unrolled: 1-line block ×3, first 2 shown]
	s_delay_alu instid0(VALU_DEP_3) | instskip(NEXT) | instid1(VALU_DEP_4)
	v_add_co_u32 v3, vcc_lo, v13, v3
	v_add_co_ci_u32_e32 v4, vcc_lo, 0, v4, vcc_lo
	s_delay_alu instid0(VALU_DEP_2) | instskip(NEXT) | instid1(VALU_DEP_2)
	v_add_co_u32 v3, vcc_lo, v3, v5
	v_add_co_ci_u32_e32 v3, vcc_lo, v4, v6, vcc_lo
	v_add_co_ci_u32_e32 v4, vcc_lo, 0, v8, vcc_lo
	s_delay_alu instid0(VALU_DEP_2) | instskip(NEXT) | instid1(VALU_DEP_2)
	v_add_co_u32 v5, vcc_lo, v3, v7
	v_add_co_ci_u32_e32 v6, vcc_lo, 0, v4, vcc_lo
	s_delay_alu instid0(VALU_DEP_2) | instskip(SKIP_1) | instid1(VALU_DEP_3)
	v_mul_lo_u32 v7, s19, v5
	v_mad_u64_u32 v[3:4], null, s18, v5, 0
	v_mul_lo_u32 v8, s18, v6
	s_delay_alu instid0(VALU_DEP_2) | instskip(NEXT) | instid1(VALU_DEP_2)
	v_sub_co_u32 v3, vcc_lo, v11, v3
	v_add3_u32 v4, v4, v8, v7
	s_delay_alu instid0(VALU_DEP_1) | instskip(NEXT) | instid1(VALU_DEP_1)
	v_sub_nc_u32_e32 v7, v9, v4
	v_subrev_co_ci_u32_e64 v7, s0, s19, v7, vcc_lo
	v_add_co_u32 v8, s0, v5, 2
	s_delay_alu instid0(VALU_DEP_1) | instskip(SKIP_3) | instid1(VALU_DEP_3)
	v_add_co_ci_u32_e64 v11, s0, 0, v6, s0
	v_sub_co_u32 v12, s0, v3, s18
	v_sub_co_ci_u32_e32 v4, vcc_lo, v9, v4, vcc_lo
	v_subrev_co_ci_u32_e64 v7, s0, 0, v7, s0
	v_cmp_le_u32_e32 vcc_lo, s18, v12
	s_delay_alu instid0(VALU_DEP_3) | instskip(SKIP_1) | instid1(VALU_DEP_4)
	v_cmp_eq_u32_e64 s0, s19, v4
	v_cndmask_b32_e64 v9, 0, -1, vcc_lo
	v_cmp_le_u32_e32 vcc_lo, s19, v7
	v_cndmask_b32_e64 v12, 0, -1, vcc_lo
	v_cmp_le_u32_e32 vcc_lo, s18, v3
	;; [unrolled: 2-line block ×3, first 2 shown]
	v_cndmask_b32_e64 v13, 0, -1, vcc_lo
	v_cmp_eq_u32_e32 vcc_lo, s19, v7
	s_delay_alu instid0(VALU_DEP_2) | instskip(SKIP_3) | instid1(VALU_DEP_3)
	v_cndmask_b32_e64 v3, v13, v3, s0
	v_cndmask_b32_e32 v7, v12, v9, vcc_lo
	v_add_co_u32 v9, vcc_lo, v5, 1
	v_add_co_ci_u32_e32 v12, vcc_lo, 0, v6, vcc_lo
	v_cmp_ne_u32_e32 vcc_lo, 0, v7
	s_delay_alu instid0(VALU_DEP_2) | instskip(SKIP_2) | instid1(VALU_DEP_3)
	v_dual_cndmask_b32 v4, v12, v11 :: v_dual_cndmask_b32 v7, v9, v8
	v_cmp_ne_u32_e32 vcc_lo, 0, v3
	v_xor_b32_e32 v3, s16, v10
	v_dual_cndmask_b32 v5, v5, v7 :: v_dual_cndmask_b32 v4, v6, v4
	v_xor_b32_e32 v6, s17, v10
	s_delay_alu instid0(VALU_DEP_2) | instskip(NEXT) | instid1(VALU_DEP_2)
	v_xor_b32_e32 v5, v5, v3
	v_xor_b32_e32 v7, v4, v6
	s_delay_alu instid0(VALU_DEP_2) | instskip(NEXT) | instid1(VALU_DEP_2)
	v_sub_co_u32 v4, vcc_lo, v5, v3
	v_sub_co_ci_u32_e32 v5, vcc_lo, v7, v6, vcc_lo
.LBB76_5:                               ;   in Loop: Header=BB76_3 Depth=1
	s_and_not1_saveexec_b32 s0, s14
; %bb.6:                                ;   in Loop: Header=BB76_3 Depth=1
	v_mul_hi_u32 v3, v0, v24
	s_delay_alu instid0(VALU_DEP_1) | instskip(NEXT) | instid1(VALU_DEP_1)
	v_mul_lo_u32 v4, v3, s24
	v_sub_nc_u32_e32 v4, v0, v4
	s_delay_alu instid0(VALU_DEP_1) | instskip(SKIP_1) | instid1(VALU_DEP_2)
	v_subrev_nc_u32_e32 v6, s24, v4
	v_cmp_le_u32_e32 vcc_lo, s24, v4
	v_dual_cndmask_b32 v4, v4, v6 :: v_dual_add_nc_u32 v5, 1, v3
	s_delay_alu instid0(VALU_DEP_1) | instskip(NEXT) | instid1(VALU_DEP_2)
	v_cndmask_b32_e32 v3, v3, v5, vcc_lo
	v_cmp_le_u32_e32 vcc_lo, s24, v4
	s_delay_alu instid0(VALU_DEP_2) | instskip(NEXT) | instid1(VALU_DEP_1)
	v_add_nc_u32_e32 v5, 1, v3
	v_dual_cndmask_b32 v4, v3, v5 :: v_dual_mov_b32 v5, v2
; %bb.7:                                ;   in Loop: Header=BB76_3 Depth=1
	s_or_b32 exec_lo, exec_lo, s0
	s_delay_alu instid0(VALU_DEP_1) | instskip(SKIP_1) | instid1(VALU_DEP_1)
	v_or_b32_e32 v3, s29, v5
                                        ; implicit-def: $vgpr6_vgpr7
	s_mov_b32 s0, exec_lo
	v_cmpx_ne_u64_e32 0, v[2:3]
	s_xor_b32 s14, exec_lo, s0
	s_cbranch_execz .LBB76_9
; %bb.8:                                ;   in Loop: Header=BB76_3 Depth=1
	s_add_u32 s18, s28, s29
	s_mov_b32 s16, s29
	s_mov_b32 s17, s29
	s_addc_u32 s19, s29, s29
	s_delay_alu instid0(SALU_CYCLE_1) | instskip(NEXT) | instid1(SALU_CYCLE_1)
	s_xor_b64 s[18:19], s[18:19], s[16:17]
	v_cvt_f32_u32_e32 v3, s18
	v_cvt_f32_u32_e32 v6, s19
	s_sub_u32 s0, 0, s18
	s_subb_u32 s20, 0, s19
	s_delay_alu instid0(VALU_DEP_1) | instskip(NEXT) | instid1(VALU_DEP_1)
	v_fmac_f32_e32 v3, 0x4f800000, v6
	v_rcp_f32_e32 v3, v3
	s_waitcnt_depctr 0xfff
	v_mul_f32_e32 v3, 0x5f7ffffc, v3
	s_delay_alu instid0(VALU_DEP_1) | instskip(NEXT) | instid1(VALU_DEP_1)
	v_mul_f32_e32 v6, 0x2f800000, v3
	v_trunc_f32_e32 v6, v6
	s_delay_alu instid0(VALU_DEP_1) | instskip(SKIP_1) | instid1(VALU_DEP_2)
	v_fmac_f32_e32 v3, 0xcf800000, v6
	v_cvt_u32_f32_e32 v6, v6
	v_cvt_u32_f32_e32 v3, v3
	s_delay_alu instid0(VALU_DEP_2) | instskip(NEXT) | instid1(VALU_DEP_2)
	v_mul_lo_u32 v7, s0, v6
	v_mul_hi_u32 v8, s0, v3
	v_mul_lo_u32 v9, s20, v3
	s_delay_alu instid0(VALU_DEP_2) | instskip(SKIP_1) | instid1(VALU_DEP_2)
	v_add_nc_u32_e32 v7, v8, v7
	v_mul_lo_u32 v8, s0, v3
	v_add_nc_u32_e32 v7, v7, v9
	s_delay_alu instid0(VALU_DEP_2) | instskip(NEXT) | instid1(VALU_DEP_2)
	v_mul_hi_u32 v9, v3, v8
	v_mul_lo_u32 v10, v3, v7
	v_mul_hi_u32 v11, v3, v7
	v_mul_hi_u32 v12, v6, v8
	v_mul_lo_u32 v8, v6, v8
	v_mul_hi_u32 v13, v6, v7
	v_mul_lo_u32 v7, v6, v7
	v_add_co_u32 v9, vcc_lo, v9, v10
	v_add_co_ci_u32_e32 v10, vcc_lo, 0, v11, vcc_lo
	s_delay_alu instid0(VALU_DEP_2) | instskip(NEXT) | instid1(VALU_DEP_2)
	v_add_co_u32 v8, vcc_lo, v9, v8
	v_add_co_ci_u32_e32 v8, vcc_lo, v10, v12, vcc_lo
	v_add_co_ci_u32_e32 v9, vcc_lo, 0, v13, vcc_lo
	v_ashrrev_i32_e32 v12, 31, v5
	s_delay_alu instid0(VALU_DEP_3) | instskip(NEXT) | instid1(VALU_DEP_3)
	v_add_co_u32 v7, vcc_lo, v8, v7
	v_add_co_ci_u32_e32 v8, vcc_lo, 0, v9, vcc_lo
	s_delay_alu instid0(VALU_DEP_2) | instskip(NEXT) | instid1(VALU_DEP_2)
	v_add_co_u32 v3, vcc_lo, v3, v7
	v_add_co_ci_u32_e32 v6, vcc_lo, v6, v8, vcc_lo
	s_delay_alu instid0(VALU_DEP_2) | instskip(SKIP_1) | instid1(VALU_DEP_3)
	v_mul_hi_u32 v7, s0, v3
	v_mul_lo_u32 v9, s20, v3
	v_mul_lo_u32 v8, s0, v6
	s_delay_alu instid0(VALU_DEP_1) | instskip(SKIP_1) | instid1(VALU_DEP_2)
	v_add_nc_u32_e32 v7, v7, v8
	v_mul_lo_u32 v8, s0, v3
	v_add_nc_u32_e32 v7, v7, v9
	s_delay_alu instid0(VALU_DEP_2) | instskip(NEXT) | instid1(VALU_DEP_2)
	v_mul_hi_u32 v9, v3, v8
	v_mul_lo_u32 v10, v3, v7
	v_mul_hi_u32 v11, v3, v7
	v_mul_hi_u32 v13, v6, v8
	v_mul_lo_u32 v8, v6, v8
	v_mul_hi_u32 v14, v6, v7
	v_mul_lo_u32 v7, v6, v7
	v_add_co_u32 v9, vcc_lo, v9, v10
	v_add_co_ci_u32_e32 v10, vcc_lo, 0, v11, vcc_lo
	s_delay_alu instid0(VALU_DEP_2) | instskip(NEXT) | instid1(VALU_DEP_2)
	v_add_co_u32 v8, vcc_lo, v9, v8
	v_add_co_ci_u32_e32 v8, vcc_lo, v10, v13, vcc_lo
	v_add_co_ci_u32_e32 v9, vcc_lo, 0, v14, vcc_lo
	v_add_co_u32 v10, vcc_lo, v4, v12
	v_add_co_ci_u32_e32 v5, vcc_lo, v5, v12, vcc_lo
	s_delay_alu instid0(VALU_DEP_4) | instskip(NEXT) | instid1(VALU_DEP_4)
	v_add_co_u32 v7, vcc_lo, v8, v7
	v_add_co_ci_u32_e32 v8, vcc_lo, 0, v9, vcc_lo
	s_delay_alu instid0(VALU_DEP_4) | instskip(NEXT) | instid1(VALU_DEP_3)
	v_xor_b32_e32 v11, v10, v12
	v_add_co_u32 v3, vcc_lo, v3, v7
	s_delay_alu instid0(VALU_DEP_3) | instskip(SKIP_1) | instid1(VALU_DEP_3)
	v_add_co_ci_u32_e32 v13, vcc_lo, v6, v8, vcc_lo
	v_xor_b32_e32 v14, v5, v12
	v_mul_hi_u32 v15, v11, v3
	s_delay_alu instid0(VALU_DEP_3) | instskip(NEXT) | instid1(VALU_DEP_3)
	v_mad_u64_u32 v[5:6], null, v11, v13, 0
	v_mad_u64_u32 v[7:8], null, v14, v3, 0
	;; [unrolled: 1-line block ×3, first 2 shown]
	s_delay_alu instid0(VALU_DEP_3) | instskip(NEXT) | instid1(VALU_DEP_4)
	v_add_co_u32 v3, vcc_lo, v15, v5
	v_add_co_ci_u32_e32 v5, vcc_lo, 0, v6, vcc_lo
	s_delay_alu instid0(VALU_DEP_2) | instskip(NEXT) | instid1(VALU_DEP_2)
	v_add_co_u32 v3, vcc_lo, v3, v7
	v_add_co_ci_u32_e32 v3, vcc_lo, v5, v8, vcc_lo
	v_add_co_ci_u32_e32 v5, vcc_lo, 0, v10, vcc_lo
	s_delay_alu instid0(VALU_DEP_2) | instskip(NEXT) | instid1(VALU_DEP_2)
	v_add_co_u32 v3, vcc_lo, v3, v9
	v_add_co_ci_u32_e32 v7, vcc_lo, 0, v5, vcc_lo
	s_delay_alu instid0(VALU_DEP_2) | instskip(SKIP_1) | instid1(VALU_DEP_3)
	v_mul_lo_u32 v8, s19, v3
	v_mad_u64_u32 v[5:6], null, s18, v3, 0
	v_mul_lo_u32 v9, s18, v7
	s_delay_alu instid0(VALU_DEP_2) | instskip(NEXT) | instid1(VALU_DEP_2)
	v_sub_co_u32 v5, vcc_lo, v11, v5
	v_add3_u32 v6, v6, v9, v8
	s_delay_alu instid0(VALU_DEP_1) | instskip(NEXT) | instid1(VALU_DEP_1)
	v_sub_nc_u32_e32 v8, v14, v6
	v_subrev_co_ci_u32_e64 v8, s0, s19, v8, vcc_lo
	v_add_co_u32 v9, s0, v3, 2
	s_delay_alu instid0(VALU_DEP_1) | instskip(SKIP_3) | instid1(VALU_DEP_3)
	v_add_co_ci_u32_e64 v10, s0, 0, v7, s0
	v_sub_co_u32 v11, s0, v5, s18
	v_sub_co_ci_u32_e32 v6, vcc_lo, v14, v6, vcc_lo
	v_subrev_co_ci_u32_e64 v8, s0, 0, v8, s0
	v_cmp_le_u32_e32 vcc_lo, s18, v11
	s_delay_alu instid0(VALU_DEP_3) | instskip(SKIP_1) | instid1(VALU_DEP_4)
	v_cmp_eq_u32_e64 s0, s19, v6
	v_cndmask_b32_e64 v11, 0, -1, vcc_lo
	v_cmp_le_u32_e32 vcc_lo, s19, v8
	v_cndmask_b32_e64 v13, 0, -1, vcc_lo
	v_cmp_le_u32_e32 vcc_lo, s18, v5
	;; [unrolled: 2-line block ×3, first 2 shown]
	v_cndmask_b32_e64 v14, 0, -1, vcc_lo
	v_cmp_eq_u32_e32 vcc_lo, s19, v8
	s_delay_alu instid0(VALU_DEP_2) | instskip(SKIP_3) | instid1(VALU_DEP_3)
	v_cndmask_b32_e64 v5, v14, v5, s0
	v_cndmask_b32_e32 v8, v13, v11, vcc_lo
	v_add_co_u32 v11, vcc_lo, v3, 1
	v_add_co_ci_u32_e32 v13, vcc_lo, 0, v7, vcc_lo
	v_cmp_ne_u32_e32 vcc_lo, 0, v8
	s_delay_alu instid0(VALU_DEP_3) | instskip(NEXT) | instid1(VALU_DEP_3)
	v_cndmask_b32_e32 v8, v11, v9, vcc_lo
	v_cndmask_b32_e32 v6, v13, v10, vcc_lo
	v_cmp_ne_u32_e32 vcc_lo, 0, v5
	v_xor_b32_e32 v5, s16, v12
	s_delay_alu instid0(VALU_DEP_4) | instskip(NEXT) | instid1(VALU_DEP_4)
	v_cndmask_b32_e32 v3, v3, v8, vcc_lo
	v_cndmask_b32_e32 v6, v7, v6, vcc_lo
	v_xor_b32_e32 v7, s17, v12
	s_delay_alu instid0(VALU_DEP_3) | instskip(NEXT) | instid1(VALU_DEP_2)
	v_xor_b32_e32 v3, v3, v5
	v_xor_b32_e32 v8, v6, v7
	s_delay_alu instid0(VALU_DEP_2) | instskip(NEXT) | instid1(VALU_DEP_2)
	v_sub_co_u32 v6, vcc_lo, v3, v5
	v_sub_co_ci_u32_e32 v7, vcc_lo, v8, v7, vcc_lo
.LBB76_9:                               ;   in Loop: Header=BB76_3 Depth=1
	s_and_not1_saveexec_b32 s0, s14
	s_cbranch_execz .LBB76_11
; %bb.10:                               ;   in Loop: Header=BB76_3 Depth=1
	v_cvt_f32_u32_e32 v3, s28
	s_sub_i32 s14, 0, s28
	s_delay_alu instid0(VALU_DEP_1) | instskip(SKIP_2) | instid1(VALU_DEP_1)
	v_rcp_iflag_f32_e32 v3, v3
	s_waitcnt_depctr 0xfff
	v_mul_f32_e32 v3, 0x4f7ffffe, v3
	v_cvt_u32_f32_e32 v3, v3
	s_delay_alu instid0(VALU_DEP_1) | instskip(NEXT) | instid1(VALU_DEP_1)
	v_mul_lo_u32 v5, s14, v3
	v_mul_hi_u32 v5, v3, v5
	s_delay_alu instid0(VALU_DEP_1) | instskip(NEXT) | instid1(VALU_DEP_1)
	v_add_nc_u32_e32 v3, v3, v5
	v_mul_hi_u32 v3, v4, v3
	s_delay_alu instid0(VALU_DEP_1) | instskip(SKIP_1) | instid1(VALU_DEP_2)
	v_mul_lo_u32 v5, v3, s28
	v_add_nc_u32_e32 v6, 1, v3
	v_sub_nc_u32_e32 v5, v4, v5
	s_delay_alu instid0(VALU_DEP_1) | instskip(SKIP_1) | instid1(VALU_DEP_2)
	v_subrev_nc_u32_e32 v7, s28, v5
	v_cmp_le_u32_e32 vcc_lo, s28, v5
	v_cndmask_b32_e32 v5, v5, v7, vcc_lo
	v_mov_b32_e32 v7, v2
	v_cndmask_b32_e32 v3, v3, v6, vcc_lo
	s_delay_alu instid0(VALU_DEP_3) | instskip(NEXT) | instid1(VALU_DEP_2)
	v_cmp_le_u32_e32 vcc_lo, s28, v5
	v_add_nc_u32_e32 v6, 1, v3
	s_delay_alu instid0(VALU_DEP_1)
	v_cndmask_b32_e32 v6, v3, v6, vcc_lo
.LBB76_11:                              ;   in Loop: Header=BB76_3 Depth=1
	s_or_b32 exec_lo, exec_lo, s0
	v_mad_u64_u32 v[8:9], null, v4, s24, 0
	s_delay_alu instid0(VALU_DEP_2) | instskip(SKIP_1) | instid1(VALU_DEP_2)
	v_mad_u64_u32 v[9:10], null, v6, s28, 0
	s_mov_b32 s39, exec_lo
	v_sub_co_u32 v26, null, v0, v8
	s_delay_alu instid0(VALU_DEP_2) | instskip(NEXT) | instid1(VALU_DEP_1)
	v_sub_co_u32 v25, null, v4, v9
	v_sub_nc_u32_e32 v3, v26, v25
	s_delay_alu instid0(VALU_DEP_1) | instskip(NEXT) | instid1(VALU_DEP_1)
	v_ashrrev_i32_e32 v4, 31, v3
	v_cmpx_gt_i64_e64 s[4:5], v[3:4]
	s_cbranch_execz .LBB76_2
; %bb.12:                               ;   in Loop: Header=BB76_3 Depth=1
	s_clause 0x1
	s_load_b32 s40, s[8:9], 0x0
	s_load_b32 s0, s[10:11], 0x0
	s_and_not1_b32 vcc_lo, exec_lo, s37
	s_waitcnt lgkmcnt(0)
	v_mul_lo_u32 v3, s40, v26
	s_delay_alu instid0(VALU_DEP_1)
	v_mad_u64_u32 v[4:5], null, s0, v25, v[3:4]
	s_cbranch_vccnz .LBB76_58
; %bb.13:                               ;   in Loop: Header=BB76_3 Depth=1
	s_and_not1_b32 vcc_lo, exec_lo, s35
	s_cbranch_vccnz .LBB76_21
; %bb.14:                               ;   in Loop: Header=BB76_3 Depth=1
	v_dual_mov_b32 v9, v7 :: v_dual_mov_b32 v8, v6
	s_mov_b32 s22, s33
	s_mov_b32 s14, s31
.LBB76_15:                              ;   Parent Loop BB76_3 Depth=1
                                        ; =>  This Inner Loop Header: Depth=2
	s_delay_alu instid0(SALU_CYCLE_1) | instskip(NEXT) | instid1(SALU_CYCLE_1)
	s_lshl_b64 s[16:17], s[14:15], 2
                                        ; implicit-def: $vgpr6_vgpr7
	s_add_u32 s18, s26, s16
	s_addc_u32 s19, s27, s17
	s_load_b32 s23, s[18:19], 0x0
	s_mov_b32 s18, exec_lo
	s_waitcnt lgkmcnt(0)
	s_ashr_i32 s0, s23, 31
	s_delay_alu instid0(SALU_CYCLE_1) | instskip(NEXT) | instid1(VALU_DEP_1)
	v_or_b32_e32 v3, s0, v9
	v_cmpx_ne_u64_e32 0, v[2:3]
	s_xor_b32 s41, exec_lo, s18
	s_cbranch_execz .LBB76_17
; %bb.16:                               ;   in Loop: Header=BB76_15 Depth=2
	s_add_u32 s20, s23, s0
	s_mov_b32 s18, s0
	s_mov_b32 s19, s0
	s_addc_u32 s21, s0, s0
	s_delay_alu instid0(SALU_CYCLE_1) | instskip(NEXT) | instid1(SALU_CYCLE_1)
	s_xor_b64 s[20:21], s[20:21], s[18:19]
	v_cvt_f32_u32_e32 v3, s20
	v_cvt_f32_u32_e32 v5, s21
	s_sub_u32 s0, 0, s20
	s_subb_u32 s42, 0, s21
	s_delay_alu instid0(VALU_DEP_1) | instskip(NEXT) | instid1(VALU_DEP_1)
	v_fmac_f32_e32 v3, 0x4f800000, v5
	v_rcp_f32_e32 v3, v3
	s_waitcnt_depctr 0xfff
	v_mul_f32_e32 v3, 0x5f7ffffc, v3
	s_delay_alu instid0(VALU_DEP_1) | instskip(NEXT) | instid1(VALU_DEP_1)
	v_mul_f32_e32 v5, 0x2f800000, v3
	v_trunc_f32_e32 v5, v5
	s_delay_alu instid0(VALU_DEP_1) | instskip(SKIP_1) | instid1(VALU_DEP_2)
	v_fmac_f32_e32 v3, 0xcf800000, v5
	v_cvt_u32_f32_e32 v5, v5
	v_cvt_u32_f32_e32 v3, v3
	s_delay_alu instid0(VALU_DEP_2) | instskip(NEXT) | instid1(VALU_DEP_2)
	v_mul_lo_u32 v6, s0, v5
	v_mul_hi_u32 v7, s0, v3
	v_mul_lo_u32 v10, s42, v3
	s_delay_alu instid0(VALU_DEP_2) | instskip(SKIP_1) | instid1(VALU_DEP_2)
	v_add_nc_u32_e32 v6, v7, v6
	v_mul_lo_u32 v7, s0, v3
	v_add_nc_u32_e32 v6, v6, v10
	s_delay_alu instid0(VALU_DEP_2) | instskip(NEXT) | instid1(VALU_DEP_2)
	v_mul_hi_u32 v10, v3, v7
	v_mul_lo_u32 v11, v3, v6
	v_mul_hi_u32 v12, v3, v6
	v_mul_hi_u32 v13, v5, v7
	v_mul_lo_u32 v7, v5, v7
	v_mul_hi_u32 v14, v5, v6
	v_mul_lo_u32 v6, v5, v6
	v_add_co_u32 v10, vcc_lo, v10, v11
	v_add_co_ci_u32_e32 v11, vcc_lo, 0, v12, vcc_lo
	s_delay_alu instid0(VALU_DEP_2) | instskip(NEXT) | instid1(VALU_DEP_2)
	v_add_co_u32 v7, vcc_lo, v10, v7
	v_add_co_ci_u32_e32 v7, vcc_lo, v11, v13, vcc_lo
	v_add_co_ci_u32_e32 v10, vcc_lo, 0, v14, vcc_lo
	v_ashrrev_i32_e32 v13, 31, v9
	s_delay_alu instid0(VALU_DEP_3) | instskip(NEXT) | instid1(VALU_DEP_3)
	v_add_co_u32 v6, vcc_lo, v7, v6
	v_add_co_ci_u32_e32 v7, vcc_lo, 0, v10, vcc_lo
	s_delay_alu instid0(VALU_DEP_2) | instskip(NEXT) | instid1(VALU_DEP_2)
	v_add_co_u32 v3, vcc_lo, v3, v6
	v_add_co_ci_u32_e32 v5, vcc_lo, v5, v7, vcc_lo
	s_delay_alu instid0(VALU_DEP_2) | instskip(SKIP_1) | instid1(VALU_DEP_3)
	v_mul_hi_u32 v6, s0, v3
	v_mul_lo_u32 v10, s42, v3
	v_mul_lo_u32 v7, s0, v5
	s_delay_alu instid0(VALU_DEP_1) | instskip(SKIP_1) | instid1(VALU_DEP_2)
	v_add_nc_u32_e32 v6, v6, v7
	v_mul_lo_u32 v7, s0, v3
	v_add_nc_u32_e32 v6, v6, v10
	s_delay_alu instid0(VALU_DEP_2) | instskip(NEXT) | instid1(VALU_DEP_2)
	v_mul_hi_u32 v10, v3, v7
	v_mul_lo_u32 v11, v3, v6
	v_mul_hi_u32 v12, v3, v6
	v_mul_hi_u32 v14, v5, v7
	v_mul_lo_u32 v7, v5, v7
	v_mul_hi_u32 v15, v5, v6
	v_mul_lo_u32 v6, v5, v6
	v_add_co_u32 v10, vcc_lo, v10, v11
	v_add_co_ci_u32_e32 v11, vcc_lo, 0, v12, vcc_lo
	s_delay_alu instid0(VALU_DEP_2) | instskip(NEXT) | instid1(VALU_DEP_2)
	v_add_co_u32 v7, vcc_lo, v10, v7
	v_add_co_ci_u32_e32 v7, vcc_lo, v11, v14, vcc_lo
	v_add_co_ci_u32_e32 v10, vcc_lo, 0, v15, vcc_lo
	v_add_co_u32 v11, vcc_lo, v8, v13
	v_add_co_ci_u32_e32 v9, vcc_lo, v9, v13, vcc_lo
	s_delay_alu instid0(VALU_DEP_4) | instskip(NEXT) | instid1(VALU_DEP_4)
	v_add_co_u32 v6, vcc_lo, v7, v6
	v_add_co_ci_u32_e32 v7, vcc_lo, 0, v10, vcc_lo
	s_delay_alu instid0(VALU_DEP_4) | instskip(NEXT) | instid1(VALU_DEP_3)
	v_xor_b32_e32 v14, v11, v13
	v_add_co_u32 v3, vcc_lo, v3, v6
	s_delay_alu instid0(VALU_DEP_3) | instskip(SKIP_1) | instid1(VALU_DEP_3)
	v_add_co_ci_u32_e32 v7, vcc_lo, v5, v7, vcc_lo
	v_xor_b32_e32 v15, v9, v13
	v_mul_hi_u32 v16, v14, v3
	s_delay_alu instid0(VALU_DEP_3) | instskip(NEXT) | instid1(VALU_DEP_3)
	v_mad_u64_u32 v[5:6], null, v14, v7, 0
	v_mad_u64_u32 v[9:10], null, v15, v3, 0
	v_mad_u64_u32 v[11:12], null, v15, v7, 0
	s_delay_alu instid0(VALU_DEP_3) | instskip(NEXT) | instid1(VALU_DEP_4)
	v_add_co_u32 v3, vcc_lo, v16, v5
	v_add_co_ci_u32_e32 v5, vcc_lo, 0, v6, vcc_lo
	s_delay_alu instid0(VALU_DEP_2) | instskip(NEXT) | instid1(VALU_DEP_2)
	v_add_co_u32 v3, vcc_lo, v3, v9
	v_add_co_ci_u32_e32 v3, vcc_lo, v5, v10, vcc_lo
	v_add_co_ci_u32_e32 v5, vcc_lo, 0, v12, vcc_lo
	s_delay_alu instid0(VALU_DEP_2) | instskip(NEXT) | instid1(VALU_DEP_2)
	v_add_co_u32 v3, vcc_lo, v3, v11
	v_add_co_ci_u32_e32 v7, vcc_lo, 0, v5, vcc_lo
	s_delay_alu instid0(VALU_DEP_2) | instskip(SKIP_1) | instid1(VALU_DEP_3)
	v_mul_lo_u32 v9, s21, v3
	v_mad_u64_u32 v[5:6], null, s20, v3, 0
	v_mul_lo_u32 v10, s20, v7
	s_delay_alu instid0(VALU_DEP_2) | instskip(NEXT) | instid1(VALU_DEP_2)
	v_sub_co_u32 v5, vcc_lo, v14, v5
	v_add3_u32 v6, v6, v10, v9
	s_delay_alu instid0(VALU_DEP_1) | instskip(NEXT) | instid1(VALU_DEP_1)
	v_sub_nc_u32_e32 v9, v15, v6
	v_subrev_co_ci_u32_e64 v9, s0, s21, v9, vcc_lo
	v_add_co_u32 v10, s0, v3, 2
	s_delay_alu instid0(VALU_DEP_1) | instskip(SKIP_3) | instid1(VALU_DEP_3)
	v_add_co_ci_u32_e64 v11, s0, 0, v7, s0
	v_sub_co_u32 v12, s0, v5, s20
	v_sub_co_ci_u32_e32 v6, vcc_lo, v15, v6, vcc_lo
	v_subrev_co_ci_u32_e64 v9, s0, 0, v9, s0
	v_cmp_le_u32_e32 vcc_lo, s20, v12
	s_delay_alu instid0(VALU_DEP_3) | instskip(SKIP_1) | instid1(VALU_DEP_4)
	v_cmp_eq_u32_e64 s0, s21, v6
	v_cndmask_b32_e64 v12, 0, -1, vcc_lo
	v_cmp_le_u32_e32 vcc_lo, s21, v9
	v_cndmask_b32_e64 v14, 0, -1, vcc_lo
	v_cmp_le_u32_e32 vcc_lo, s20, v5
	;; [unrolled: 2-line block ×3, first 2 shown]
	v_cndmask_b32_e64 v15, 0, -1, vcc_lo
	v_cmp_eq_u32_e32 vcc_lo, s21, v9
	s_delay_alu instid0(VALU_DEP_2) | instskip(SKIP_3) | instid1(VALU_DEP_3)
	v_cndmask_b32_e64 v5, v15, v5, s0
	v_cndmask_b32_e32 v9, v14, v12, vcc_lo
	v_add_co_u32 v12, vcc_lo, v3, 1
	v_add_co_ci_u32_e32 v14, vcc_lo, 0, v7, vcc_lo
	v_cmp_ne_u32_e32 vcc_lo, 0, v9
	s_delay_alu instid0(VALU_DEP_2) | instskip(SKIP_2) | instid1(VALU_DEP_3)
	v_dual_cndmask_b32 v6, v14, v11 :: v_dual_cndmask_b32 v9, v12, v10
	v_cmp_ne_u32_e32 vcc_lo, 0, v5
	v_xor_b32_e32 v5, s18, v13
	v_cndmask_b32_e32 v3, v3, v9, vcc_lo
	s_delay_alu instid0(VALU_DEP_4) | instskip(SKIP_1) | instid1(VALU_DEP_3)
	v_cndmask_b32_e32 v6, v7, v6, vcc_lo
	v_xor_b32_e32 v7, s19, v13
	v_xor_b32_e32 v3, v3, v5
	s_delay_alu instid0(VALU_DEP_2) | instskip(NEXT) | instid1(VALU_DEP_2)
	v_xor_b32_e32 v9, v6, v7
	v_sub_co_u32 v6, vcc_lo, v3, v5
	s_delay_alu instid0(VALU_DEP_2)
	v_sub_co_ci_u32_e32 v7, vcc_lo, v9, v7, vcc_lo
.LBB76_17:                              ;   in Loop: Header=BB76_15 Depth=2
	s_and_not1_saveexec_b32 s0, s41
	s_cbranch_execz .LBB76_19
; %bb.18:                               ;   in Loop: Header=BB76_15 Depth=2
	v_cvt_f32_u32_e32 v3, s23
	s_sub_i32 s18, 0, s23
	s_delay_alu instid0(VALU_DEP_1) | instskip(SKIP_2) | instid1(VALU_DEP_1)
	v_rcp_iflag_f32_e32 v3, v3
	s_waitcnt_depctr 0xfff
	v_mul_f32_e32 v3, 0x4f7ffffe, v3
	v_cvt_u32_f32_e32 v3, v3
	s_delay_alu instid0(VALU_DEP_1) | instskip(NEXT) | instid1(VALU_DEP_1)
	v_mul_lo_u32 v5, s18, v3
	v_mul_hi_u32 v5, v3, v5
	s_delay_alu instid0(VALU_DEP_1) | instskip(NEXT) | instid1(VALU_DEP_1)
	v_add_nc_u32_e32 v3, v3, v5
	v_mul_hi_u32 v3, v8, v3
	s_delay_alu instid0(VALU_DEP_1) | instskip(SKIP_1) | instid1(VALU_DEP_2)
	v_mul_lo_u32 v5, v3, s23
	v_add_nc_u32_e32 v6, 1, v3
	v_sub_nc_u32_e32 v5, v8, v5
	s_delay_alu instid0(VALU_DEP_1) | instskip(SKIP_1) | instid1(VALU_DEP_2)
	v_subrev_nc_u32_e32 v7, s23, v5
	v_cmp_le_u32_e32 vcc_lo, s23, v5
	v_cndmask_b32_e32 v5, v5, v7, vcc_lo
	v_mov_b32_e32 v7, v2
	v_cndmask_b32_e32 v3, v3, v6, vcc_lo
	s_delay_alu instid0(VALU_DEP_3) | instskip(NEXT) | instid1(VALU_DEP_2)
	v_cmp_le_u32_e32 vcc_lo, s23, v5
	v_add_nc_u32_e32 v6, 1, v3
	s_delay_alu instid0(VALU_DEP_1)
	v_cndmask_b32_e32 v6, v3, v6, vcc_lo
.LBB76_19:                              ;   in Loop: Header=BB76_15 Depth=2
	s_or_b32 exec_lo, exec_lo, s0
	s_add_u32 s16, s30, s16
	s_addc_u32 s17, s1, s17
	s_delay_alu instid0(VALU_DEP_1) | instskip(SKIP_4) | instid1(VALU_DEP_1)
	v_mul_lo_u32 v3, v6, s23
	s_load_b32 s0, s[16:17], 0x0
	s_add_i32 s22, s22, -1
	s_add_i32 s14, s14, -1
	s_cmp_lg_u32 s22, 0
	v_sub_nc_u32_e32 v3, v8, v3
	s_waitcnt lgkmcnt(0)
	s_delay_alu instid0(VALU_DEP_1) | instskip(NEXT) | instid1(VALU_DEP_1)
	v_mad_u64_u32 v[8:9], null, s0, v3, v[4:5]
	v_mov_b32_e32 v4, v8
	s_cbranch_scc0 .LBB76_22
; %bb.20:                               ;   in Loop: Header=BB76_15 Depth=2
	v_dual_mov_b32 v9, v7 :: v_dual_mov_b32 v8, v6
	s_branch .LBB76_15
.LBB76_21:                              ;   in Loop: Header=BB76_3 Depth=1
	s_mov_b32 s14, s31
.LBB76_22:                              ;   in Loop: Header=BB76_3 Depth=1
	s_and_not1_b32 vcc_lo, exec_lo, s36
	s_cbranch_vccnz .LBB76_58
; %bb.23:                               ;   in Loop: Header=BB76_3 Depth=1
	s_add_i32 s16, s14, -7
.LBB76_24:                              ;   Parent Loop BB76_3 Depth=1
                                        ; =>  This Inner Loop Header: Depth=2
	s_delay_alu instid0(SALU_CYCLE_1) | instskip(NEXT) | instid1(SALU_CYCLE_1)
	s_add_i32 s14, s16, 7
                                        ; implicit-def: $vgpr8_vgpr9
	s_lshl_b64 s[18:19], s[14:15], 2
	s_mov_b32 s14, exec_lo
	s_add_u32 s20, s26, s18
	s_addc_u32 s21, s27, s19
	s_load_b32 s41, s[20:21], 0x0
	s_waitcnt lgkmcnt(0)
	s_ashr_i32 s0, s41, 31
	s_delay_alu instid0(SALU_CYCLE_1) | instskip(NEXT) | instid1(VALU_DEP_1)
	v_or_b32_e32 v3, s0, v7
	v_cmpx_ne_u64_e32 0, v[2:3]
	s_xor_b32 s14, exec_lo, s14
	s_cbranch_execz .LBB76_26
; %bb.25:                               ;   in Loop: Header=BB76_24 Depth=2
	s_add_u32 s22, s41, s0
	s_mov_b32 s20, s0
	s_mov_b32 s21, s0
	s_addc_u32 s23, s0, s0
	s_delay_alu instid0(SALU_CYCLE_1) | instskip(NEXT) | instid1(SALU_CYCLE_1)
	s_xor_b64 s[22:23], s[22:23], s[20:21]
	v_cvt_f32_u32_e32 v3, s22
	v_cvt_f32_u32_e32 v5, s23
	s_sub_u32 s0, 0, s22
	s_subb_u32 s17, 0, s23
	s_delay_alu instid0(VALU_DEP_1) | instskip(NEXT) | instid1(VALU_DEP_1)
	v_fmac_f32_e32 v3, 0x4f800000, v5
	v_rcp_f32_e32 v3, v3
	s_waitcnt_depctr 0xfff
	v_mul_f32_e32 v3, 0x5f7ffffc, v3
	s_delay_alu instid0(VALU_DEP_1) | instskip(NEXT) | instid1(VALU_DEP_1)
	v_mul_f32_e32 v5, 0x2f800000, v3
	v_trunc_f32_e32 v5, v5
	s_delay_alu instid0(VALU_DEP_1) | instskip(SKIP_1) | instid1(VALU_DEP_2)
	v_fmac_f32_e32 v3, 0xcf800000, v5
	v_cvt_u32_f32_e32 v5, v5
	v_cvt_u32_f32_e32 v3, v3
	s_delay_alu instid0(VALU_DEP_2) | instskip(NEXT) | instid1(VALU_DEP_2)
	v_mul_lo_u32 v8, s0, v5
	v_mul_hi_u32 v9, s0, v3
	v_mul_lo_u32 v10, s17, v3
	s_delay_alu instid0(VALU_DEP_2) | instskip(SKIP_1) | instid1(VALU_DEP_2)
	v_add_nc_u32_e32 v8, v9, v8
	v_mul_lo_u32 v9, s0, v3
	v_add_nc_u32_e32 v8, v8, v10
	s_delay_alu instid0(VALU_DEP_2) | instskip(NEXT) | instid1(VALU_DEP_2)
	v_mul_hi_u32 v10, v3, v9
	v_mul_lo_u32 v11, v3, v8
	v_mul_hi_u32 v12, v3, v8
	v_mul_hi_u32 v13, v5, v9
	v_mul_lo_u32 v9, v5, v9
	v_mul_hi_u32 v14, v5, v8
	v_mul_lo_u32 v8, v5, v8
	v_add_co_u32 v10, vcc_lo, v10, v11
	v_add_co_ci_u32_e32 v11, vcc_lo, 0, v12, vcc_lo
	s_delay_alu instid0(VALU_DEP_2) | instskip(NEXT) | instid1(VALU_DEP_2)
	v_add_co_u32 v9, vcc_lo, v10, v9
	v_add_co_ci_u32_e32 v9, vcc_lo, v11, v13, vcc_lo
	v_add_co_ci_u32_e32 v10, vcc_lo, 0, v14, vcc_lo
	v_ashrrev_i32_e32 v13, 31, v7
	s_delay_alu instid0(VALU_DEP_3) | instskip(NEXT) | instid1(VALU_DEP_3)
	v_add_co_u32 v8, vcc_lo, v9, v8
	v_add_co_ci_u32_e32 v9, vcc_lo, 0, v10, vcc_lo
	s_delay_alu instid0(VALU_DEP_2) | instskip(NEXT) | instid1(VALU_DEP_2)
	v_add_co_u32 v3, vcc_lo, v3, v8
	v_add_co_ci_u32_e32 v5, vcc_lo, v5, v9, vcc_lo
	s_delay_alu instid0(VALU_DEP_2) | instskip(SKIP_1) | instid1(VALU_DEP_3)
	v_mul_hi_u32 v8, s0, v3
	v_mul_lo_u32 v10, s17, v3
	v_mul_lo_u32 v9, s0, v5
	s_delay_alu instid0(VALU_DEP_1) | instskip(SKIP_1) | instid1(VALU_DEP_2)
	v_add_nc_u32_e32 v8, v8, v9
	v_mul_lo_u32 v9, s0, v3
	v_add_nc_u32_e32 v8, v8, v10
	s_delay_alu instid0(VALU_DEP_2) | instskip(NEXT) | instid1(VALU_DEP_2)
	v_mul_hi_u32 v10, v3, v9
	v_mul_lo_u32 v11, v3, v8
	v_mul_hi_u32 v12, v3, v8
	v_mul_hi_u32 v14, v5, v9
	v_mul_lo_u32 v9, v5, v9
	v_mul_hi_u32 v15, v5, v8
	v_mul_lo_u32 v8, v5, v8
	v_add_co_u32 v10, vcc_lo, v10, v11
	v_add_co_ci_u32_e32 v11, vcc_lo, 0, v12, vcc_lo
	s_delay_alu instid0(VALU_DEP_2) | instskip(NEXT) | instid1(VALU_DEP_2)
	v_add_co_u32 v9, vcc_lo, v10, v9
	v_add_co_ci_u32_e32 v9, vcc_lo, v11, v14, vcc_lo
	v_add_co_ci_u32_e32 v10, vcc_lo, 0, v15, vcc_lo
	v_add_co_u32 v11, vcc_lo, v6, v13
	v_add_co_ci_u32_e32 v7, vcc_lo, v7, v13, vcc_lo
	s_delay_alu instid0(VALU_DEP_4) | instskip(NEXT) | instid1(VALU_DEP_4)
	v_add_co_u32 v8, vcc_lo, v9, v8
	v_add_co_ci_u32_e32 v9, vcc_lo, 0, v10, vcc_lo
	s_delay_alu instid0(VALU_DEP_4) | instskip(NEXT) | instid1(VALU_DEP_3)
	v_xor_b32_e32 v14, v11, v13
	v_add_co_u32 v3, vcc_lo, v3, v8
	s_delay_alu instid0(VALU_DEP_3) | instskip(SKIP_1) | instid1(VALU_DEP_3)
	v_add_co_ci_u32_e32 v5, vcc_lo, v5, v9, vcc_lo
	v_xor_b32_e32 v15, v7, v13
	v_mul_hi_u32 v16, v14, v3
	s_delay_alu instid0(VALU_DEP_3) | instskip(NEXT) | instid1(VALU_DEP_3)
	v_mad_u64_u32 v[7:8], null, v14, v5, 0
	v_mad_u64_u32 v[9:10], null, v15, v3, 0
	;; [unrolled: 1-line block ×3, first 2 shown]
	s_delay_alu instid0(VALU_DEP_3) | instskip(NEXT) | instid1(VALU_DEP_4)
	v_add_co_u32 v3, vcc_lo, v16, v7
	v_add_co_ci_u32_e32 v5, vcc_lo, 0, v8, vcc_lo
	s_delay_alu instid0(VALU_DEP_2) | instskip(NEXT) | instid1(VALU_DEP_2)
	v_add_co_u32 v3, vcc_lo, v3, v9
	v_add_co_ci_u32_e32 v3, vcc_lo, v5, v10, vcc_lo
	v_add_co_ci_u32_e32 v5, vcc_lo, 0, v12, vcc_lo
	s_delay_alu instid0(VALU_DEP_2) | instskip(NEXT) | instid1(VALU_DEP_2)
	v_add_co_u32 v3, vcc_lo, v3, v11
	v_add_co_ci_u32_e32 v5, vcc_lo, 0, v5, vcc_lo
	s_delay_alu instid0(VALU_DEP_2) | instskip(SKIP_1) | instid1(VALU_DEP_3)
	v_mul_lo_u32 v9, s23, v3
	v_mad_u64_u32 v[7:8], null, s22, v3, 0
	v_mul_lo_u32 v10, s22, v5
	s_delay_alu instid0(VALU_DEP_2) | instskip(NEXT) | instid1(VALU_DEP_2)
	v_sub_co_u32 v7, vcc_lo, v14, v7
	v_add3_u32 v8, v8, v10, v9
	s_delay_alu instid0(VALU_DEP_1) | instskip(NEXT) | instid1(VALU_DEP_1)
	v_sub_nc_u32_e32 v9, v15, v8
	v_subrev_co_ci_u32_e64 v9, s0, s23, v9, vcc_lo
	v_add_co_u32 v10, s0, v3, 2
	s_delay_alu instid0(VALU_DEP_1) | instskip(SKIP_3) | instid1(VALU_DEP_3)
	v_add_co_ci_u32_e64 v11, s0, 0, v5, s0
	v_sub_co_u32 v12, s0, v7, s22
	v_sub_co_ci_u32_e32 v8, vcc_lo, v15, v8, vcc_lo
	v_subrev_co_ci_u32_e64 v9, s0, 0, v9, s0
	v_cmp_le_u32_e32 vcc_lo, s22, v12
	s_delay_alu instid0(VALU_DEP_3) | instskip(SKIP_1) | instid1(VALU_DEP_4)
	v_cmp_eq_u32_e64 s0, s23, v8
	v_cndmask_b32_e64 v12, 0, -1, vcc_lo
	v_cmp_le_u32_e32 vcc_lo, s23, v9
	v_cndmask_b32_e64 v14, 0, -1, vcc_lo
	v_cmp_le_u32_e32 vcc_lo, s22, v7
	;; [unrolled: 2-line block ×3, first 2 shown]
	v_cndmask_b32_e64 v15, 0, -1, vcc_lo
	v_cmp_eq_u32_e32 vcc_lo, s23, v9
	s_delay_alu instid0(VALU_DEP_2) | instskip(SKIP_3) | instid1(VALU_DEP_3)
	v_cndmask_b32_e64 v7, v15, v7, s0
	v_cndmask_b32_e32 v9, v14, v12, vcc_lo
	v_add_co_u32 v12, vcc_lo, v3, 1
	v_add_co_ci_u32_e32 v14, vcc_lo, 0, v5, vcc_lo
	v_cmp_ne_u32_e32 vcc_lo, 0, v9
	s_delay_alu instid0(VALU_DEP_2) | instskip(SKIP_2) | instid1(VALU_DEP_3)
	v_dual_cndmask_b32 v8, v14, v11 :: v_dual_cndmask_b32 v9, v12, v10
	v_cmp_ne_u32_e32 vcc_lo, 0, v7
	v_xor_b32_e32 v7, s20, v13
	v_cndmask_b32_e32 v3, v3, v9, vcc_lo
	s_delay_alu instid0(VALU_DEP_4) | instskip(SKIP_1) | instid1(VALU_DEP_3)
	v_cndmask_b32_e32 v5, v5, v8, vcc_lo
	v_xor_b32_e32 v9, s21, v13
	v_xor_b32_e32 v3, v3, v7
	s_delay_alu instid0(VALU_DEP_2) | instskip(NEXT) | instid1(VALU_DEP_2)
	v_xor_b32_e32 v5, v5, v9
	v_sub_co_u32 v8, vcc_lo, v3, v7
	s_delay_alu instid0(VALU_DEP_2)
	v_sub_co_ci_u32_e32 v9, vcc_lo, v5, v9, vcc_lo
.LBB76_26:                              ;   in Loop: Header=BB76_24 Depth=2
	s_and_not1_saveexec_b32 s0, s14
	s_cbranch_execz .LBB76_28
; %bb.27:                               ;   in Loop: Header=BB76_24 Depth=2
	v_cvt_f32_u32_e32 v3, s41
	s_sub_i32 s14, 0, s41
	v_mov_b32_e32 v9, v2
	s_delay_alu instid0(VALU_DEP_2) | instskip(SKIP_2) | instid1(VALU_DEP_1)
	v_rcp_iflag_f32_e32 v3, v3
	s_waitcnt_depctr 0xfff
	v_mul_f32_e32 v3, 0x4f7ffffe, v3
	v_cvt_u32_f32_e32 v3, v3
	s_delay_alu instid0(VALU_DEP_1) | instskip(NEXT) | instid1(VALU_DEP_1)
	v_mul_lo_u32 v5, s14, v3
	v_mul_hi_u32 v5, v3, v5
	s_delay_alu instid0(VALU_DEP_1) | instskip(NEXT) | instid1(VALU_DEP_1)
	v_add_nc_u32_e32 v3, v3, v5
	v_mul_hi_u32 v3, v6, v3
	s_delay_alu instid0(VALU_DEP_1) | instskip(SKIP_1) | instid1(VALU_DEP_2)
	v_mul_lo_u32 v5, v3, s41
	v_add_nc_u32_e32 v7, 1, v3
	v_sub_nc_u32_e32 v5, v6, v5
	s_delay_alu instid0(VALU_DEP_1) | instskip(SKIP_1) | instid1(VALU_DEP_4)
	v_cmp_le_u32_e32 vcc_lo, s41, v5
	v_subrev_nc_u32_e32 v8, s41, v5
	v_cndmask_b32_e32 v3, v3, v7, vcc_lo
	s_delay_alu instid0(VALU_DEP_1) | instskip(NEXT) | instid1(VALU_DEP_3)
	v_add_nc_u32_e32 v7, 1, v3
	v_cndmask_b32_e32 v5, v5, v8, vcc_lo
	s_delay_alu instid0(VALU_DEP_1) | instskip(NEXT) | instid1(VALU_DEP_3)
	v_cmp_le_u32_e32 vcc_lo, s41, v5
	v_cndmask_b32_e32 v8, v3, v7, vcc_lo
.LBB76_28:                              ;   in Loop: Header=BB76_24 Depth=2
	s_or_b32 exec_lo, exec_lo, s0
	s_add_u32 s20, s30, s18
	s_addc_u32 s21, s1, s19
	s_add_i32 s14, s16, 6
                                        ; implicit-def: $vgpr10_vgpr11
	s_delay_alu instid0(SALU_CYCLE_1)
	s_lshl_b64 s[18:19], s[14:15], 2
	s_mov_b32 s14, exec_lo
	s_add_u32 s22, s26, s18
	s_addc_u32 s23, s27, s19
	s_clause 0x1
	s_load_b32 s43, s[22:23], 0x0
	s_load_b32 s42, s[20:21], 0x0
	s_waitcnt lgkmcnt(0)
	s_ashr_i32 s0, s43, 31
	s_delay_alu instid0(SALU_CYCLE_1) | instskip(NEXT) | instid1(VALU_DEP_1)
	v_or_b32_e32 v3, s0, v9
	v_cmpx_ne_u64_e32 0, v[2:3]
	s_xor_b32 s14, exec_lo, s14
	s_cbranch_execz .LBB76_30
; %bb.29:                               ;   in Loop: Header=BB76_24 Depth=2
	s_add_u32 s22, s43, s0
	s_mov_b32 s20, s0
	s_mov_b32 s21, s0
	s_addc_u32 s23, s0, s0
	s_delay_alu instid0(SALU_CYCLE_1) | instskip(NEXT) | instid1(SALU_CYCLE_1)
	s_xor_b64 s[22:23], s[22:23], s[20:21]
	v_cvt_f32_u32_e32 v3, s22
	v_cvt_f32_u32_e32 v5, s23
	s_sub_u32 s0, 0, s22
	s_subb_u32 s17, 0, s23
	s_delay_alu instid0(VALU_DEP_1) | instskip(NEXT) | instid1(VALU_DEP_1)
	v_fmac_f32_e32 v3, 0x4f800000, v5
	v_rcp_f32_e32 v3, v3
	s_waitcnt_depctr 0xfff
	v_mul_f32_e32 v3, 0x5f7ffffc, v3
	s_delay_alu instid0(VALU_DEP_1) | instskip(NEXT) | instid1(VALU_DEP_1)
	v_mul_f32_e32 v5, 0x2f800000, v3
	v_trunc_f32_e32 v5, v5
	s_delay_alu instid0(VALU_DEP_1) | instskip(SKIP_1) | instid1(VALU_DEP_2)
	v_fmac_f32_e32 v3, 0xcf800000, v5
	v_cvt_u32_f32_e32 v5, v5
	v_cvt_u32_f32_e32 v3, v3
	s_delay_alu instid0(VALU_DEP_2) | instskip(NEXT) | instid1(VALU_DEP_2)
	v_mul_lo_u32 v7, s0, v5
	v_mul_hi_u32 v10, s0, v3
	v_mul_lo_u32 v11, s17, v3
	s_delay_alu instid0(VALU_DEP_2) | instskip(SKIP_1) | instid1(VALU_DEP_2)
	v_add_nc_u32_e32 v7, v10, v7
	v_mul_lo_u32 v10, s0, v3
	v_add_nc_u32_e32 v7, v7, v11
	s_delay_alu instid0(VALU_DEP_2) | instskip(NEXT) | instid1(VALU_DEP_2)
	v_mul_hi_u32 v11, v3, v10
	v_mul_lo_u32 v12, v3, v7
	v_mul_hi_u32 v13, v3, v7
	v_mul_hi_u32 v14, v5, v10
	v_mul_lo_u32 v10, v5, v10
	v_mul_hi_u32 v15, v5, v7
	v_mul_lo_u32 v7, v5, v7
	v_add_co_u32 v11, vcc_lo, v11, v12
	v_add_co_ci_u32_e32 v12, vcc_lo, 0, v13, vcc_lo
	s_delay_alu instid0(VALU_DEP_2) | instskip(NEXT) | instid1(VALU_DEP_2)
	v_add_co_u32 v10, vcc_lo, v11, v10
	v_add_co_ci_u32_e32 v10, vcc_lo, v12, v14, vcc_lo
	v_add_co_ci_u32_e32 v11, vcc_lo, 0, v15, vcc_lo
	v_ashrrev_i32_e32 v15, 31, v9
	s_delay_alu instid0(VALU_DEP_3) | instskip(NEXT) | instid1(VALU_DEP_3)
	v_add_co_u32 v7, vcc_lo, v10, v7
	v_add_co_ci_u32_e32 v10, vcc_lo, 0, v11, vcc_lo
	s_delay_alu instid0(VALU_DEP_2) | instskip(NEXT) | instid1(VALU_DEP_2)
	v_add_co_u32 v3, vcc_lo, v3, v7
	v_add_co_ci_u32_e32 v5, vcc_lo, v5, v10, vcc_lo
	s_delay_alu instid0(VALU_DEP_2) | instskip(SKIP_1) | instid1(VALU_DEP_3)
	v_mul_hi_u32 v7, s0, v3
	v_mul_lo_u32 v11, s17, v3
	v_mul_lo_u32 v10, s0, v5
	s_delay_alu instid0(VALU_DEP_1) | instskip(SKIP_1) | instid1(VALU_DEP_2)
	v_add_nc_u32_e32 v7, v7, v10
	v_mul_lo_u32 v10, s0, v3
	v_add_nc_u32_e32 v7, v7, v11
	s_delay_alu instid0(VALU_DEP_2) | instskip(NEXT) | instid1(VALU_DEP_2)
	v_mul_hi_u32 v11, v3, v10
	v_mul_lo_u32 v12, v3, v7
	v_mul_hi_u32 v13, v3, v7
	v_mul_hi_u32 v14, v5, v10
	v_mul_lo_u32 v10, v5, v10
	v_mul_hi_u32 v16, v5, v7
	v_mul_lo_u32 v7, v5, v7
	v_add_co_u32 v11, vcc_lo, v11, v12
	v_add_co_ci_u32_e32 v12, vcc_lo, 0, v13, vcc_lo
	s_delay_alu instid0(VALU_DEP_2) | instskip(NEXT) | instid1(VALU_DEP_2)
	v_add_co_u32 v10, vcc_lo, v11, v10
	v_add_co_ci_u32_e32 v10, vcc_lo, v12, v14, vcc_lo
	v_add_co_ci_u32_e32 v11, vcc_lo, 0, v16, vcc_lo
	v_add_co_u32 v12, vcc_lo, v8, v15
	v_add_co_ci_u32_e32 v9, vcc_lo, v9, v15, vcc_lo
	s_delay_alu instid0(VALU_DEP_4) | instskip(NEXT) | instid1(VALU_DEP_4)
	v_add_co_u32 v7, vcc_lo, v10, v7
	v_add_co_ci_u32_e32 v10, vcc_lo, 0, v11, vcc_lo
	s_delay_alu instid0(VALU_DEP_4) | instskip(NEXT) | instid1(VALU_DEP_3)
	v_xor_b32_e32 v16, v12, v15
	v_add_co_u32 v3, vcc_lo, v3, v7
	s_delay_alu instid0(VALU_DEP_3) | instskip(SKIP_1) | instid1(VALU_DEP_3)
	v_add_co_ci_u32_e32 v5, vcc_lo, v5, v10, vcc_lo
	v_xor_b32_e32 v7, v9, v15
	v_mul_hi_u32 v17, v16, v3
	s_delay_alu instid0(VALU_DEP_3) | instskip(NEXT) | instid1(VALU_DEP_3)
	v_mad_u64_u32 v[9:10], null, v16, v5, 0
	v_mad_u64_u32 v[11:12], null, v7, v3, 0
	;; [unrolled: 1-line block ×3, first 2 shown]
	s_delay_alu instid0(VALU_DEP_3) | instskip(NEXT) | instid1(VALU_DEP_4)
	v_add_co_u32 v3, vcc_lo, v17, v9
	v_add_co_ci_u32_e32 v5, vcc_lo, 0, v10, vcc_lo
	s_delay_alu instid0(VALU_DEP_2) | instskip(NEXT) | instid1(VALU_DEP_2)
	v_add_co_u32 v3, vcc_lo, v3, v11
	v_add_co_ci_u32_e32 v3, vcc_lo, v5, v12, vcc_lo
	v_add_co_ci_u32_e32 v5, vcc_lo, 0, v14, vcc_lo
	s_delay_alu instid0(VALU_DEP_2) | instskip(NEXT) | instid1(VALU_DEP_2)
	v_add_co_u32 v3, vcc_lo, v3, v13
	v_add_co_ci_u32_e32 v5, vcc_lo, 0, v5, vcc_lo
	s_delay_alu instid0(VALU_DEP_2) | instskip(SKIP_1) | instid1(VALU_DEP_3)
	v_mul_lo_u32 v11, s23, v3
	v_mad_u64_u32 v[9:10], null, s22, v3, 0
	v_mul_lo_u32 v12, s22, v5
	s_delay_alu instid0(VALU_DEP_2) | instskip(NEXT) | instid1(VALU_DEP_2)
	v_sub_co_u32 v9, vcc_lo, v16, v9
	v_add3_u32 v10, v10, v12, v11
	s_delay_alu instid0(VALU_DEP_1) | instskip(NEXT) | instid1(VALU_DEP_1)
	v_sub_nc_u32_e32 v11, v7, v10
	v_subrev_co_ci_u32_e64 v11, s0, s23, v11, vcc_lo
	v_add_co_u32 v12, s0, v3, 2
	s_delay_alu instid0(VALU_DEP_1) | instskip(SKIP_3) | instid1(VALU_DEP_3)
	v_add_co_ci_u32_e64 v13, s0, 0, v5, s0
	v_sub_co_u32 v14, s0, v9, s22
	v_sub_co_ci_u32_e32 v7, vcc_lo, v7, v10, vcc_lo
	v_subrev_co_ci_u32_e64 v11, s0, 0, v11, s0
	v_cmp_le_u32_e32 vcc_lo, s22, v14
	s_delay_alu instid0(VALU_DEP_3) | instskip(SKIP_1) | instid1(VALU_DEP_4)
	v_cmp_eq_u32_e64 s0, s23, v7
	v_cndmask_b32_e64 v10, 0, -1, vcc_lo
	v_cmp_le_u32_e32 vcc_lo, s23, v11
	v_cndmask_b32_e64 v14, 0, -1, vcc_lo
	v_cmp_le_u32_e32 vcc_lo, s22, v9
	;; [unrolled: 2-line block ×3, first 2 shown]
	v_cndmask_b32_e64 v16, 0, -1, vcc_lo
	v_cmp_eq_u32_e32 vcc_lo, s23, v11
	s_delay_alu instid0(VALU_DEP_2) | instskip(SKIP_3) | instid1(VALU_DEP_3)
	v_cndmask_b32_e64 v7, v16, v9, s0
	v_cndmask_b32_e32 v10, v14, v10, vcc_lo
	v_add_co_u32 v11, vcc_lo, v3, 1
	v_add_co_ci_u32_e32 v14, vcc_lo, 0, v5, vcc_lo
	v_cmp_ne_u32_e32 vcc_lo, 0, v10
	s_delay_alu instid0(VALU_DEP_2) | instskip(SKIP_2) | instid1(VALU_DEP_3)
	v_dual_cndmask_b32 v10, v11, v12 :: v_dual_cndmask_b32 v9, v14, v13
	v_cmp_ne_u32_e32 vcc_lo, 0, v7
	v_xor_b32_e32 v7, s20, v15
	v_cndmask_b32_e32 v3, v3, v10, vcc_lo
	s_delay_alu instid0(VALU_DEP_4) | instskip(SKIP_1) | instid1(VALU_DEP_3)
	v_cndmask_b32_e32 v5, v5, v9, vcc_lo
	v_xor_b32_e32 v9, s21, v15
	v_xor_b32_e32 v3, v3, v7
	s_delay_alu instid0(VALU_DEP_2) | instskip(NEXT) | instid1(VALU_DEP_2)
	v_xor_b32_e32 v5, v5, v9
	v_sub_co_u32 v10, vcc_lo, v3, v7
	s_delay_alu instid0(VALU_DEP_2)
	v_sub_co_ci_u32_e32 v11, vcc_lo, v5, v9, vcc_lo
.LBB76_30:                              ;   in Loop: Header=BB76_24 Depth=2
	s_and_not1_saveexec_b32 s0, s14
	s_cbranch_execz .LBB76_32
; %bb.31:                               ;   in Loop: Header=BB76_24 Depth=2
	v_cvt_f32_u32_e32 v3, s43
	s_sub_i32 s14, 0, s43
	v_mov_b32_e32 v11, v2
	s_delay_alu instid0(VALU_DEP_2) | instskip(SKIP_2) | instid1(VALU_DEP_1)
	v_rcp_iflag_f32_e32 v3, v3
	s_waitcnt_depctr 0xfff
	v_mul_f32_e32 v3, 0x4f7ffffe, v3
	v_cvt_u32_f32_e32 v3, v3
	s_delay_alu instid0(VALU_DEP_1) | instskip(NEXT) | instid1(VALU_DEP_1)
	v_mul_lo_u32 v5, s14, v3
	v_mul_hi_u32 v5, v3, v5
	s_delay_alu instid0(VALU_DEP_1) | instskip(NEXT) | instid1(VALU_DEP_1)
	v_add_nc_u32_e32 v3, v3, v5
	v_mul_hi_u32 v3, v8, v3
	s_delay_alu instid0(VALU_DEP_1) | instskip(SKIP_1) | instid1(VALU_DEP_2)
	v_mul_lo_u32 v5, v3, s43
	v_add_nc_u32_e32 v7, 1, v3
	v_sub_nc_u32_e32 v5, v8, v5
	s_delay_alu instid0(VALU_DEP_1) | instskip(SKIP_1) | instid1(VALU_DEP_4)
	v_cmp_le_u32_e32 vcc_lo, s43, v5
	v_subrev_nc_u32_e32 v9, s43, v5
	v_cndmask_b32_e32 v3, v3, v7, vcc_lo
	s_delay_alu instid0(VALU_DEP_1) | instskip(NEXT) | instid1(VALU_DEP_3)
	v_add_nc_u32_e32 v7, 1, v3
	v_cndmask_b32_e32 v5, v5, v9, vcc_lo
	s_delay_alu instid0(VALU_DEP_1) | instskip(NEXT) | instid1(VALU_DEP_3)
	v_cmp_le_u32_e32 vcc_lo, s43, v5
	v_cndmask_b32_e32 v10, v3, v7, vcc_lo
.LBB76_32:                              ;   in Loop: Header=BB76_24 Depth=2
	s_or_b32 exec_lo, exec_lo, s0
	s_add_u32 s20, s30, s18
	s_addc_u32 s21, s1, s19
	s_add_i32 s14, s16, 5
                                        ; implicit-def: $vgpr12_vgpr13
	s_delay_alu instid0(SALU_CYCLE_1)
	s_lshl_b64 s[18:19], s[14:15], 2
	s_mov_b32 s14, exec_lo
	s_add_u32 s22, s26, s18
	s_addc_u32 s23, s27, s19
	s_clause 0x1
	s_load_b32 s45, s[22:23], 0x0
	s_load_b32 s44, s[20:21], 0x0
	s_waitcnt lgkmcnt(0)
	s_ashr_i32 s0, s45, 31
	s_delay_alu instid0(SALU_CYCLE_1) | instskip(NEXT) | instid1(VALU_DEP_1)
	v_or_b32_e32 v3, s0, v11
	v_cmpx_ne_u64_e32 0, v[2:3]
	s_xor_b32 s14, exec_lo, s14
	s_cbranch_execz .LBB76_34
; %bb.33:                               ;   in Loop: Header=BB76_24 Depth=2
	s_add_u32 s22, s45, s0
	s_mov_b32 s20, s0
	s_mov_b32 s21, s0
	s_addc_u32 s23, s0, s0
	v_ashrrev_i32_e32 v17, 31, v11
	s_xor_b64 s[22:23], s[22:23], s[20:21]
	s_delay_alu instid0(SALU_CYCLE_1) | instskip(SKIP_3) | instid1(VALU_DEP_1)
	v_cvt_f32_u32_e32 v3, s22
	v_cvt_f32_u32_e32 v5, s23
	s_sub_u32 s0, 0, s22
	s_subb_u32 s17, 0, s23
	v_fmac_f32_e32 v3, 0x4f800000, v5
	s_delay_alu instid0(VALU_DEP_1) | instskip(SKIP_2) | instid1(VALU_DEP_1)
	v_rcp_f32_e32 v3, v3
	s_waitcnt_depctr 0xfff
	v_mul_f32_e32 v3, 0x5f7ffffc, v3
	v_mul_f32_e32 v5, 0x2f800000, v3
	s_delay_alu instid0(VALU_DEP_1) | instskip(NEXT) | instid1(VALU_DEP_1)
	v_trunc_f32_e32 v5, v5
	v_fmac_f32_e32 v3, 0xcf800000, v5
	v_cvt_u32_f32_e32 v5, v5
	s_delay_alu instid0(VALU_DEP_2) | instskip(NEXT) | instid1(VALU_DEP_2)
	v_cvt_u32_f32_e32 v3, v3
	v_mul_lo_u32 v7, s0, v5
	s_delay_alu instid0(VALU_DEP_2) | instskip(SKIP_1) | instid1(VALU_DEP_2)
	v_mul_hi_u32 v9, s0, v3
	v_mul_lo_u32 v12, s17, v3
	v_add_nc_u32_e32 v7, v9, v7
	v_mul_lo_u32 v9, s0, v3
	s_delay_alu instid0(VALU_DEP_2) | instskip(NEXT) | instid1(VALU_DEP_2)
	v_add_nc_u32_e32 v7, v7, v12
	v_mul_hi_u32 v12, v3, v9
	s_delay_alu instid0(VALU_DEP_2)
	v_mul_lo_u32 v13, v3, v7
	v_mul_hi_u32 v14, v3, v7
	v_mul_hi_u32 v15, v5, v9
	v_mul_lo_u32 v9, v5, v9
	v_mul_hi_u32 v16, v5, v7
	v_mul_lo_u32 v7, v5, v7
	v_add_co_u32 v12, vcc_lo, v12, v13
	v_add_co_ci_u32_e32 v13, vcc_lo, 0, v14, vcc_lo
	s_delay_alu instid0(VALU_DEP_2) | instskip(NEXT) | instid1(VALU_DEP_2)
	v_add_co_u32 v9, vcc_lo, v12, v9
	v_add_co_ci_u32_e32 v9, vcc_lo, v13, v15, vcc_lo
	v_add_co_ci_u32_e32 v12, vcc_lo, 0, v16, vcc_lo
	s_delay_alu instid0(VALU_DEP_2) | instskip(NEXT) | instid1(VALU_DEP_2)
	v_add_co_u32 v7, vcc_lo, v9, v7
	v_add_co_ci_u32_e32 v9, vcc_lo, 0, v12, vcc_lo
	s_delay_alu instid0(VALU_DEP_2) | instskip(NEXT) | instid1(VALU_DEP_2)
	v_add_co_u32 v3, vcc_lo, v3, v7
	v_add_co_ci_u32_e32 v5, vcc_lo, v5, v9, vcc_lo
	s_delay_alu instid0(VALU_DEP_2) | instskip(SKIP_1) | instid1(VALU_DEP_3)
	v_mul_hi_u32 v7, s0, v3
	v_mul_lo_u32 v12, s17, v3
	v_mul_lo_u32 v9, s0, v5
	s_delay_alu instid0(VALU_DEP_1) | instskip(SKIP_1) | instid1(VALU_DEP_2)
	v_add_nc_u32_e32 v7, v7, v9
	v_mul_lo_u32 v9, s0, v3
	v_add_nc_u32_e32 v7, v7, v12
	s_delay_alu instid0(VALU_DEP_2) | instskip(NEXT) | instid1(VALU_DEP_2)
	v_mul_hi_u32 v12, v3, v9
	v_mul_lo_u32 v13, v3, v7
	v_mul_hi_u32 v14, v3, v7
	v_mul_hi_u32 v15, v5, v9
	v_mul_lo_u32 v9, v5, v9
	v_mul_hi_u32 v16, v5, v7
	v_mul_lo_u32 v7, v5, v7
	v_add_co_u32 v12, vcc_lo, v12, v13
	v_add_co_ci_u32_e32 v13, vcc_lo, 0, v14, vcc_lo
	s_delay_alu instid0(VALU_DEP_2) | instskip(NEXT) | instid1(VALU_DEP_2)
	v_add_co_u32 v9, vcc_lo, v12, v9
	v_add_co_ci_u32_e32 v9, vcc_lo, v13, v15, vcc_lo
	v_add_co_ci_u32_e32 v12, vcc_lo, 0, v16, vcc_lo
	v_add_co_u32 v13, vcc_lo, v10, v17
	v_add_co_ci_u32_e32 v11, vcc_lo, v11, v17, vcc_lo
	s_delay_alu instid0(VALU_DEP_4) | instskip(NEXT) | instid1(VALU_DEP_4)
	v_add_co_u32 v7, vcc_lo, v9, v7
	v_add_co_ci_u32_e32 v9, vcc_lo, 0, v12, vcc_lo
	s_delay_alu instid0(VALU_DEP_4) | instskip(NEXT) | instid1(VALU_DEP_3)
	v_xor_b32_e32 v18, v13, v17
	v_add_co_u32 v3, vcc_lo, v3, v7
	s_delay_alu instid0(VALU_DEP_3) | instskip(SKIP_1) | instid1(VALU_DEP_3)
	v_add_co_ci_u32_e32 v5, vcc_lo, v5, v9, vcc_lo
	v_xor_b32_e32 v7, v11, v17
	v_mul_hi_u32 v9, v18, v3
	s_delay_alu instid0(VALU_DEP_3) | instskip(NEXT) | instid1(VALU_DEP_3)
	v_mad_u64_u32 v[11:12], null, v18, v5, 0
	v_mad_u64_u32 v[13:14], null, v7, v3, 0
	;; [unrolled: 1-line block ×3, first 2 shown]
	s_delay_alu instid0(VALU_DEP_3) | instskip(NEXT) | instid1(VALU_DEP_4)
	v_add_co_u32 v3, vcc_lo, v9, v11
	v_add_co_ci_u32_e32 v5, vcc_lo, 0, v12, vcc_lo
	s_delay_alu instid0(VALU_DEP_2) | instskip(NEXT) | instid1(VALU_DEP_2)
	v_add_co_u32 v3, vcc_lo, v3, v13
	v_add_co_ci_u32_e32 v3, vcc_lo, v5, v14, vcc_lo
	v_add_co_ci_u32_e32 v5, vcc_lo, 0, v16, vcc_lo
	s_delay_alu instid0(VALU_DEP_2) | instskip(NEXT) | instid1(VALU_DEP_2)
	v_add_co_u32 v3, vcc_lo, v3, v15
	v_add_co_ci_u32_e32 v5, vcc_lo, 0, v5, vcc_lo
	s_delay_alu instid0(VALU_DEP_2) | instskip(SKIP_1) | instid1(VALU_DEP_3)
	v_mul_lo_u32 v9, s23, v3
	v_mad_u64_u32 v[11:12], null, s22, v3, 0
	v_mul_lo_u32 v13, s22, v5
	s_delay_alu instid0(VALU_DEP_2) | instskip(NEXT) | instid1(VALU_DEP_2)
	v_sub_co_u32 v11, vcc_lo, v18, v11
	v_add3_u32 v9, v12, v13, v9
	s_delay_alu instid0(VALU_DEP_1) | instskip(NEXT) | instid1(VALU_DEP_1)
	v_sub_nc_u32_e32 v12, v7, v9
	v_subrev_co_ci_u32_e64 v12, s0, s23, v12, vcc_lo
	v_add_co_u32 v13, s0, v3, 2
	s_delay_alu instid0(VALU_DEP_1) | instskip(SKIP_3) | instid1(VALU_DEP_3)
	v_add_co_ci_u32_e64 v14, s0, 0, v5, s0
	v_sub_co_u32 v15, s0, v11, s22
	v_sub_co_ci_u32_e32 v7, vcc_lo, v7, v9, vcc_lo
	v_subrev_co_ci_u32_e64 v12, s0, 0, v12, s0
	v_cmp_le_u32_e32 vcc_lo, s22, v15
	s_delay_alu instid0(VALU_DEP_3) | instskip(SKIP_1) | instid1(VALU_DEP_4)
	v_cmp_eq_u32_e64 s0, s23, v7
	v_cndmask_b32_e64 v9, 0, -1, vcc_lo
	v_cmp_le_u32_e32 vcc_lo, s23, v12
	v_cndmask_b32_e64 v15, 0, -1, vcc_lo
	v_cmp_le_u32_e32 vcc_lo, s22, v11
	;; [unrolled: 2-line block ×3, first 2 shown]
	v_cndmask_b32_e64 v16, 0, -1, vcc_lo
	v_cmp_eq_u32_e32 vcc_lo, s23, v12
	s_delay_alu instid0(VALU_DEP_2) | instskip(SKIP_3) | instid1(VALU_DEP_3)
	v_cndmask_b32_e64 v7, v16, v11, s0
	v_cndmask_b32_e32 v9, v15, v9, vcc_lo
	v_add_co_u32 v12, vcc_lo, v3, 1
	v_add_co_ci_u32_e32 v15, vcc_lo, 0, v5, vcc_lo
	v_cmp_ne_u32_e32 vcc_lo, 0, v9
	s_delay_alu instid0(VALU_DEP_2) | instskip(NEXT) | instid1(VALU_DEP_4)
	v_cndmask_b32_e32 v9, v15, v14, vcc_lo
	v_cndmask_b32_e32 v11, v12, v13, vcc_lo
	v_cmp_ne_u32_e32 vcc_lo, 0, v7
	v_xor_b32_e32 v7, s20, v17
	s_delay_alu instid0(VALU_DEP_3) | instskip(SKIP_2) | instid1(VALU_DEP_3)
	v_cndmask_b32_e32 v3, v3, v11, vcc_lo
	v_cndmask_b32_e32 v5, v5, v9, vcc_lo
	v_xor_b32_e32 v9, s21, v17
	v_xor_b32_e32 v3, v3, v7
	s_delay_alu instid0(VALU_DEP_2) | instskip(NEXT) | instid1(VALU_DEP_2)
	v_xor_b32_e32 v5, v5, v9
	v_sub_co_u32 v12, vcc_lo, v3, v7
	s_delay_alu instid0(VALU_DEP_2)
	v_sub_co_ci_u32_e32 v13, vcc_lo, v5, v9, vcc_lo
.LBB76_34:                              ;   in Loop: Header=BB76_24 Depth=2
	s_and_not1_saveexec_b32 s0, s14
	s_cbranch_execz .LBB76_36
; %bb.35:                               ;   in Loop: Header=BB76_24 Depth=2
	v_cvt_f32_u32_e32 v3, s45
	s_sub_i32 s14, 0, s45
	v_mov_b32_e32 v13, v2
	s_delay_alu instid0(VALU_DEP_2) | instskip(SKIP_2) | instid1(VALU_DEP_1)
	v_rcp_iflag_f32_e32 v3, v3
	s_waitcnt_depctr 0xfff
	v_mul_f32_e32 v3, 0x4f7ffffe, v3
	v_cvt_u32_f32_e32 v3, v3
	s_delay_alu instid0(VALU_DEP_1) | instskip(NEXT) | instid1(VALU_DEP_1)
	v_mul_lo_u32 v5, s14, v3
	v_mul_hi_u32 v5, v3, v5
	s_delay_alu instid0(VALU_DEP_1) | instskip(NEXT) | instid1(VALU_DEP_1)
	v_add_nc_u32_e32 v3, v3, v5
	v_mul_hi_u32 v3, v10, v3
	s_delay_alu instid0(VALU_DEP_1) | instskip(SKIP_1) | instid1(VALU_DEP_2)
	v_mul_lo_u32 v5, v3, s45
	v_add_nc_u32_e32 v7, 1, v3
	v_sub_nc_u32_e32 v5, v10, v5
	s_delay_alu instid0(VALU_DEP_1) | instskip(SKIP_1) | instid1(VALU_DEP_4)
	v_cmp_le_u32_e32 vcc_lo, s45, v5
	v_subrev_nc_u32_e32 v9, s45, v5
	v_cndmask_b32_e32 v3, v3, v7, vcc_lo
	s_delay_alu instid0(VALU_DEP_1) | instskip(NEXT) | instid1(VALU_DEP_3)
	v_add_nc_u32_e32 v7, 1, v3
	v_cndmask_b32_e32 v5, v5, v9, vcc_lo
	s_delay_alu instid0(VALU_DEP_1) | instskip(NEXT) | instid1(VALU_DEP_3)
	v_cmp_le_u32_e32 vcc_lo, s45, v5
	v_cndmask_b32_e32 v12, v3, v7, vcc_lo
.LBB76_36:                              ;   in Loop: Header=BB76_24 Depth=2
	s_or_b32 exec_lo, exec_lo, s0
	s_add_u32 s20, s30, s18
	s_addc_u32 s21, s1, s19
	s_add_i32 s14, s16, 4
                                        ; implicit-def: $vgpr14_vgpr15
	s_delay_alu instid0(SALU_CYCLE_1)
	s_lshl_b64 s[18:19], s[14:15], 2
	s_mov_b32 s14, exec_lo
	s_add_u32 s22, s26, s18
	s_addc_u32 s23, s27, s19
	s_clause 0x1
	s_load_b32 s47, s[22:23], 0x0
	s_load_b32 s46, s[20:21], 0x0
	s_waitcnt lgkmcnt(0)
	s_ashr_i32 s0, s47, 31
	s_delay_alu instid0(SALU_CYCLE_1) | instskip(NEXT) | instid1(VALU_DEP_1)
	v_or_b32_e32 v3, s0, v13
	v_cmpx_ne_u64_e32 0, v[2:3]
	s_xor_b32 s14, exec_lo, s14
	s_cbranch_execz .LBB76_38
; %bb.37:                               ;   in Loop: Header=BB76_24 Depth=2
	s_add_u32 s22, s47, s0
	s_mov_b32 s20, s0
	s_mov_b32 s21, s0
	s_addc_u32 s23, s0, s0
	v_ashrrev_i32_e32 v19, 31, v13
	s_xor_b64 s[22:23], s[22:23], s[20:21]
	s_delay_alu instid0(SALU_CYCLE_1) | instskip(SKIP_3) | instid1(VALU_DEP_1)
	v_cvt_f32_u32_e32 v3, s22
	v_cvt_f32_u32_e32 v5, s23
	s_sub_u32 s0, 0, s22
	s_subb_u32 s17, 0, s23
	v_fmac_f32_e32 v3, 0x4f800000, v5
	s_delay_alu instid0(VALU_DEP_1) | instskip(SKIP_2) | instid1(VALU_DEP_1)
	v_rcp_f32_e32 v3, v3
	s_waitcnt_depctr 0xfff
	v_mul_f32_e32 v3, 0x5f7ffffc, v3
	v_mul_f32_e32 v5, 0x2f800000, v3
	s_delay_alu instid0(VALU_DEP_1) | instskip(NEXT) | instid1(VALU_DEP_1)
	v_trunc_f32_e32 v5, v5
	v_fmac_f32_e32 v3, 0xcf800000, v5
	v_cvt_u32_f32_e32 v5, v5
	s_delay_alu instid0(VALU_DEP_2) | instskip(NEXT) | instid1(VALU_DEP_2)
	v_cvt_u32_f32_e32 v3, v3
	v_mul_lo_u32 v7, s0, v5
	s_delay_alu instid0(VALU_DEP_2) | instskip(SKIP_1) | instid1(VALU_DEP_2)
	v_mul_hi_u32 v9, s0, v3
	v_mul_lo_u32 v11, s17, v3
	v_add_nc_u32_e32 v7, v9, v7
	v_mul_lo_u32 v9, s0, v3
	s_delay_alu instid0(VALU_DEP_2) | instskip(NEXT) | instid1(VALU_DEP_2)
	v_add_nc_u32_e32 v7, v7, v11
	v_mul_hi_u32 v11, v3, v9
	s_delay_alu instid0(VALU_DEP_2)
	v_mul_lo_u32 v14, v3, v7
	v_mul_hi_u32 v15, v3, v7
	v_mul_hi_u32 v16, v5, v9
	v_mul_lo_u32 v9, v5, v9
	v_mul_hi_u32 v17, v5, v7
	v_mul_lo_u32 v7, v5, v7
	v_add_co_u32 v11, vcc_lo, v11, v14
	v_add_co_ci_u32_e32 v14, vcc_lo, 0, v15, vcc_lo
	s_delay_alu instid0(VALU_DEP_2) | instskip(NEXT) | instid1(VALU_DEP_2)
	v_add_co_u32 v9, vcc_lo, v11, v9
	v_add_co_ci_u32_e32 v9, vcc_lo, v14, v16, vcc_lo
	v_add_co_ci_u32_e32 v11, vcc_lo, 0, v17, vcc_lo
	s_delay_alu instid0(VALU_DEP_2) | instskip(NEXT) | instid1(VALU_DEP_2)
	v_add_co_u32 v7, vcc_lo, v9, v7
	v_add_co_ci_u32_e32 v9, vcc_lo, 0, v11, vcc_lo
	s_delay_alu instid0(VALU_DEP_2) | instskip(NEXT) | instid1(VALU_DEP_2)
	v_add_co_u32 v3, vcc_lo, v3, v7
	v_add_co_ci_u32_e32 v5, vcc_lo, v5, v9, vcc_lo
	s_delay_alu instid0(VALU_DEP_2) | instskip(SKIP_1) | instid1(VALU_DEP_3)
	v_mul_hi_u32 v7, s0, v3
	v_mul_lo_u32 v11, s17, v3
	v_mul_lo_u32 v9, s0, v5
	s_delay_alu instid0(VALU_DEP_1) | instskip(SKIP_1) | instid1(VALU_DEP_2)
	v_add_nc_u32_e32 v7, v7, v9
	v_mul_lo_u32 v9, s0, v3
	v_add_nc_u32_e32 v7, v7, v11
	s_delay_alu instid0(VALU_DEP_2) | instskip(NEXT) | instid1(VALU_DEP_2)
	v_mul_hi_u32 v11, v3, v9
	v_mul_lo_u32 v14, v3, v7
	v_mul_hi_u32 v15, v3, v7
	v_mul_hi_u32 v16, v5, v9
	v_mul_lo_u32 v9, v5, v9
	v_mul_hi_u32 v17, v5, v7
	v_mul_lo_u32 v7, v5, v7
	v_add_co_u32 v11, vcc_lo, v11, v14
	v_add_co_ci_u32_e32 v14, vcc_lo, 0, v15, vcc_lo
	s_delay_alu instid0(VALU_DEP_2) | instskip(NEXT) | instid1(VALU_DEP_2)
	v_add_co_u32 v9, vcc_lo, v11, v9
	v_add_co_ci_u32_e32 v9, vcc_lo, v14, v16, vcc_lo
	v_add_co_ci_u32_e32 v11, vcc_lo, 0, v17, vcc_lo
	v_add_co_u32 v14, vcc_lo, v12, v19
	v_add_co_ci_u32_e32 v13, vcc_lo, v13, v19, vcc_lo
	s_delay_alu instid0(VALU_DEP_4) | instskip(NEXT) | instid1(VALU_DEP_4)
	v_add_co_u32 v7, vcc_lo, v9, v7
	v_add_co_ci_u32_e32 v9, vcc_lo, 0, v11, vcc_lo
	s_delay_alu instid0(VALU_DEP_4) | instskip(NEXT) | instid1(VALU_DEP_3)
	v_xor_b32_e32 v11, v14, v19
	v_add_co_u32 v3, vcc_lo, v3, v7
	s_delay_alu instid0(VALU_DEP_3) | instskip(SKIP_1) | instid1(VALU_DEP_3)
	v_add_co_ci_u32_e32 v5, vcc_lo, v5, v9, vcc_lo
	v_xor_b32_e32 v7, v13, v19
	v_mul_hi_u32 v9, v11, v3
	s_delay_alu instid0(VALU_DEP_3) | instskip(NEXT) | instid1(VALU_DEP_3)
	v_mad_u64_u32 v[13:14], null, v11, v5, 0
	v_mad_u64_u32 v[15:16], null, v7, v3, 0
	;; [unrolled: 1-line block ×3, first 2 shown]
	s_delay_alu instid0(VALU_DEP_3) | instskip(NEXT) | instid1(VALU_DEP_4)
	v_add_co_u32 v3, vcc_lo, v9, v13
	v_add_co_ci_u32_e32 v5, vcc_lo, 0, v14, vcc_lo
	s_delay_alu instid0(VALU_DEP_2) | instskip(NEXT) | instid1(VALU_DEP_2)
	v_add_co_u32 v3, vcc_lo, v3, v15
	v_add_co_ci_u32_e32 v3, vcc_lo, v5, v16, vcc_lo
	v_add_co_ci_u32_e32 v5, vcc_lo, 0, v18, vcc_lo
	s_delay_alu instid0(VALU_DEP_2) | instskip(NEXT) | instid1(VALU_DEP_2)
	v_add_co_u32 v3, vcc_lo, v3, v17
	v_add_co_ci_u32_e32 v5, vcc_lo, 0, v5, vcc_lo
	s_delay_alu instid0(VALU_DEP_2) | instskip(SKIP_1) | instid1(VALU_DEP_3)
	v_mul_lo_u32 v9, s23, v3
	v_mad_u64_u32 v[13:14], null, s22, v3, 0
	v_mul_lo_u32 v15, s22, v5
	s_delay_alu instid0(VALU_DEP_2) | instskip(NEXT) | instid1(VALU_DEP_2)
	v_sub_co_u32 v11, vcc_lo, v11, v13
	v_add3_u32 v9, v14, v15, v9
	s_delay_alu instid0(VALU_DEP_1) | instskip(NEXT) | instid1(VALU_DEP_1)
	v_sub_nc_u32_e32 v14, v7, v9
	v_subrev_co_ci_u32_e64 v13, s0, s23, v14, vcc_lo
	v_add_co_u32 v14, s0, v3, 2
	s_delay_alu instid0(VALU_DEP_1) | instskip(SKIP_3) | instid1(VALU_DEP_3)
	v_add_co_ci_u32_e64 v15, s0, 0, v5, s0
	v_sub_co_u32 v16, s0, v11, s22
	v_sub_co_ci_u32_e32 v7, vcc_lo, v7, v9, vcc_lo
	v_subrev_co_ci_u32_e64 v13, s0, 0, v13, s0
	v_cmp_le_u32_e32 vcc_lo, s22, v16
	s_delay_alu instid0(VALU_DEP_3) | instskip(SKIP_1) | instid1(VALU_DEP_4)
	v_cmp_eq_u32_e64 s0, s23, v7
	v_cndmask_b32_e64 v9, 0, -1, vcc_lo
	v_cmp_le_u32_e32 vcc_lo, s23, v13
	v_cndmask_b32_e64 v16, 0, -1, vcc_lo
	v_cmp_le_u32_e32 vcc_lo, s22, v11
	;; [unrolled: 2-line block ×3, first 2 shown]
	v_cndmask_b32_e64 v17, 0, -1, vcc_lo
	v_cmp_eq_u32_e32 vcc_lo, s23, v13
	s_delay_alu instid0(VALU_DEP_2) | instskip(SKIP_3) | instid1(VALU_DEP_3)
	v_cndmask_b32_e64 v7, v17, v11, s0
	v_cndmask_b32_e32 v9, v16, v9, vcc_lo
	v_add_co_u32 v13, vcc_lo, v3, 1
	v_add_co_ci_u32_e32 v16, vcc_lo, 0, v5, vcc_lo
	v_cmp_ne_u32_e32 vcc_lo, 0, v9
	s_delay_alu instid0(VALU_DEP_2) | instskip(NEXT) | instid1(VALU_DEP_4)
	v_cndmask_b32_e32 v9, v16, v15, vcc_lo
	v_cndmask_b32_e32 v11, v13, v14, vcc_lo
	v_cmp_ne_u32_e32 vcc_lo, 0, v7
	v_xor_b32_e32 v7, s20, v19
	s_delay_alu instid0(VALU_DEP_3) | instskip(SKIP_2) | instid1(VALU_DEP_3)
	v_cndmask_b32_e32 v3, v3, v11, vcc_lo
	v_cndmask_b32_e32 v5, v5, v9, vcc_lo
	v_xor_b32_e32 v9, s21, v19
	v_xor_b32_e32 v3, v3, v7
	s_delay_alu instid0(VALU_DEP_2) | instskip(NEXT) | instid1(VALU_DEP_2)
	v_xor_b32_e32 v5, v5, v9
	v_sub_co_u32 v14, vcc_lo, v3, v7
	s_delay_alu instid0(VALU_DEP_2)
	v_sub_co_ci_u32_e32 v15, vcc_lo, v5, v9, vcc_lo
.LBB76_38:                              ;   in Loop: Header=BB76_24 Depth=2
	s_and_not1_saveexec_b32 s0, s14
	s_cbranch_execz .LBB76_40
; %bb.39:                               ;   in Loop: Header=BB76_24 Depth=2
	v_cvt_f32_u32_e32 v3, s47
	s_sub_i32 s14, 0, s47
	v_mov_b32_e32 v15, v2
	s_delay_alu instid0(VALU_DEP_2) | instskip(SKIP_2) | instid1(VALU_DEP_1)
	v_rcp_iflag_f32_e32 v3, v3
	s_waitcnt_depctr 0xfff
	v_mul_f32_e32 v3, 0x4f7ffffe, v3
	v_cvt_u32_f32_e32 v3, v3
	s_delay_alu instid0(VALU_DEP_1) | instskip(NEXT) | instid1(VALU_DEP_1)
	v_mul_lo_u32 v5, s14, v3
	v_mul_hi_u32 v5, v3, v5
	s_delay_alu instid0(VALU_DEP_1) | instskip(NEXT) | instid1(VALU_DEP_1)
	v_add_nc_u32_e32 v3, v3, v5
	v_mul_hi_u32 v3, v12, v3
	s_delay_alu instid0(VALU_DEP_1) | instskip(SKIP_1) | instid1(VALU_DEP_2)
	v_mul_lo_u32 v5, v3, s47
	v_add_nc_u32_e32 v7, 1, v3
	v_sub_nc_u32_e32 v5, v12, v5
	s_delay_alu instid0(VALU_DEP_1) | instskip(SKIP_1) | instid1(VALU_DEP_4)
	v_cmp_le_u32_e32 vcc_lo, s47, v5
	v_subrev_nc_u32_e32 v9, s47, v5
	v_cndmask_b32_e32 v3, v3, v7, vcc_lo
	s_delay_alu instid0(VALU_DEP_1) | instskip(NEXT) | instid1(VALU_DEP_3)
	v_add_nc_u32_e32 v7, 1, v3
	v_cndmask_b32_e32 v5, v5, v9, vcc_lo
	s_delay_alu instid0(VALU_DEP_1) | instskip(NEXT) | instid1(VALU_DEP_3)
	v_cmp_le_u32_e32 vcc_lo, s47, v5
	v_cndmask_b32_e32 v14, v3, v7, vcc_lo
.LBB76_40:                              ;   in Loop: Header=BB76_24 Depth=2
	s_or_b32 exec_lo, exec_lo, s0
	s_add_u32 s20, s30, s18
	s_addc_u32 s21, s1, s19
	s_add_i32 s14, s16, 3
                                        ; implicit-def: $vgpr16_vgpr17
	s_delay_alu instid0(SALU_CYCLE_1)
	s_lshl_b64 s[18:19], s[14:15], 2
	s_mov_b32 s14, exec_lo
	s_add_u32 s22, s26, s18
	s_addc_u32 s23, s27, s19
	s_clause 0x1
	s_load_b32 s49, s[22:23], 0x0
	s_load_b32 s48, s[20:21], 0x0
	s_waitcnt lgkmcnt(0)
	s_ashr_i32 s0, s49, 31
	s_delay_alu instid0(SALU_CYCLE_1) | instskip(NEXT) | instid1(VALU_DEP_1)
	v_or_b32_e32 v3, s0, v15
	v_cmpx_ne_u64_e32 0, v[2:3]
	s_xor_b32 s14, exec_lo, s14
	s_cbranch_execz .LBB76_42
; %bb.41:                               ;   in Loop: Header=BB76_24 Depth=2
	s_add_u32 s22, s49, s0
	s_mov_b32 s20, s0
	s_mov_b32 s21, s0
	s_addc_u32 s23, s0, s0
	v_ashrrev_i32_e32 v21, 31, v15
	s_xor_b64 s[22:23], s[22:23], s[20:21]
	s_delay_alu instid0(SALU_CYCLE_1) | instskip(SKIP_3) | instid1(VALU_DEP_1)
	v_cvt_f32_u32_e32 v3, s22
	v_cvt_f32_u32_e32 v5, s23
	s_sub_u32 s0, 0, s22
	s_subb_u32 s17, 0, s23
	v_fmac_f32_e32 v3, 0x4f800000, v5
	s_delay_alu instid0(VALU_DEP_1) | instskip(SKIP_2) | instid1(VALU_DEP_1)
	v_rcp_f32_e32 v3, v3
	s_waitcnt_depctr 0xfff
	v_mul_f32_e32 v3, 0x5f7ffffc, v3
	v_mul_f32_e32 v5, 0x2f800000, v3
	s_delay_alu instid0(VALU_DEP_1) | instskip(NEXT) | instid1(VALU_DEP_1)
	v_trunc_f32_e32 v5, v5
	v_fmac_f32_e32 v3, 0xcf800000, v5
	v_cvt_u32_f32_e32 v5, v5
	s_delay_alu instid0(VALU_DEP_2) | instskip(NEXT) | instid1(VALU_DEP_2)
	v_cvt_u32_f32_e32 v3, v3
	v_mul_lo_u32 v7, s0, v5
	s_delay_alu instid0(VALU_DEP_2) | instskip(SKIP_1) | instid1(VALU_DEP_2)
	v_mul_hi_u32 v9, s0, v3
	v_mul_lo_u32 v11, s17, v3
	v_add_nc_u32_e32 v7, v9, v7
	v_mul_lo_u32 v9, s0, v3
	s_delay_alu instid0(VALU_DEP_2) | instskip(NEXT) | instid1(VALU_DEP_2)
	v_add_nc_u32_e32 v7, v7, v11
	v_mul_hi_u32 v11, v3, v9
	s_delay_alu instid0(VALU_DEP_2)
	v_mul_lo_u32 v13, v3, v7
	v_mul_hi_u32 v16, v3, v7
	v_mul_hi_u32 v17, v5, v9
	v_mul_lo_u32 v9, v5, v9
	v_mul_hi_u32 v18, v5, v7
	v_mul_lo_u32 v7, v5, v7
	v_add_co_u32 v11, vcc_lo, v11, v13
	v_add_co_ci_u32_e32 v13, vcc_lo, 0, v16, vcc_lo
	s_delay_alu instid0(VALU_DEP_2) | instskip(NEXT) | instid1(VALU_DEP_2)
	v_add_co_u32 v9, vcc_lo, v11, v9
	v_add_co_ci_u32_e32 v9, vcc_lo, v13, v17, vcc_lo
	v_add_co_ci_u32_e32 v11, vcc_lo, 0, v18, vcc_lo
	s_delay_alu instid0(VALU_DEP_2) | instskip(NEXT) | instid1(VALU_DEP_2)
	v_add_co_u32 v7, vcc_lo, v9, v7
	v_add_co_ci_u32_e32 v9, vcc_lo, 0, v11, vcc_lo
	s_delay_alu instid0(VALU_DEP_2) | instskip(NEXT) | instid1(VALU_DEP_2)
	v_add_co_u32 v3, vcc_lo, v3, v7
	v_add_co_ci_u32_e32 v5, vcc_lo, v5, v9, vcc_lo
	s_delay_alu instid0(VALU_DEP_2) | instskip(SKIP_1) | instid1(VALU_DEP_3)
	v_mul_hi_u32 v7, s0, v3
	v_mul_lo_u32 v11, s17, v3
	v_mul_lo_u32 v9, s0, v5
	s_delay_alu instid0(VALU_DEP_1) | instskip(SKIP_1) | instid1(VALU_DEP_2)
	v_add_nc_u32_e32 v7, v7, v9
	v_mul_lo_u32 v9, s0, v3
	v_add_nc_u32_e32 v7, v7, v11
	s_delay_alu instid0(VALU_DEP_2) | instskip(NEXT) | instid1(VALU_DEP_2)
	v_mul_hi_u32 v11, v3, v9
	v_mul_lo_u32 v13, v3, v7
	v_mul_hi_u32 v16, v3, v7
	v_mul_hi_u32 v17, v5, v9
	v_mul_lo_u32 v9, v5, v9
	v_mul_hi_u32 v18, v5, v7
	v_mul_lo_u32 v7, v5, v7
	v_add_co_u32 v11, vcc_lo, v11, v13
	v_add_co_ci_u32_e32 v13, vcc_lo, 0, v16, vcc_lo
	s_delay_alu instid0(VALU_DEP_2) | instskip(NEXT) | instid1(VALU_DEP_2)
	v_add_co_u32 v9, vcc_lo, v11, v9
	v_add_co_ci_u32_e32 v9, vcc_lo, v13, v17, vcc_lo
	v_add_co_ci_u32_e32 v11, vcc_lo, 0, v18, vcc_lo
	v_add_co_u32 v13, vcc_lo, v14, v21
	v_add_co_ci_u32_e32 v15, vcc_lo, v15, v21, vcc_lo
	s_delay_alu instid0(VALU_DEP_4) | instskip(NEXT) | instid1(VALU_DEP_4)
	v_add_co_u32 v7, vcc_lo, v9, v7
	v_add_co_ci_u32_e32 v9, vcc_lo, 0, v11, vcc_lo
	s_delay_alu instid0(VALU_DEP_4) | instskip(NEXT) | instid1(VALU_DEP_3)
	v_xor_b32_e32 v11, v13, v21
	v_add_co_u32 v3, vcc_lo, v3, v7
	s_delay_alu instid0(VALU_DEP_3) | instskip(SKIP_1) | instid1(VALU_DEP_3)
	v_add_co_ci_u32_e32 v5, vcc_lo, v5, v9, vcc_lo
	v_xor_b32_e32 v7, v15, v21
	v_mul_hi_u32 v9, v11, v3
	s_delay_alu instid0(VALU_DEP_3) | instskip(NEXT) | instid1(VALU_DEP_3)
	v_mad_u64_u32 v[15:16], null, v11, v5, 0
	v_mad_u64_u32 v[17:18], null, v7, v3, 0
	;; [unrolled: 1-line block ×3, first 2 shown]
	s_delay_alu instid0(VALU_DEP_3) | instskip(NEXT) | instid1(VALU_DEP_4)
	v_add_co_u32 v3, vcc_lo, v9, v15
	v_add_co_ci_u32_e32 v5, vcc_lo, 0, v16, vcc_lo
	s_delay_alu instid0(VALU_DEP_2) | instskip(NEXT) | instid1(VALU_DEP_2)
	v_add_co_u32 v3, vcc_lo, v3, v17
	v_add_co_ci_u32_e32 v3, vcc_lo, v5, v18, vcc_lo
	v_add_co_ci_u32_e32 v5, vcc_lo, 0, v20, vcc_lo
	s_delay_alu instid0(VALU_DEP_2) | instskip(NEXT) | instid1(VALU_DEP_2)
	v_add_co_u32 v3, vcc_lo, v3, v19
	v_add_co_ci_u32_e32 v5, vcc_lo, 0, v5, vcc_lo
	s_delay_alu instid0(VALU_DEP_2) | instskip(SKIP_1) | instid1(VALU_DEP_3)
	v_mul_lo_u32 v9, s23, v3
	v_mad_u64_u32 v[15:16], null, s22, v3, 0
	v_mul_lo_u32 v13, s22, v5
	s_delay_alu instid0(VALU_DEP_2) | instskip(NEXT) | instid1(VALU_DEP_2)
	v_sub_co_u32 v11, vcc_lo, v11, v15
	v_add3_u32 v9, v16, v13, v9
	s_delay_alu instid0(VALU_DEP_1) | instskip(NEXT) | instid1(VALU_DEP_1)
	v_sub_nc_u32_e32 v13, v7, v9
	v_subrev_co_ci_u32_e64 v13, s0, s23, v13, vcc_lo
	v_add_co_u32 v15, s0, v3, 2
	s_delay_alu instid0(VALU_DEP_1) | instskip(SKIP_3) | instid1(VALU_DEP_3)
	v_add_co_ci_u32_e64 v16, s0, 0, v5, s0
	v_sub_co_u32 v17, s0, v11, s22
	v_sub_co_ci_u32_e32 v7, vcc_lo, v7, v9, vcc_lo
	v_subrev_co_ci_u32_e64 v13, s0, 0, v13, s0
	v_cmp_le_u32_e32 vcc_lo, s22, v17
	s_delay_alu instid0(VALU_DEP_3) | instskip(SKIP_1) | instid1(VALU_DEP_4)
	v_cmp_eq_u32_e64 s0, s23, v7
	v_cndmask_b32_e64 v9, 0, -1, vcc_lo
	v_cmp_le_u32_e32 vcc_lo, s23, v13
	v_cndmask_b32_e64 v17, 0, -1, vcc_lo
	v_cmp_le_u32_e32 vcc_lo, s22, v11
	;; [unrolled: 2-line block ×3, first 2 shown]
	v_cndmask_b32_e64 v18, 0, -1, vcc_lo
	v_cmp_eq_u32_e32 vcc_lo, s23, v13
	s_delay_alu instid0(VALU_DEP_2) | instskip(SKIP_3) | instid1(VALU_DEP_3)
	v_cndmask_b32_e64 v7, v18, v11, s0
	v_cndmask_b32_e32 v9, v17, v9, vcc_lo
	v_add_co_u32 v13, vcc_lo, v3, 1
	v_add_co_ci_u32_e32 v17, vcc_lo, 0, v5, vcc_lo
	v_cmp_ne_u32_e32 vcc_lo, 0, v9
	s_delay_alu instid0(VALU_DEP_2) | instskip(NEXT) | instid1(VALU_DEP_4)
	v_cndmask_b32_e32 v9, v17, v16, vcc_lo
	v_cndmask_b32_e32 v11, v13, v15, vcc_lo
	v_cmp_ne_u32_e32 vcc_lo, 0, v7
	v_xor_b32_e32 v7, s20, v21
	s_delay_alu instid0(VALU_DEP_3) | instskip(SKIP_2) | instid1(VALU_DEP_3)
	v_cndmask_b32_e32 v3, v3, v11, vcc_lo
	v_cndmask_b32_e32 v5, v5, v9, vcc_lo
	v_xor_b32_e32 v9, s21, v21
	v_xor_b32_e32 v3, v3, v7
	s_delay_alu instid0(VALU_DEP_2) | instskip(NEXT) | instid1(VALU_DEP_2)
	v_xor_b32_e32 v5, v5, v9
	v_sub_co_u32 v16, vcc_lo, v3, v7
	s_delay_alu instid0(VALU_DEP_2)
	v_sub_co_ci_u32_e32 v17, vcc_lo, v5, v9, vcc_lo
.LBB76_42:                              ;   in Loop: Header=BB76_24 Depth=2
	s_and_not1_saveexec_b32 s0, s14
	s_cbranch_execz .LBB76_44
; %bb.43:                               ;   in Loop: Header=BB76_24 Depth=2
	v_cvt_f32_u32_e32 v3, s49
	s_sub_i32 s14, 0, s49
	v_mov_b32_e32 v17, v2
	s_delay_alu instid0(VALU_DEP_2) | instskip(SKIP_2) | instid1(VALU_DEP_1)
	v_rcp_iflag_f32_e32 v3, v3
	s_waitcnt_depctr 0xfff
	v_mul_f32_e32 v3, 0x4f7ffffe, v3
	v_cvt_u32_f32_e32 v3, v3
	s_delay_alu instid0(VALU_DEP_1) | instskip(NEXT) | instid1(VALU_DEP_1)
	v_mul_lo_u32 v5, s14, v3
	v_mul_hi_u32 v5, v3, v5
	s_delay_alu instid0(VALU_DEP_1) | instskip(NEXT) | instid1(VALU_DEP_1)
	v_add_nc_u32_e32 v3, v3, v5
	v_mul_hi_u32 v3, v14, v3
	s_delay_alu instid0(VALU_DEP_1) | instskip(SKIP_1) | instid1(VALU_DEP_2)
	v_mul_lo_u32 v5, v3, s49
	v_add_nc_u32_e32 v7, 1, v3
	v_sub_nc_u32_e32 v5, v14, v5
	s_delay_alu instid0(VALU_DEP_1) | instskip(SKIP_1) | instid1(VALU_DEP_4)
	v_cmp_le_u32_e32 vcc_lo, s49, v5
	v_subrev_nc_u32_e32 v9, s49, v5
	v_cndmask_b32_e32 v3, v3, v7, vcc_lo
	s_delay_alu instid0(VALU_DEP_1) | instskip(NEXT) | instid1(VALU_DEP_3)
	v_add_nc_u32_e32 v7, 1, v3
	v_cndmask_b32_e32 v5, v5, v9, vcc_lo
	s_delay_alu instid0(VALU_DEP_1) | instskip(NEXT) | instid1(VALU_DEP_3)
	v_cmp_le_u32_e32 vcc_lo, s49, v5
	v_cndmask_b32_e32 v16, v3, v7, vcc_lo
.LBB76_44:                              ;   in Loop: Header=BB76_24 Depth=2
	s_or_b32 exec_lo, exec_lo, s0
	s_add_u32 s20, s30, s18
	s_addc_u32 s21, s1, s19
	s_add_i32 s14, s16, 2
                                        ; implicit-def: $vgpr18_vgpr19
	s_delay_alu instid0(SALU_CYCLE_1)
	s_lshl_b64 s[18:19], s[14:15], 2
	s_mov_b32 s14, exec_lo
	s_add_u32 s22, s26, s18
	s_addc_u32 s23, s27, s19
	s_clause 0x1
	s_load_b32 s51, s[22:23], 0x0
	s_load_b32 s50, s[20:21], 0x0
	s_waitcnt lgkmcnt(0)
	s_ashr_i32 s0, s51, 31
	s_delay_alu instid0(SALU_CYCLE_1) | instskip(NEXT) | instid1(VALU_DEP_1)
	v_or_b32_e32 v3, s0, v17
	v_cmpx_ne_u64_e32 0, v[2:3]
	s_xor_b32 s14, exec_lo, s14
	s_cbranch_execz .LBB76_46
; %bb.45:                               ;   in Loop: Header=BB76_24 Depth=2
	s_add_u32 s22, s51, s0
	s_mov_b32 s20, s0
	s_mov_b32 s21, s0
	s_addc_u32 s23, s0, s0
	v_ashrrev_i32_e32 v23, 31, v17
	s_xor_b64 s[22:23], s[22:23], s[20:21]
	s_delay_alu instid0(SALU_CYCLE_1) | instskip(SKIP_3) | instid1(VALU_DEP_1)
	v_cvt_f32_u32_e32 v3, s22
	v_cvt_f32_u32_e32 v5, s23
	s_sub_u32 s0, 0, s22
	s_subb_u32 s17, 0, s23
	v_fmac_f32_e32 v3, 0x4f800000, v5
	s_delay_alu instid0(VALU_DEP_1) | instskip(SKIP_2) | instid1(VALU_DEP_1)
	v_rcp_f32_e32 v3, v3
	s_waitcnt_depctr 0xfff
	v_mul_f32_e32 v3, 0x5f7ffffc, v3
	v_mul_f32_e32 v5, 0x2f800000, v3
	s_delay_alu instid0(VALU_DEP_1) | instskip(NEXT) | instid1(VALU_DEP_1)
	v_trunc_f32_e32 v5, v5
	v_fmac_f32_e32 v3, 0xcf800000, v5
	v_cvt_u32_f32_e32 v5, v5
	s_delay_alu instid0(VALU_DEP_2) | instskip(NEXT) | instid1(VALU_DEP_2)
	v_cvt_u32_f32_e32 v3, v3
	v_mul_lo_u32 v7, s0, v5
	s_delay_alu instid0(VALU_DEP_2) | instskip(SKIP_1) | instid1(VALU_DEP_2)
	v_mul_hi_u32 v9, s0, v3
	v_mul_lo_u32 v11, s17, v3
	v_add_nc_u32_e32 v7, v9, v7
	v_mul_lo_u32 v9, s0, v3
	s_delay_alu instid0(VALU_DEP_2) | instskip(NEXT) | instid1(VALU_DEP_2)
	v_add_nc_u32_e32 v7, v7, v11
	v_mul_hi_u32 v11, v3, v9
	s_delay_alu instid0(VALU_DEP_2)
	v_mul_lo_u32 v13, v3, v7
	v_mul_hi_u32 v15, v3, v7
	v_mul_hi_u32 v18, v5, v9
	v_mul_lo_u32 v9, v5, v9
	v_mul_hi_u32 v19, v5, v7
	v_mul_lo_u32 v7, v5, v7
	v_add_co_u32 v11, vcc_lo, v11, v13
	v_add_co_ci_u32_e32 v13, vcc_lo, 0, v15, vcc_lo
	s_delay_alu instid0(VALU_DEP_2) | instskip(NEXT) | instid1(VALU_DEP_2)
	v_add_co_u32 v9, vcc_lo, v11, v9
	v_add_co_ci_u32_e32 v9, vcc_lo, v13, v18, vcc_lo
	v_add_co_ci_u32_e32 v11, vcc_lo, 0, v19, vcc_lo
	s_delay_alu instid0(VALU_DEP_2) | instskip(NEXT) | instid1(VALU_DEP_2)
	v_add_co_u32 v7, vcc_lo, v9, v7
	v_add_co_ci_u32_e32 v9, vcc_lo, 0, v11, vcc_lo
	s_delay_alu instid0(VALU_DEP_2) | instskip(NEXT) | instid1(VALU_DEP_2)
	v_add_co_u32 v3, vcc_lo, v3, v7
	v_add_co_ci_u32_e32 v5, vcc_lo, v5, v9, vcc_lo
	s_delay_alu instid0(VALU_DEP_2) | instskip(SKIP_1) | instid1(VALU_DEP_3)
	v_mul_hi_u32 v7, s0, v3
	v_mul_lo_u32 v11, s17, v3
	v_mul_lo_u32 v9, s0, v5
	s_delay_alu instid0(VALU_DEP_1) | instskip(SKIP_1) | instid1(VALU_DEP_2)
	v_add_nc_u32_e32 v7, v7, v9
	v_mul_lo_u32 v9, s0, v3
	v_add_nc_u32_e32 v7, v7, v11
	s_delay_alu instid0(VALU_DEP_2) | instskip(NEXT) | instid1(VALU_DEP_2)
	v_mul_hi_u32 v11, v3, v9
	v_mul_lo_u32 v13, v3, v7
	v_mul_hi_u32 v15, v3, v7
	v_mul_hi_u32 v18, v5, v9
	v_mul_lo_u32 v9, v5, v9
	v_mul_hi_u32 v19, v5, v7
	v_mul_lo_u32 v7, v5, v7
	v_add_co_u32 v11, vcc_lo, v11, v13
	v_add_co_ci_u32_e32 v13, vcc_lo, 0, v15, vcc_lo
	s_delay_alu instid0(VALU_DEP_2) | instskip(NEXT) | instid1(VALU_DEP_2)
	v_add_co_u32 v9, vcc_lo, v11, v9
	v_add_co_ci_u32_e32 v9, vcc_lo, v13, v18, vcc_lo
	v_add_co_ci_u32_e32 v11, vcc_lo, 0, v19, vcc_lo
	v_add_co_u32 v13, vcc_lo, v16, v23
	v_add_co_ci_u32_e32 v15, vcc_lo, v17, v23, vcc_lo
	s_delay_alu instid0(VALU_DEP_4) | instskip(NEXT) | instid1(VALU_DEP_4)
	v_add_co_u32 v7, vcc_lo, v9, v7
	v_add_co_ci_u32_e32 v9, vcc_lo, 0, v11, vcc_lo
	s_delay_alu instid0(VALU_DEP_4) | instskip(NEXT) | instid1(VALU_DEP_3)
	v_xor_b32_e32 v11, v13, v23
	v_add_co_u32 v3, vcc_lo, v3, v7
	s_delay_alu instid0(VALU_DEP_3) | instskip(SKIP_1) | instid1(VALU_DEP_3)
	v_add_co_ci_u32_e32 v5, vcc_lo, v5, v9, vcc_lo
	v_xor_b32_e32 v7, v15, v23
	v_mul_hi_u32 v9, v11, v3
	s_delay_alu instid0(VALU_DEP_3) | instskip(NEXT) | instid1(VALU_DEP_3)
	v_mad_u64_u32 v[17:18], null, v11, v5, 0
	v_mad_u64_u32 v[19:20], null, v7, v3, 0
	;; [unrolled: 1-line block ×3, first 2 shown]
	s_delay_alu instid0(VALU_DEP_3) | instskip(NEXT) | instid1(VALU_DEP_4)
	v_add_co_u32 v3, vcc_lo, v9, v17
	v_add_co_ci_u32_e32 v5, vcc_lo, 0, v18, vcc_lo
	s_delay_alu instid0(VALU_DEP_2) | instskip(NEXT) | instid1(VALU_DEP_2)
	v_add_co_u32 v3, vcc_lo, v3, v19
	v_add_co_ci_u32_e32 v3, vcc_lo, v5, v20, vcc_lo
	v_add_co_ci_u32_e32 v5, vcc_lo, 0, v22, vcc_lo
	s_delay_alu instid0(VALU_DEP_2) | instskip(NEXT) | instid1(VALU_DEP_2)
	v_add_co_u32 v3, vcc_lo, v3, v21
	v_add_co_ci_u32_e32 v5, vcc_lo, 0, v5, vcc_lo
	s_delay_alu instid0(VALU_DEP_2) | instskip(SKIP_1) | instid1(VALU_DEP_3)
	v_mul_lo_u32 v9, s23, v3
	v_mad_u64_u32 v[17:18], null, s22, v3, 0
	v_mul_lo_u32 v13, s22, v5
	s_delay_alu instid0(VALU_DEP_2) | instskip(NEXT) | instid1(VALU_DEP_2)
	v_sub_co_u32 v11, vcc_lo, v11, v17
	v_add3_u32 v9, v18, v13, v9
	s_delay_alu instid0(VALU_DEP_1) | instskip(NEXT) | instid1(VALU_DEP_1)
	v_sub_nc_u32_e32 v13, v7, v9
	v_subrev_co_ci_u32_e64 v13, s0, s23, v13, vcc_lo
	v_add_co_u32 v15, s0, v3, 2
	s_delay_alu instid0(VALU_DEP_1) | instskip(SKIP_3) | instid1(VALU_DEP_3)
	v_add_co_ci_u32_e64 v17, s0, 0, v5, s0
	v_sub_co_u32 v18, s0, v11, s22
	v_sub_co_ci_u32_e32 v7, vcc_lo, v7, v9, vcc_lo
	v_subrev_co_ci_u32_e64 v13, s0, 0, v13, s0
	v_cmp_le_u32_e32 vcc_lo, s22, v18
	s_delay_alu instid0(VALU_DEP_3) | instskip(SKIP_1) | instid1(VALU_DEP_4)
	v_cmp_eq_u32_e64 s0, s23, v7
	v_cndmask_b32_e64 v9, 0, -1, vcc_lo
	v_cmp_le_u32_e32 vcc_lo, s23, v13
	v_cndmask_b32_e64 v18, 0, -1, vcc_lo
	v_cmp_le_u32_e32 vcc_lo, s22, v11
	;; [unrolled: 2-line block ×3, first 2 shown]
	v_cndmask_b32_e64 v19, 0, -1, vcc_lo
	v_cmp_eq_u32_e32 vcc_lo, s23, v13
	s_delay_alu instid0(VALU_DEP_2) | instskip(SKIP_3) | instid1(VALU_DEP_3)
	v_cndmask_b32_e64 v7, v19, v11, s0
	v_cndmask_b32_e32 v9, v18, v9, vcc_lo
	v_add_co_u32 v13, vcc_lo, v3, 1
	v_add_co_ci_u32_e32 v18, vcc_lo, 0, v5, vcc_lo
	v_cmp_ne_u32_e32 vcc_lo, 0, v9
	s_delay_alu instid0(VALU_DEP_2) | instskip(NEXT) | instid1(VALU_DEP_4)
	v_cndmask_b32_e32 v9, v18, v17, vcc_lo
	v_cndmask_b32_e32 v11, v13, v15, vcc_lo
	v_cmp_ne_u32_e32 vcc_lo, 0, v7
	v_xor_b32_e32 v7, s20, v23
	s_delay_alu instid0(VALU_DEP_3) | instskip(SKIP_2) | instid1(VALU_DEP_3)
	v_cndmask_b32_e32 v3, v3, v11, vcc_lo
	v_cndmask_b32_e32 v5, v5, v9, vcc_lo
	v_xor_b32_e32 v9, s21, v23
	v_xor_b32_e32 v3, v3, v7
	s_delay_alu instid0(VALU_DEP_2) | instskip(NEXT) | instid1(VALU_DEP_2)
	v_xor_b32_e32 v5, v5, v9
	v_sub_co_u32 v18, vcc_lo, v3, v7
	s_delay_alu instid0(VALU_DEP_2)
	v_sub_co_ci_u32_e32 v19, vcc_lo, v5, v9, vcc_lo
.LBB76_46:                              ;   in Loop: Header=BB76_24 Depth=2
	s_and_not1_saveexec_b32 s0, s14
	s_cbranch_execz .LBB76_48
; %bb.47:                               ;   in Loop: Header=BB76_24 Depth=2
	v_cvt_f32_u32_e32 v3, s51
	s_sub_i32 s14, 0, s51
	v_mov_b32_e32 v19, v2
	s_delay_alu instid0(VALU_DEP_2) | instskip(SKIP_2) | instid1(VALU_DEP_1)
	v_rcp_iflag_f32_e32 v3, v3
	s_waitcnt_depctr 0xfff
	v_mul_f32_e32 v3, 0x4f7ffffe, v3
	v_cvt_u32_f32_e32 v3, v3
	s_delay_alu instid0(VALU_DEP_1) | instskip(NEXT) | instid1(VALU_DEP_1)
	v_mul_lo_u32 v5, s14, v3
	v_mul_hi_u32 v5, v3, v5
	s_delay_alu instid0(VALU_DEP_1) | instskip(NEXT) | instid1(VALU_DEP_1)
	v_add_nc_u32_e32 v3, v3, v5
	v_mul_hi_u32 v3, v16, v3
	s_delay_alu instid0(VALU_DEP_1) | instskip(SKIP_1) | instid1(VALU_DEP_2)
	v_mul_lo_u32 v5, v3, s51
	v_add_nc_u32_e32 v7, 1, v3
	v_sub_nc_u32_e32 v5, v16, v5
	s_delay_alu instid0(VALU_DEP_1) | instskip(SKIP_1) | instid1(VALU_DEP_4)
	v_cmp_le_u32_e32 vcc_lo, s51, v5
	v_subrev_nc_u32_e32 v9, s51, v5
	v_cndmask_b32_e32 v3, v3, v7, vcc_lo
	s_delay_alu instid0(VALU_DEP_1) | instskip(NEXT) | instid1(VALU_DEP_3)
	v_add_nc_u32_e32 v7, 1, v3
	v_cndmask_b32_e32 v5, v5, v9, vcc_lo
	s_delay_alu instid0(VALU_DEP_1) | instskip(NEXT) | instid1(VALU_DEP_3)
	v_cmp_le_u32_e32 vcc_lo, s51, v5
	v_cndmask_b32_e32 v18, v3, v7, vcc_lo
.LBB76_48:                              ;   in Loop: Header=BB76_24 Depth=2
	s_or_b32 exec_lo, exec_lo, s0
	s_add_u32 s20, s30, s18
	s_addc_u32 s21, s1, s19
	s_add_i32 s14, s16, 1
	s_mov_b32 s17, exec_lo
	s_lshl_b64 s[18:19], s[14:15], 2
                                        ; implicit-def: $vgpr20_vgpr21
	s_delay_alu instid0(SALU_CYCLE_1)
	s_add_u32 s22, s26, s18
	s_addc_u32 s23, s27, s19
	s_clause 0x1
	s_load_b32 s52, s[22:23], 0x0
	s_load_b32 s14, s[20:21], 0x0
	s_waitcnt lgkmcnt(0)
	s_ashr_i32 s0, s52, 31
	s_delay_alu instid0(SALU_CYCLE_1) | instskip(NEXT) | instid1(VALU_DEP_1)
	v_or_b32_e32 v3, s0, v19
	v_cmpx_ne_u64_e32 0, v[2:3]
	s_xor_b32 s17, exec_lo, s17
	s_cbranch_execz .LBB76_50
; %bb.49:                               ;   in Loop: Header=BB76_24 Depth=2
	s_add_u32 s22, s52, s0
	s_mov_b32 s20, s0
	s_mov_b32 s21, s0
	s_addc_u32 s23, s0, s0
	s_delay_alu instid0(SALU_CYCLE_1) | instskip(NEXT) | instid1(SALU_CYCLE_1)
	s_xor_b64 s[22:23], s[22:23], s[20:21]
	v_cvt_f32_u32_e32 v3, s22
	v_cvt_f32_u32_e32 v5, s23
	s_sub_u32 s0, 0, s22
	s_subb_u32 s53, 0, s23
	s_delay_alu instid0(VALU_DEP_1) | instskip(NEXT) | instid1(VALU_DEP_1)
	v_fmac_f32_e32 v3, 0x4f800000, v5
	v_rcp_f32_e32 v3, v3
	s_waitcnt_depctr 0xfff
	v_mul_f32_e32 v3, 0x5f7ffffc, v3
	s_delay_alu instid0(VALU_DEP_1) | instskip(NEXT) | instid1(VALU_DEP_1)
	v_mul_f32_e32 v5, 0x2f800000, v3
	v_trunc_f32_e32 v5, v5
	s_delay_alu instid0(VALU_DEP_1) | instskip(SKIP_1) | instid1(VALU_DEP_2)
	v_fmac_f32_e32 v3, 0xcf800000, v5
	v_cvt_u32_f32_e32 v5, v5
	v_cvt_u32_f32_e32 v3, v3
	s_delay_alu instid0(VALU_DEP_2) | instskip(NEXT) | instid1(VALU_DEP_2)
	v_mul_lo_u32 v7, s0, v5
	v_mul_hi_u32 v9, s0, v3
	v_mul_lo_u32 v11, s53, v3
	s_delay_alu instid0(VALU_DEP_2) | instskip(SKIP_1) | instid1(VALU_DEP_2)
	v_add_nc_u32_e32 v7, v9, v7
	v_mul_lo_u32 v9, s0, v3
	v_add_nc_u32_e32 v7, v7, v11
	s_delay_alu instid0(VALU_DEP_2) | instskip(NEXT) | instid1(VALU_DEP_2)
	v_mul_hi_u32 v11, v3, v9
	v_mul_lo_u32 v13, v3, v7
	v_mul_hi_u32 v15, v3, v7
	v_mul_hi_u32 v17, v5, v9
	v_mul_lo_u32 v9, v5, v9
	v_mul_hi_u32 v20, v5, v7
	v_mul_lo_u32 v7, v5, v7
	v_add_co_u32 v11, vcc_lo, v11, v13
	v_add_co_ci_u32_e32 v13, vcc_lo, 0, v15, vcc_lo
	s_delay_alu instid0(VALU_DEP_2) | instskip(NEXT) | instid1(VALU_DEP_2)
	v_add_co_u32 v9, vcc_lo, v11, v9
	v_add_co_ci_u32_e32 v9, vcc_lo, v13, v17, vcc_lo
	v_add_co_ci_u32_e32 v11, vcc_lo, 0, v20, vcc_lo
	v_ashrrev_i32_e32 v17, 31, v19
	s_delay_alu instid0(VALU_DEP_3) | instskip(NEXT) | instid1(VALU_DEP_3)
	v_add_co_u32 v7, vcc_lo, v9, v7
	v_add_co_ci_u32_e32 v9, vcc_lo, 0, v11, vcc_lo
	s_delay_alu instid0(VALU_DEP_2) | instskip(NEXT) | instid1(VALU_DEP_2)
	v_add_co_u32 v3, vcc_lo, v3, v7
	v_add_co_ci_u32_e32 v5, vcc_lo, v5, v9, vcc_lo
	s_delay_alu instid0(VALU_DEP_2) | instskip(SKIP_1) | instid1(VALU_DEP_3)
	v_mul_hi_u32 v7, s0, v3
	v_mul_lo_u32 v11, s53, v3
	v_mul_lo_u32 v9, s0, v5
	s_delay_alu instid0(VALU_DEP_1) | instskip(SKIP_1) | instid1(VALU_DEP_2)
	v_add_nc_u32_e32 v7, v7, v9
	v_mul_lo_u32 v9, s0, v3
	v_add_nc_u32_e32 v7, v7, v11
	s_delay_alu instid0(VALU_DEP_2) | instskip(NEXT) | instid1(VALU_DEP_2)
	v_mul_hi_u32 v11, v3, v9
	v_mul_lo_u32 v13, v3, v7
	v_mul_hi_u32 v15, v3, v7
	v_mul_hi_u32 v20, v5, v9
	v_mul_lo_u32 v9, v5, v9
	v_mul_hi_u32 v21, v5, v7
	v_mul_lo_u32 v7, v5, v7
	v_add_co_u32 v11, vcc_lo, v11, v13
	v_add_co_ci_u32_e32 v13, vcc_lo, 0, v15, vcc_lo
	s_delay_alu instid0(VALU_DEP_2) | instskip(NEXT) | instid1(VALU_DEP_2)
	v_add_co_u32 v9, vcc_lo, v11, v9
	v_add_co_ci_u32_e32 v9, vcc_lo, v13, v20, vcc_lo
	v_add_co_ci_u32_e32 v11, vcc_lo, 0, v21, vcc_lo
	v_add_co_u32 v13, vcc_lo, v18, v17
	v_add_co_ci_u32_e32 v15, vcc_lo, v19, v17, vcc_lo
	s_delay_alu instid0(VALU_DEP_4) | instskip(NEXT) | instid1(VALU_DEP_4)
	v_add_co_u32 v7, vcc_lo, v9, v7
	v_add_co_ci_u32_e32 v9, vcc_lo, 0, v11, vcc_lo
	s_delay_alu instid0(VALU_DEP_4) | instskip(NEXT) | instid1(VALU_DEP_3)
	v_xor_b32_e32 v11, v13, v17
	v_add_co_u32 v3, vcc_lo, v3, v7
	s_delay_alu instid0(VALU_DEP_3) | instskip(SKIP_1) | instid1(VALU_DEP_3)
	v_add_co_ci_u32_e32 v5, vcc_lo, v5, v9, vcc_lo
	v_xor_b32_e32 v7, v15, v17
	v_mul_hi_u32 v9, v11, v3
	s_delay_alu instid0(VALU_DEP_3) | instskip(NEXT) | instid1(VALU_DEP_3)
	v_mad_u64_u32 v[19:20], null, v11, v5, 0
	v_mad_u64_u32 v[21:22], null, v7, v3, 0
	;; [unrolled: 1-line block ×3, first 2 shown]
	s_delay_alu instid0(VALU_DEP_3) | instskip(NEXT) | instid1(VALU_DEP_4)
	v_add_co_u32 v3, vcc_lo, v9, v19
	v_add_co_ci_u32_e32 v5, vcc_lo, 0, v20, vcc_lo
	s_delay_alu instid0(VALU_DEP_2) | instskip(NEXT) | instid1(VALU_DEP_2)
	v_add_co_u32 v3, vcc_lo, v3, v21
	v_add_co_ci_u32_e32 v3, vcc_lo, v5, v22, vcc_lo
	v_add_co_ci_u32_e32 v5, vcc_lo, 0, v28, vcc_lo
	s_delay_alu instid0(VALU_DEP_2) | instskip(NEXT) | instid1(VALU_DEP_2)
	v_add_co_u32 v3, vcc_lo, v3, v27
	v_add_co_ci_u32_e32 v5, vcc_lo, 0, v5, vcc_lo
	s_delay_alu instid0(VALU_DEP_2) | instskip(SKIP_1) | instid1(VALU_DEP_3)
	v_mul_lo_u32 v9, s23, v3
	v_mad_u64_u32 v[19:20], null, s22, v3, 0
	v_mul_lo_u32 v13, s22, v5
	s_delay_alu instid0(VALU_DEP_2) | instskip(NEXT) | instid1(VALU_DEP_2)
	v_sub_co_u32 v11, vcc_lo, v11, v19
	v_add3_u32 v9, v20, v13, v9
	s_delay_alu instid0(VALU_DEP_1) | instskip(NEXT) | instid1(VALU_DEP_1)
	v_sub_nc_u32_e32 v13, v7, v9
	v_subrev_co_ci_u32_e64 v13, s0, s23, v13, vcc_lo
	v_add_co_u32 v15, s0, v3, 2
	s_delay_alu instid0(VALU_DEP_1) | instskip(SKIP_3) | instid1(VALU_DEP_3)
	v_add_co_ci_u32_e64 v19, s0, 0, v5, s0
	v_sub_co_u32 v20, s0, v11, s22
	v_sub_co_ci_u32_e32 v7, vcc_lo, v7, v9, vcc_lo
	v_subrev_co_ci_u32_e64 v13, s0, 0, v13, s0
	v_cmp_le_u32_e32 vcc_lo, s22, v20
	s_delay_alu instid0(VALU_DEP_3) | instskip(SKIP_1) | instid1(VALU_DEP_4)
	v_cmp_eq_u32_e64 s0, s23, v7
	v_cndmask_b32_e64 v9, 0, -1, vcc_lo
	v_cmp_le_u32_e32 vcc_lo, s23, v13
	v_cndmask_b32_e64 v20, 0, -1, vcc_lo
	v_cmp_le_u32_e32 vcc_lo, s22, v11
	;; [unrolled: 2-line block ×3, first 2 shown]
	v_cndmask_b32_e64 v21, 0, -1, vcc_lo
	v_cmp_eq_u32_e32 vcc_lo, s23, v13
	s_delay_alu instid0(VALU_DEP_2) | instskip(SKIP_3) | instid1(VALU_DEP_3)
	v_cndmask_b32_e64 v7, v21, v11, s0
	v_cndmask_b32_e32 v9, v20, v9, vcc_lo
	v_add_co_u32 v13, vcc_lo, v3, 1
	v_add_co_ci_u32_e32 v20, vcc_lo, 0, v5, vcc_lo
	v_cmp_ne_u32_e32 vcc_lo, 0, v9
	s_delay_alu instid0(VALU_DEP_2) | instskip(NEXT) | instid1(VALU_DEP_4)
	v_cndmask_b32_e32 v9, v20, v19, vcc_lo
	v_cndmask_b32_e32 v11, v13, v15, vcc_lo
	v_cmp_ne_u32_e32 vcc_lo, 0, v7
	v_xor_b32_e32 v7, s20, v17
	s_delay_alu instid0(VALU_DEP_3) | instskip(SKIP_2) | instid1(VALU_DEP_3)
	v_cndmask_b32_e32 v3, v3, v11, vcc_lo
	v_cndmask_b32_e32 v5, v5, v9, vcc_lo
	v_xor_b32_e32 v9, s21, v17
	v_xor_b32_e32 v3, v3, v7
	s_delay_alu instid0(VALU_DEP_2) | instskip(NEXT) | instid1(VALU_DEP_2)
	v_xor_b32_e32 v5, v5, v9
	v_sub_co_u32 v20, vcc_lo, v3, v7
	s_delay_alu instid0(VALU_DEP_2)
	v_sub_co_ci_u32_e32 v21, vcc_lo, v5, v9, vcc_lo
.LBB76_50:                              ;   in Loop: Header=BB76_24 Depth=2
	s_and_not1_saveexec_b32 s0, s17
	s_cbranch_execz .LBB76_52
; %bb.51:                               ;   in Loop: Header=BB76_24 Depth=2
	v_cvt_f32_u32_e32 v3, s52
	s_sub_i32 s17, 0, s52
	v_mov_b32_e32 v21, v2
	s_delay_alu instid0(VALU_DEP_2) | instskip(SKIP_2) | instid1(VALU_DEP_1)
	v_rcp_iflag_f32_e32 v3, v3
	s_waitcnt_depctr 0xfff
	v_mul_f32_e32 v3, 0x4f7ffffe, v3
	v_cvt_u32_f32_e32 v3, v3
	s_delay_alu instid0(VALU_DEP_1) | instskip(NEXT) | instid1(VALU_DEP_1)
	v_mul_lo_u32 v5, s17, v3
	v_mul_hi_u32 v5, v3, v5
	s_delay_alu instid0(VALU_DEP_1) | instskip(NEXT) | instid1(VALU_DEP_1)
	v_add_nc_u32_e32 v3, v3, v5
	v_mul_hi_u32 v3, v18, v3
	s_delay_alu instid0(VALU_DEP_1) | instskip(SKIP_1) | instid1(VALU_DEP_2)
	v_mul_lo_u32 v5, v3, s52
	v_add_nc_u32_e32 v7, 1, v3
	v_sub_nc_u32_e32 v5, v18, v5
	s_delay_alu instid0(VALU_DEP_1) | instskip(SKIP_1) | instid1(VALU_DEP_4)
	v_cmp_le_u32_e32 vcc_lo, s52, v5
	v_subrev_nc_u32_e32 v9, s52, v5
	v_cndmask_b32_e32 v3, v3, v7, vcc_lo
	s_delay_alu instid0(VALU_DEP_1) | instskip(NEXT) | instid1(VALU_DEP_3)
	v_add_nc_u32_e32 v7, 1, v3
	v_cndmask_b32_e32 v5, v5, v9, vcc_lo
	s_delay_alu instid0(VALU_DEP_1) | instskip(NEXT) | instid1(VALU_DEP_3)
	v_cmp_le_u32_e32 vcc_lo, s52, v5
	v_cndmask_b32_e32 v20, v3, v7, vcc_lo
.LBB76_52:                              ;   in Loop: Header=BB76_24 Depth=2
	s_or_b32 exec_lo, exec_lo, s0
	s_mov_b32 s17, s15
	s_add_u32 s20, s30, s18
	s_addc_u32 s21, s1, s19
	s_lshl_b64 s[18:19], s[16:17], 2
                                        ; implicit-def: $vgpr22_vgpr23
	s_delay_alu instid0(SALU_CYCLE_1)
	s_add_u32 s22, s26, s18
	s_addc_u32 s23, s27, s19
	s_clause 0x1
	s_load_b32 s53, s[22:23], 0x0
	s_load_b32 s17, s[20:21], 0x0
	s_mov_b32 s20, exec_lo
	s_waitcnt lgkmcnt(0)
	s_ashr_i32 s0, s53, 31
	s_delay_alu instid0(SALU_CYCLE_1) | instskip(NEXT) | instid1(VALU_DEP_1)
	v_or_b32_e32 v3, s0, v21
	v_cmpx_ne_u64_e32 0, v[2:3]
	s_xor_b32 s54, exec_lo, s20
	s_cbranch_execz .LBB76_54
; %bb.53:                               ;   in Loop: Header=BB76_24 Depth=2
	s_add_u32 s22, s53, s0
	s_mov_b32 s20, s0
	s_mov_b32 s21, s0
	s_addc_u32 s23, s0, s0
	s_delay_alu instid0(SALU_CYCLE_1) | instskip(NEXT) | instid1(SALU_CYCLE_1)
	s_xor_b64 s[22:23], s[22:23], s[20:21]
	v_cvt_f32_u32_e32 v3, s22
	v_cvt_f32_u32_e32 v5, s23
	s_sub_u32 s0, 0, s22
	s_subb_u32 s55, 0, s23
	s_delay_alu instid0(VALU_DEP_1) | instskip(NEXT) | instid1(VALU_DEP_1)
	v_fmac_f32_e32 v3, 0x4f800000, v5
	v_rcp_f32_e32 v3, v3
	s_waitcnt_depctr 0xfff
	v_mul_f32_e32 v3, 0x5f7ffffc, v3
	s_delay_alu instid0(VALU_DEP_1) | instskip(NEXT) | instid1(VALU_DEP_1)
	v_mul_f32_e32 v5, 0x2f800000, v3
	v_trunc_f32_e32 v5, v5
	s_delay_alu instid0(VALU_DEP_1) | instskip(SKIP_1) | instid1(VALU_DEP_2)
	v_fmac_f32_e32 v3, 0xcf800000, v5
	v_cvt_u32_f32_e32 v5, v5
	v_cvt_u32_f32_e32 v3, v3
	s_delay_alu instid0(VALU_DEP_2) | instskip(NEXT) | instid1(VALU_DEP_2)
	v_mul_lo_u32 v7, s0, v5
	v_mul_hi_u32 v9, s0, v3
	v_mul_lo_u32 v11, s55, v3
	s_delay_alu instid0(VALU_DEP_2) | instskip(SKIP_1) | instid1(VALU_DEP_2)
	v_add_nc_u32_e32 v7, v9, v7
	v_mul_lo_u32 v9, s0, v3
	v_add_nc_u32_e32 v7, v7, v11
	s_delay_alu instid0(VALU_DEP_2) | instskip(NEXT) | instid1(VALU_DEP_2)
	v_mul_hi_u32 v11, v3, v9
	v_mul_lo_u32 v13, v3, v7
	v_mul_hi_u32 v15, v3, v7
	v_mul_hi_u32 v17, v5, v9
	v_mul_lo_u32 v9, v5, v9
	v_mul_hi_u32 v19, v5, v7
	v_mul_lo_u32 v7, v5, v7
	v_add_co_u32 v11, vcc_lo, v11, v13
	v_add_co_ci_u32_e32 v13, vcc_lo, 0, v15, vcc_lo
	s_delay_alu instid0(VALU_DEP_2) | instskip(NEXT) | instid1(VALU_DEP_2)
	v_add_co_u32 v9, vcc_lo, v11, v9
	v_add_co_ci_u32_e32 v9, vcc_lo, v13, v17, vcc_lo
	v_add_co_ci_u32_e32 v11, vcc_lo, 0, v19, vcc_lo
	v_ashrrev_i32_e32 v17, 31, v21
	s_delay_alu instid0(VALU_DEP_3) | instskip(NEXT) | instid1(VALU_DEP_3)
	v_add_co_u32 v7, vcc_lo, v9, v7
	v_add_co_ci_u32_e32 v9, vcc_lo, 0, v11, vcc_lo
	s_delay_alu instid0(VALU_DEP_2) | instskip(NEXT) | instid1(VALU_DEP_2)
	v_add_co_u32 v3, vcc_lo, v3, v7
	v_add_co_ci_u32_e32 v5, vcc_lo, v5, v9, vcc_lo
	s_delay_alu instid0(VALU_DEP_2) | instskip(SKIP_1) | instid1(VALU_DEP_3)
	v_mul_hi_u32 v7, s0, v3
	v_mul_lo_u32 v11, s55, v3
	v_mul_lo_u32 v9, s0, v5
	s_delay_alu instid0(VALU_DEP_1) | instskip(SKIP_1) | instid1(VALU_DEP_2)
	v_add_nc_u32_e32 v7, v7, v9
	v_mul_lo_u32 v9, s0, v3
	v_add_nc_u32_e32 v7, v7, v11
	s_delay_alu instid0(VALU_DEP_2) | instskip(NEXT) | instid1(VALU_DEP_2)
	v_mul_hi_u32 v11, v3, v9
	v_mul_lo_u32 v13, v3, v7
	v_mul_hi_u32 v15, v3, v7
	v_mul_hi_u32 v19, v5, v9
	v_mul_lo_u32 v9, v5, v9
	v_mul_hi_u32 v22, v5, v7
	v_mul_lo_u32 v7, v5, v7
	v_add_co_u32 v11, vcc_lo, v11, v13
	v_add_co_ci_u32_e32 v13, vcc_lo, 0, v15, vcc_lo
	s_delay_alu instid0(VALU_DEP_2) | instskip(NEXT) | instid1(VALU_DEP_2)
	v_add_co_u32 v9, vcc_lo, v11, v9
	v_add_co_ci_u32_e32 v9, vcc_lo, v13, v19, vcc_lo
	v_add_co_ci_u32_e32 v11, vcc_lo, 0, v22, vcc_lo
	v_add_co_u32 v13, vcc_lo, v20, v17
	v_add_co_ci_u32_e32 v15, vcc_lo, v21, v17, vcc_lo
	s_delay_alu instid0(VALU_DEP_4) | instskip(NEXT) | instid1(VALU_DEP_4)
	v_add_co_u32 v7, vcc_lo, v9, v7
	v_add_co_ci_u32_e32 v9, vcc_lo, 0, v11, vcc_lo
	s_delay_alu instid0(VALU_DEP_4) | instskip(NEXT) | instid1(VALU_DEP_3)
	v_xor_b32_e32 v11, v13, v17
	v_add_co_u32 v3, vcc_lo, v3, v7
	s_delay_alu instid0(VALU_DEP_3) | instskip(SKIP_1) | instid1(VALU_DEP_3)
	v_add_co_ci_u32_e32 v5, vcc_lo, v5, v9, vcc_lo
	v_xor_b32_e32 v7, v15, v17
	v_mul_hi_u32 v9, v11, v3
	s_delay_alu instid0(VALU_DEP_3) | instskip(NEXT) | instid1(VALU_DEP_3)
	v_mad_u64_u32 v[21:22], null, v11, v5, 0
	v_mad_u64_u32 v[27:28], null, v7, v3, 0
	;; [unrolled: 1-line block ×3, first 2 shown]
	s_delay_alu instid0(VALU_DEP_3) | instskip(NEXT) | instid1(VALU_DEP_4)
	v_add_co_u32 v3, vcc_lo, v9, v21
	v_add_co_ci_u32_e32 v5, vcc_lo, 0, v22, vcc_lo
	s_delay_alu instid0(VALU_DEP_2) | instskip(NEXT) | instid1(VALU_DEP_2)
	v_add_co_u32 v3, vcc_lo, v3, v27
	v_add_co_ci_u32_e32 v3, vcc_lo, v5, v28, vcc_lo
	v_add_co_ci_u32_e32 v5, vcc_lo, 0, v30, vcc_lo
	s_delay_alu instid0(VALU_DEP_2) | instskip(NEXT) | instid1(VALU_DEP_2)
	v_add_co_u32 v3, vcc_lo, v3, v29
	v_add_co_ci_u32_e32 v5, vcc_lo, 0, v5, vcc_lo
	s_delay_alu instid0(VALU_DEP_2) | instskip(SKIP_1) | instid1(VALU_DEP_3)
	v_mul_lo_u32 v9, s23, v3
	v_mad_u64_u32 v[21:22], null, s22, v3, 0
	v_mul_lo_u32 v13, s22, v5
	s_delay_alu instid0(VALU_DEP_2) | instskip(NEXT) | instid1(VALU_DEP_2)
	v_sub_co_u32 v11, vcc_lo, v11, v21
	v_add3_u32 v9, v22, v13, v9
	s_delay_alu instid0(VALU_DEP_1) | instskip(NEXT) | instid1(VALU_DEP_1)
	v_sub_nc_u32_e32 v13, v7, v9
	v_subrev_co_ci_u32_e64 v13, s0, s23, v13, vcc_lo
	v_add_co_u32 v15, s0, v3, 2
	s_delay_alu instid0(VALU_DEP_1) | instskip(SKIP_3) | instid1(VALU_DEP_3)
	v_add_co_ci_u32_e64 v19, s0, 0, v5, s0
	v_sub_co_u32 v21, s0, v11, s22
	v_sub_co_ci_u32_e32 v7, vcc_lo, v7, v9, vcc_lo
	v_subrev_co_ci_u32_e64 v13, s0, 0, v13, s0
	v_cmp_le_u32_e32 vcc_lo, s22, v21
	s_delay_alu instid0(VALU_DEP_3) | instskip(SKIP_1) | instid1(VALU_DEP_4)
	v_cmp_eq_u32_e64 s0, s23, v7
	v_cndmask_b32_e64 v9, 0, -1, vcc_lo
	v_cmp_le_u32_e32 vcc_lo, s23, v13
	v_cndmask_b32_e64 v21, 0, -1, vcc_lo
	v_cmp_le_u32_e32 vcc_lo, s22, v11
	;; [unrolled: 2-line block ×3, first 2 shown]
	v_cndmask_b32_e64 v22, 0, -1, vcc_lo
	v_cmp_eq_u32_e32 vcc_lo, s23, v13
	s_delay_alu instid0(VALU_DEP_2) | instskip(SKIP_3) | instid1(VALU_DEP_3)
	v_cndmask_b32_e64 v7, v22, v11, s0
	v_cndmask_b32_e32 v9, v21, v9, vcc_lo
	v_add_co_u32 v13, vcc_lo, v3, 1
	v_add_co_ci_u32_e32 v21, vcc_lo, 0, v5, vcc_lo
	v_cmp_ne_u32_e32 vcc_lo, 0, v9
	s_delay_alu instid0(VALU_DEP_2) | instskip(NEXT) | instid1(VALU_DEP_4)
	v_cndmask_b32_e32 v9, v21, v19, vcc_lo
	v_cndmask_b32_e32 v11, v13, v15, vcc_lo
	v_cmp_ne_u32_e32 vcc_lo, 0, v7
	v_xor_b32_e32 v7, s20, v17
	s_delay_alu instid0(VALU_DEP_3) | instskip(SKIP_2) | instid1(VALU_DEP_3)
	v_cndmask_b32_e32 v3, v3, v11, vcc_lo
	v_cndmask_b32_e32 v5, v5, v9, vcc_lo
	v_xor_b32_e32 v9, s21, v17
	v_xor_b32_e32 v3, v3, v7
	s_delay_alu instid0(VALU_DEP_2) | instskip(NEXT) | instid1(VALU_DEP_2)
	v_xor_b32_e32 v5, v5, v9
	v_sub_co_u32 v22, vcc_lo, v3, v7
	s_delay_alu instid0(VALU_DEP_2)
	v_sub_co_ci_u32_e32 v23, vcc_lo, v5, v9, vcc_lo
.LBB76_54:                              ;   in Loop: Header=BB76_24 Depth=2
	s_and_not1_saveexec_b32 s0, s54
	s_cbranch_execz .LBB76_56
; %bb.55:                               ;   in Loop: Header=BB76_24 Depth=2
	v_cvt_f32_u32_e32 v3, s53
	s_sub_i32 s20, 0, s53
	v_mov_b32_e32 v23, v2
	s_delay_alu instid0(VALU_DEP_2) | instskip(SKIP_2) | instid1(VALU_DEP_1)
	v_rcp_iflag_f32_e32 v3, v3
	s_waitcnt_depctr 0xfff
	v_mul_f32_e32 v3, 0x4f7ffffe, v3
	v_cvt_u32_f32_e32 v3, v3
	s_delay_alu instid0(VALU_DEP_1) | instskip(NEXT) | instid1(VALU_DEP_1)
	v_mul_lo_u32 v5, s20, v3
	v_mul_hi_u32 v5, v3, v5
	s_delay_alu instid0(VALU_DEP_1) | instskip(NEXT) | instid1(VALU_DEP_1)
	v_add_nc_u32_e32 v3, v3, v5
	v_mul_hi_u32 v3, v20, v3
	s_delay_alu instid0(VALU_DEP_1) | instskip(SKIP_1) | instid1(VALU_DEP_2)
	v_mul_lo_u32 v5, v3, s53
	v_add_nc_u32_e32 v7, 1, v3
	v_sub_nc_u32_e32 v5, v20, v5
	s_delay_alu instid0(VALU_DEP_1) | instskip(SKIP_1) | instid1(VALU_DEP_4)
	v_cmp_le_u32_e32 vcc_lo, s53, v5
	v_subrev_nc_u32_e32 v9, s53, v5
	v_cndmask_b32_e32 v3, v3, v7, vcc_lo
	s_delay_alu instid0(VALU_DEP_1) | instskip(NEXT) | instid1(VALU_DEP_3)
	v_add_nc_u32_e32 v7, 1, v3
	v_cndmask_b32_e32 v5, v5, v9, vcc_lo
	s_delay_alu instid0(VALU_DEP_1) | instskip(NEXT) | instid1(VALU_DEP_3)
	v_cmp_le_u32_e32 vcc_lo, s53, v5
	v_cndmask_b32_e32 v22, v3, v7, vcc_lo
.LBB76_56:                              ;   in Loop: Header=BB76_24 Depth=2
	s_or_b32 exec_lo, exec_lo, s0
	v_mul_lo_u32 v3, v8, s41
	v_mul_lo_u32 v5, v10, s43
	;; [unrolled: 1-line block ×4, first 2 shown]
	s_add_u32 s18, s30, s18
	s_addc_u32 s19, s1, s19
	v_mul_lo_u32 v11, v16, s49
	s_load_b32 s0, s[18:19], 0x0
	v_sub_nc_u32_e32 v3, v6, v3
	v_sub_nc_u32_e32 v5, v8, v5
	v_mul_lo_u32 v6, v18, s51
	v_sub_nc_u32_e32 v7, v10, v7
	v_sub_nc_u32_e32 v9, v12, v9
	v_mul_lo_u32 v3, s42, v3
	v_mul_lo_u32 v5, s44, v5
	;; [unrolled: 1-line block ×4, first 2 shown]
	v_sub_nc_u32_e32 v11, v14, v11
	v_sub_nc_u32_e32 v6, v16, v6
	v_mul_lo_u32 v7, s46, v7
	v_mul_lo_u32 v9, s48, v9
	s_add_i32 s16, s16, -8
	v_add3_u32 v3, v3, v4, v5
	v_mul_lo_u32 v4, s50, v11
	v_sub_nc_u32_e32 v5, v18, v8
	v_sub_nc_u32_e32 v8, v20, v10
	v_mul_lo_u32 v6, s14, v6
	s_cmp_eq_u32 s16, -8
	v_add3_u32 v3, v7, v3, v9
	v_mul_lo_u32 v5, s17, v5
	s_waitcnt lgkmcnt(0)
	v_mul_lo_u32 v7, s0, v8
	s_delay_alu instid0(VALU_DEP_3) | instskip(NEXT) | instid1(VALU_DEP_1)
	v_add3_u32 v3, v4, v3, v6
	v_add3_u32 v4, v5, v3, v7
	s_cbranch_scc1 .LBB76_58
; %bb.57:                               ;   in Loop: Header=BB76_24 Depth=2
	v_dual_mov_b32 v6, v22 :: v_dual_mov_b32 v7, v23
	s_branch .LBB76_24
.LBB76_58:                              ;   in Loop: Header=BB76_3 Depth=1
	s_load_b32 s0, s[12:13], 0x0
	s_waitcnt lgkmcnt(0)
	v_cmp_gt_i32_e32 vcc_lo, s0, v26
	s_and_b32 exec_lo, exec_lo, vcc_lo
	s_cbranch_execz .LBB76_2
; %bb.59:                               ;   in Loop: Header=BB76_3 Depth=1
	s_delay_alu instid0(VALU_DEP_2) | instskip(SKIP_1) | instid1(VALU_DEP_2)
	v_ashrrev_i32_e32 v5, 31, v4
	v_add_nc_u32_e32 v3, 1, v26
	v_lshlrev_b64 v[5:6], 2, v[4:5]
	s_delay_alu instid0(VALU_DEP_1) | instskip(NEXT) | instid1(VALU_DEP_2)
	v_add_co_u32 v5, vcc_lo, s2, v5
	v_add_co_ci_u32_e32 v6, vcc_lo, s3, v6, vcc_lo
	s_delay_alu instid0(VALU_DEP_4)
	v_cmp_gt_i32_e32 vcc_lo, s0, v3
	global_store_b32 v[5:6], v2, off
	s_and_b32 exec_lo, exec_lo, vcc_lo
	s_cbranch_execz .LBB76_2
; %bb.60:                               ;   in Loop: Header=BB76_3 Depth=1
	v_sub_nc_u32_e32 v5, v3, v25
	s_delay_alu instid0(VALU_DEP_1) | instskip(NEXT) | instid1(VALU_DEP_1)
	v_ashrrev_i32_e32 v6, 31, v5
	v_cmp_gt_i64_e32 vcc_lo, s[4:5], v[5:6]
	s_and_b32 exec_lo, exec_lo, vcc_lo
	s_cbranch_execz .LBB76_2
; %bb.61:                               ;   in Loop: Header=BB76_3 Depth=1
	v_add_nc_u32_e32 v3, s40, v4
	s_delay_alu instid0(VALU_DEP_1) | instskip(NEXT) | instid1(VALU_DEP_1)
	v_ashrrev_i32_e32 v4, 31, v3
	v_lshlrev_b64 v[3:4], 2, v[3:4]
	s_delay_alu instid0(VALU_DEP_1) | instskip(NEXT) | instid1(VALU_DEP_2)
	v_add_co_u32 v3, vcc_lo, s2, v3
	v_add_co_ci_u32_e32 v4, vcc_lo, s3, v4, vcc_lo
	global_store_b32 v[3:4], v2, off
	s_branch .LBB76_2
.LBB76_62:
	s_nop 0
	s_sendmsg sendmsg(MSG_DEALLOC_VGPRS)
	s_endpgm
	.section	.rodata,"a",@progbits
	.p2align	6, 0x0
	.amdhsa_kernel _ZN2at6native16triu_tril_kernelIfiLb1ELi2ELb1EEEvNS_4cuda6detail10TensorInfoIT_T0_EENS4_IKS5_S6_EEllS6_
		.amdhsa_group_segment_fixed_size 0
		.amdhsa_private_segment_fixed_size 0
		.amdhsa_kernarg_size 712
		.amdhsa_user_sgpr_count 15
		.amdhsa_user_sgpr_dispatch_ptr 0
		.amdhsa_user_sgpr_queue_ptr 0
		.amdhsa_user_sgpr_kernarg_segment_ptr 1
		.amdhsa_user_sgpr_dispatch_id 0
		.amdhsa_user_sgpr_private_segment_size 0
		.amdhsa_wavefront_size32 1
		.amdhsa_uses_dynamic_stack 0
		.amdhsa_enable_private_segment 0
		.amdhsa_system_sgpr_workgroup_id_x 1
		.amdhsa_system_sgpr_workgroup_id_y 0
		.amdhsa_system_sgpr_workgroup_id_z 0
		.amdhsa_system_sgpr_workgroup_info 0
		.amdhsa_system_vgpr_workitem_id 0
		.amdhsa_next_free_vgpr 31
		.amdhsa_next_free_sgpr 56
		.amdhsa_reserve_vcc 1
		.amdhsa_float_round_mode_32 0
		.amdhsa_float_round_mode_16_64 0
		.amdhsa_float_denorm_mode_32 3
		.amdhsa_float_denorm_mode_16_64 3
		.amdhsa_dx10_clamp 1
		.amdhsa_ieee_mode 1
		.amdhsa_fp16_overflow 0
		.amdhsa_workgroup_processor_mode 1
		.amdhsa_memory_ordered 1
		.amdhsa_forward_progress 0
		.amdhsa_shared_vgpr_count 0
		.amdhsa_exception_fp_ieee_invalid_op 0
		.amdhsa_exception_fp_denorm_src 0
		.amdhsa_exception_fp_ieee_div_zero 0
		.amdhsa_exception_fp_ieee_overflow 0
		.amdhsa_exception_fp_ieee_underflow 0
		.amdhsa_exception_fp_ieee_inexact 0
		.amdhsa_exception_int_div_zero 0
	.end_amdhsa_kernel
	.section	.text._ZN2at6native16triu_tril_kernelIfiLb1ELi2ELb1EEEvNS_4cuda6detail10TensorInfoIT_T0_EENS4_IKS5_S6_EEllS6_,"axG",@progbits,_ZN2at6native16triu_tril_kernelIfiLb1ELi2ELb1EEEvNS_4cuda6detail10TensorInfoIT_T0_EENS4_IKS5_S6_EEllS6_,comdat
.Lfunc_end76:
	.size	_ZN2at6native16triu_tril_kernelIfiLb1ELi2ELb1EEEvNS_4cuda6detail10TensorInfoIT_T0_EENS4_IKS5_S6_EEllS6_, .Lfunc_end76-_ZN2at6native16triu_tril_kernelIfiLb1ELi2ELb1EEEvNS_4cuda6detail10TensorInfoIT_T0_EENS4_IKS5_S6_EEllS6_
                                        ; -- End function
	.section	.AMDGPU.csdata,"",@progbits
; Kernel info:
; codeLenInByte = 12380
; NumSgprs: 58
; NumVgprs: 31
; ScratchSize: 0
; MemoryBound: 0
; FloatMode: 240
; IeeeMode: 1
; LDSByteSize: 0 bytes/workgroup (compile time only)
; SGPRBlocks: 7
; VGPRBlocks: 3
; NumSGPRsForWavesPerEU: 58
; NumVGPRsForWavesPerEU: 31
; Occupancy: 16
; WaveLimiterHint : 0
; COMPUTE_PGM_RSRC2:SCRATCH_EN: 0
; COMPUTE_PGM_RSRC2:USER_SGPR: 15
; COMPUTE_PGM_RSRC2:TRAP_HANDLER: 0
; COMPUTE_PGM_RSRC2:TGID_X_EN: 1
; COMPUTE_PGM_RSRC2:TGID_Y_EN: 0
; COMPUTE_PGM_RSRC2:TGID_Z_EN: 0
; COMPUTE_PGM_RSRC2:TIDIG_COMP_CNT: 0
	.section	.text._ZN2at6native16triu_tril_kernelIfiLb1ELi2ELb0EEEvNS_4cuda6detail10TensorInfoIT_T0_EENS4_IKS5_S6_EEllS6_,"axG",@progbits,_ZN2at6native16triu_tril_kernelIfiLb1ELi2ELb0EEEvNS_4cuda6detail10TensorInfoIT_T0_EENS4_IKS5_S6_EEllS6_,comdat
	.protected	_ZN2at6native16triu_tril_kernelIfiLb1ELi2ELb0EEEvNS_4cuda6detail10TensorInfoIT_T0_EENS4_IKS5_S6_EEllS6_ ; -- Begin function _ZN2at6native16triu_tril_kernelIfiLb1ELi2ELb0EEEvNS_4cuda6detail10TensorInfoIT_T0_EENS4_IKS5_S6_EEllS6_
	.globl	_ZN2at6native16triu_tril_kernelIfiLb1ELi2ELb0EEEvNS_4cuda6detail10TensorInfoIT_T0_EENS4_IKS5_S6_EEllS6_
	.p2align	8
	.type	_ZN2at6native16triu_tril_kernelIfiLb1ELi2ELb0EEEvNS_4cuda6detail10TensorInfoIT_T0_EENS4_IKS5_S6_EEllS6_,@function
_ZN2at6native16triu_tril_kernelIfiLb1ELi2ELb0EEEvNS_4cuda6detail10TensorInfoIT_T0_EENS4_IKS5_S6_EEllS6_: ; @_ZN2at6native16triu_tril_kernelIfiLb1ELi2ELb0EEEvNS_4cuda6detail10TensorInfoIT_T0_EENS4_IKS5_S6_EEllS6_
; %bb.0:
	s_clause 0x1
	s_load_b32 s2, s[0:1], 0x1d4
	s_load_b128 s[4:7], s[0:1], 0x1b0
	v_mov_b32_e32 v2, 0
	s_add_u32 s8, s0, 0x1c8
	s_addc_u32 s9, s1, 0
	s_delay_alu instid0(VALU_DEP_1) | instskip(SKIP_3) | instid1(VALU_DEP_1)
	v_mov_b32_e32 v1, v2
	s_waitcnt lgkmcnt(0)
	s_and_b32 s10, s2, 0xffff
	s_mov_b32 s2, exec_lo
	v_mad_u64_u32 v[3:4], null, s10, s15, v[0:1]
	s_delay_alu instid0(VALU_DEP_1) | instskip(NEXT) | instid1(VALU_DEP_1)
	v_lshlrev_b64 v[0:1], 1, v[3:4]
	v_cmpx_gt_i64_e64 s[6:7], v[0:1]
	s_cbranch_execz .LBB77_49
; %bb.1:
	s_clause 0x1
	s_load_b32 s16, s[0:1], 0x1a8
	s_load_b32 s30, s[0:1], 0x1c0
	s_add_u32 s31, s0, 0xd8
	s_addc_u32 s33, s1, 0
	s_load_b32 s11, s[8:9], 0x0
	s_load_b64 s[2:3], s[0:1], 0xd8
	s_waitcnt lgkmcnt(0)
	s_ashr_i32 s17, s16, 31
	s_ashr_i32 s34, s30, 31
	s_lshl_b64 s[8:9], s[16:17], 2
	v_cvt_f32_u32_e32 v3, s30
	s_add_u32 s14, s8, -8
	s_addc_u32 s15, s9, -1
	s_add_u32 s12, s31, s14
	s_addc_u32 s13, s33, s15
	v_rcp_iflag_f32_e32 v3, v3
	s_load_b64 s[8:9], s[12:13], 0x8
	s_mul_i32 s18, s11, s10
	s_load_b64 s[10:11], s[12:13], 0x6c
	s_waitcnt_depctr 0xfff
	v_mul_f32_e32 v3, 0x4f7ffffe, v3
	s_delay_alu instid0(VALU_DEP_1)
	v_cvt_u32_f32_e32 v3, v3
	s_waitcnt lgkmcnt(0)
	s_ashr_i32 s35, s8, 31
	s_add_u32 s36, s0, 0x6c
	s_addc_u32 s37, s1, 0
	s_add_u32 s12, s36, s14
	s_addc_u32 s13, s37, s15
	s_and_b32 s39, s16, 3
	s_add_i32 s38, s16, -3
	s_lshl_b32 s40, s18, 1
	s_cmp_lg_u32 s39, 2
	s_load_b64 s[12:13], s[12:13], 0x0
	s_cselect_b32 s41, -1, 0
	s_cmp_gt_u32 s38, 2
	s_mov_b32 s18, s11
	s_cselect_b32 s42, -1, 0
	s_sub_i32 s14, 0, s30
	s_ashr_i32 s19, s11, 31
	v_mul_lo_u32 v4, s14, v3
	s_load_b64 s[14:15], s[0:1], 0x0
	v_cmp_gt_i64_e64 s1, s[16:17], 2
	s_mov_b32 s17, 0
	s_mov_b32 s11, 0
	s_delay_alu instid0(VALU_DEP_2) | instskip(SKIP_3) | instid1(VALU_DEP_1)
	v_mul_hi_u32 v4, v3, v4
	s_waitcnt lgkmcnt(0)
	s_ashr_i32 s21, s13, 31
	s_mov_b32 s20, s13
	v_add_nc_u32_e32 v18, v3, v4
	s_branch .LBB77_3
.LBB77_2:                               ;   in Loop: Header=BB77_3 Depth=1
	s_or_b32 exec_lo, exec_lo, s0
	v_add_co_u32 v0, vcc_lo, v0, s40
	v_add_co_ci_u32_e32 v1, vcc_lo, 0, v1, vcc_lo
	s_delay_alu instid0(VALU_DEP_1) | instskip(SKIP_1) | instid1(SALU_CYCLE_1)
	v_cmp_le_i64_e32 vcc_lo, s[6:7], v[0:1]
	s_or_b32 s11, vcc_lo, s11
	s_and_not1_b32 exec_lo, exec_lo, s11
	s_cbranch_execz .LBB77_49
.LBB77_3:                               ; =>This Loop Header: Depth=1
                                        ;     Child Loop BB77_14 Depth 2
                                        ;     Child Loop BB77_22 Depth 2
	v_or_b32_e32 v3, s34, v1
                                        ; implicit-def: $vgpr4_vgpr5
	s_mov_b32 s0, exec_lo
	s_delay_alu instid0(VALU_DEP_1)
	v_cmpx_ne_u64_e32 0, v[2:3]
	s_xor_b32 s13, exec_lo, s0
	s_cbranch_execz .LBB77_5
; %bb.4:                                ;   in Loop: Header=BB77_3 Depth=1
	s_add_u32 s24, s30, s34
	s_mov_b32 s22, s34
	s_mov_b32 s23, s34
	s_addc_u32 s25, s34, s34
	s_delay_alu instid0(SALU_CYCLE_1) | instskip(NEXT) | instid1(SALU_CYCLE_1)
	s_xor_b64 s[24:25], s[24:25], s[22:23]
	v_cvt_f32_u32_e32 v3, s24
	v_cvt_f32_u32_e32 v4, s25
	s_sub_u32 s0, 0, s24
	s_subb_u32 s16, 0, s25
	s_delay_alu instid0(VALU_DEP_1) | instskip(NEXT) | instid1(VALU_DEP_1)
	v_fmac_f32_e32 v3, 0x4f800000, v4
	v_rcp_f32_e32 v3, v3
	s_waitcnt_depctr 0xfff
	v_mul_f32_e32 v3, 0x5f7ffffc, v3
	s_delay_alu instid0(VALU_DEP_1) | instskip(NEXT) | instid1(VALU_DEP_1)
	v_mul_f32_e32 v4, 0x2f800000, v3
	v_trunc_f32_e32 v4, v4
	s_delay_alu instid0(VALU_DEP_1) | instskip(SKIP_1) | instid1(VALU_DEP_2)
	v_fmac_f32_e32 v3, 0xcf800000, v4
	v_cvt_u32_f32_e32 v4, v4
	v_cvt_u32_f32_e32 v3, v3
	s_delay_alu instid0(VALU_DEP_2) | instskip(NEXT) | instid1(VALU_DEP_2)
	v_mul_lo_u32 v5, s0, v4
	v_mul_hi_u32 v6, s0, v3
	v_mul_lo_u32 v7, s16, v3
	s_delay_alu instid0(VALU_DEP_2) | instskip(SKIP_1) | instid1(VALU_DEP_2)
	v_add_nc_u32_e32 v5, v6, v5
	v_mul_lo_u32 v6, s0, v3
	v_add_nc_u32_e32 v5, v5, v7
	s_delay_alu instid0(VALU_DEP_2) | instskip(NEXT) | instid1(VALU_DEP_2)
	v_mul_hi_u32 v7, v3, v6
	v_mul_lo_u32 v8, v3, v5
	v_mul_hi_u32 v9, v3, v5
	v_mul_hi_u32 v10, v4, v6
	v_mul_lo_u32 v6, v4, v6
	v_mul_hi_u32 v11, v4, v5
	v_mul_lo_u32 v5, v4, v5
	v_add_co_u32 v7, vcc_lo, v7, v8
	v_add_co_ci_u32_e32 v8, vcc_lo, 0, v9, vcc_lo
	s_delay_alu instid0(VALU_DEP_2) | instskip(NEXT) | instid1(VALU_DEP_2)
	v_add_co_u32 v6, vcc_lo, v7, v6
	v_add_co_ci_u32_e32 v6, vcc_lo, v8, v10, vcc_lo
	v_add_co_ci_u32_e32 v7, vcc_lo, 0, v11, vcc_lo
	v_ashrrev_i32_e32 v10, 31, v1
	s_delay_alu instid0(VALU_DEP_3) | instskip(NEXT) | instid1(VALU_DEP_3)
	v_add_co_u32 v5, vcc_lo, v6, v5
	v_add_co_ci_u32_e32 v6, vcc_lo, 0, v7, vcc_lo
	s_delay_alu instid0(VALU_DEP_2) | instskip(NEXT) | instid1(VALU_DEP_2)
	v_add_co_u32 v3, vcc_lo, v3, v5
	v_add_co_ci_u32_e32 v4, vcc_lo, v4, v6, vcc_lo
	s_delay_alu instid0(VALU_DEP_2) | instskip(SKIP_1) | instid1(VALU_DEP_3)
	v_mul_hi_u32 v5, s0, v3
	v_mul_lo_u32 v7, s16, v3
	v_mul_lo_u32 v6, s0, v4
	s_delay_alu instid0(VALU_DEP_1) | instskip(SKIP_1) | instid1(VALU_DEP_2)
	v_add_nc_u32_e32 v5, v5, v6
	v_mul_lo_u32 v6, s0, v3
	v_add_nc_u32_e32 v5, v5, v7
	s_delay_alu instid0(VALU_DEP_2) | instskip(NEXT) | instid1(VALU_DEP_2)
	v_mul_hi_u32 v7, v3, v6
	v_mul_lo_u32 v8, v3, v5
	v_mul_hi_u32 v9, v3, v5
	v_mul_hi_u32 v11, v4, v6
	v_mul_lo_u32 v6, v4, v6
	v_mul_hi_u32 v12, v4, v5
	v_mul_lo_u32 v5, v4, v5
	v_add_co_u32 v7, vcc_lo, v7, v8
	v_add_co_ci_u32_e32 v8, vcc_lo, 0, v9, vcc_lo
	s_delay_alu instid0(VALU_DEP_2) | instskip(NEXT) | instid1(VALU_DEP_2)
	v_add_co_u32 v6, vcc_lo, v7, v6
	v_add_co_ci_u32_e32 v6, vcc_lo, v8, v11, vcc_lo
	v_add_co_ci_u32_e32 v7, vcc_lo, 0, v12, vcc_lo
	v_add_co_u32 v8, vcc_lo, v0, v10
	v_add_co_ci_u32_e32 v9, vcc_lo, v1, v10, vcc_lo
	s_delay_alu instid0(VALU_DEP_4) | instskip(NEXT) | instid1(VALU_DEP_4)
	v_add_co_u32 v5, vcc_lo, v6, v5
	v_add_co_ci_u32_e32 v6, vcc_lo, 0, v7, vcc_lo
	s_delay_alu instid0(VALU_DEP_4) | instskip(NEXT) | instid1(VALU_DEP_3)
	v_xor_b32_e32 v11, v8, v10
	v_add_co_u32 v7, vcc_lo, v3, v5
	s_delay_alu instid0(VALU_DEP_3) | instskip(SKIP_1) | instid1(VALU_DEP_3)
	v_add_co_ci_u32_e32 v12, vcc_lo, v4, v6, vcc_lo
	v_xor_b32_e32 v9, v9, v10
	v_mul_hi_u32 v13, v11, v7
	s_delay_alu instid0(VALU_DEP_3) | instskip(NEXT) | instid1(VALU_DEP_3)
	v_mad_u64_u32 v[3:4], null, v11, v12, 0
	v_mad_u64_u32 v[5:6], null, v9, v7, 0
	;; [unrolled: 1-line block ×3, first 2 shown]
	s_delay_alu instid0(VALU_DEP_3) | instskip(NEXT) | instid1(VALU_DEP_4)
	v_add_co_u32 v3, vcc_lo, v13, v3
	v_add_co_ci_u32_e32 v4, vcc_lo, 0, v4, vcc_lo
	s_delay_alu instid0(VALU_DEP_2) | instskip(NEXT) | instid1(VALU_DEP_2)
	v_add_co_u32 v3, vcc_lo, v3, v5
	v_add_co_ci_u32_e32 v3, vcc_lo, v4, v6, vcc_lo
	v_add_co_ci_u32_e32 v4, vcc_lo, 0, v8, vcc_lo
	s_delay_alu instid0(VALU_DEP_2) | instskip(NEXT) | instid1(VALU_DEP_2)
	v_add_co_u32 v5, vcc_lo, v3, v7
	v_add_co_ci_u32_e32 v6, vcc_lo, 0, v4, vcc_lo
	s_delay_alu instid0(VALU_DEP_2) | instskip(SKIP_1) | instid1(VALU_DEP_3)
	v_mul_lo_u32 v7, s25, v5
	v_mad_u64_u32 v[3:4], null, s24, v5, 0
	v_mul_lo_u32 v8, s24, v6
	s_delay_alu instid0(VALU_DEP_2) | instskip(NEXT) | instid1(VALU_DEP_2)
	v_sub_co_u32 v3, vcc_lo, v11, v3
	v_add3_u32 v4, v4, v8, v7
	s_delay_alu instid0(VALU_DEP_1) | instskip(NEXT) | instid1(VALU_DEP_1)
	v_sub_nc_u32_e32 v7, v9, v4
	v_subrev_co_ci_u32_e64 v7, s0, s25, v7, vcc_lo
	v_add_co_u32 v8, s0, v5, 2
	s_delay_alu instid0(VALU_DEP_1) | instskip(SKIP_3) | instid1(VALU_DEP_3)
	v_add_co_ci_u32_e64 v11, s0, 0, v6, s0
	v_sub_co_u32 v12, s0, v3, s24
	v_sub_co_ci_u32_e32 v4, vcc_lo, v9, v4, vcc_lo
	v_subrev_co_ci_u32_e64 v7, s0, 0, v7, s0
	v_cmp_le_u32_e32 vcc_lo, s24, v12
	s_delay_alu instid0(VALU_DEP_3) | instskip(SKIP_1) | instid1(VALU_DEP_4)
	v_cmp_eq_u32_e64 s0, s25, v4
	v_cndmask_b32_e64 v9, 0, -1, vcc_lo
	v_cmp_le_u32_e32 vcc_lo, s25, v7
	v_cndmask_b32_e64 v12, 0, -1, vcc_lo
	v_cmp_le_u32_e32 vcc_lo, s24, v3
	;; [unrolled: 2-line block ×3, first 2 shown]
	v_cndmask_b32_e64 v13, 0, -1, vcc_lo
	v_cmp_eq_u32_e32 vcc_lo, s25, v7
	s_delay_alu instid0(VALU_DEP_2) | instskip(SKIP_3) | instid1(VALU_DEP_3)
	v_cndmask_b32_e64 v3, v13, v3, s0
	v_cndmask_b32_e32 v7, v12, v9, vcc_lo
	v_add_co_u32 v9, vcc_lo, v5, 1
	v_add_co_ci_u32_e32 v12, vcc_lo, 0, v6, vcc_lo
	v_cmp_ne_u32_e32 vcc_lo, 0, v7
	s_delay_alu instid0(VALU_DEP_2) | instskip(SKIP_2) | instid1(VALU_DEP_3)
	v_dual_cndmask_b32 v4, v12, v11 :: v_dual_cndmask_b32 v7, v9, v8
	v_cmp_ne_u32_e32 vcc_lo, 0, v3
	v_xor_b32_e32 v3, s22, v10
	v_dual_cndmask_b32 v5, v5, v7 :: v_dual_cndmask_b32 v4, v6, v4
	v_xor_b32_e32 v6, s23, v10
	s_delay_alu instid0(VALU_DEP_2) | instskip(NEXT) | instid1(VALU_DEP_2)
	v_xor_b32_e32 v5, v5, v3
	v_xor_b32_e32 v7, v4, v6
	s_delay_alu instid0(VALU_DEP_2) | instskip(NEXT) | instid1(VALU_DEP_2)
	v_sub_co_u32 v4, vcc_lo, v5, v3
	v_sub_co_ci_u32_e32 v5, vcc_lo, v7, v6, vcc_lo
.LBB77_5:                               ;   in Loop: Header=BB77_3 Depth=1
	s_and_not1_saveexec_b32 s0, s13
; %bb.6:                                ;   in Loop: Header=BB77_3 Depth=1
	v_mul_hi_u32 v3, v0, v18
	s_delay_alu instid0(VALU_DEP_1) | instskip(NEXT) | instid1(VALU_DEP_1)
	v_mul_lo_u32 v4, v3, s30
	v_sub_nc_u32_e32 v4, v0, v4
	s_delay_alu instid0(VALU_DEP_1) | instskip(SKIP_1) | instid1(VALU_DEP_2)
	v_subrev_nc_u32_e32 v6, s30, v4
	v_cmp_le_u32_e32 vcc_lo, s30, v4
	v_dual_cndmask_b32 v4, v4, v6 :: v_dual_add_nc_u32 v5, 1, v3
	s_delay_alu instid0(VALU_DEP_1) | instskip(NEXT) | instid1(VALU_DEP_2)
	v_cndmask_b32_e32 v3, v3, v5, vcc_lo
	v_cmp_le_u32_e32 vcc_lo, s30, v4
	s_delay_alu instid0(VALU_DEP_2) | instskip(NEXT) | instid1(VALU_DEP_1)
	v_add_nc_u32_e32 v5, 1, v3
	v_dual_cndmask_b32 v4, v3, v5 :: v_dual_mov_b32 v5, v2
; %bb.7:                                ;   in Loop: Header=BB77_3 Depth=1
	s_or_b32 exec_lo, exec_lo, s0
	s_delay_alu instid0(VALU_DEP_1) | instskip(SKIP_1) | instid1(VALU_DEP_1)
	v_or_b32_e32 v3, s35, v5
                                        ; implicit-def: $vgpr8_vgpr9
	s_mov_b32 s0, exec_lo
	v_cmpx_ne_u64_e32 0, v[2:3]
	s_xor_b32 s13, exec_lo, s0
	s_cbranch_execz .LBB77_9
; %bb.8:                                ;   in Loop: Header=BB77_3 Depth=1
	s_add_u32 s24, s8, s35
	s_mov_b32 s22, s35
	s_mov_b32 s23, s35
	s_addc_u32 s25, s35, s35
	s_delay_alu instid0(SALU_CYCLE_1) | instskip(NEXT) | instid1(SALU_CYCLE_1)
	s_xor_b64 s[24:25], s[24:25], s[22:23]
	v_cvt_f32_u32_e32 v3, s24
	v_cvt_f32_u32_e32 v6, s25
	s_sub_u32 s0, 0, s24
	s_subb_u32 s16, 0, s25
	s_delay_alu instid0(VALU_DEP_1) | instskip(NEXT) | instid1(VALU_DEP_1)
	v_fmac_f32_e32 v3, 0x4f800000, v6
	v_rcp_f32_e32 v3, v3
	s_waitcnt_depctr 0xfff
	v_mul_f32_e32 v3, 0x5f7ffffc, v3
	s_delay_alu instid0(VALU_DEP_1) | instskip(NEXT) | instid1(VALU_DEP_1)
	v_mul_f32_e32 v6, 0x2f800000, v3
	v_trunc_f32_e32 v6, v6
	s_delay_alu instid0(VALU_DEP_1) | instskip(SKIP_1) | instid1(VALU_DEP_2)
	v_fmac_f32_e32 v3, 0xcf800000, v6
	v_cvt_u32_f32_e32 v6, v6
	v_cvt_u32_f32_e32 v3, v3
	s_delay_alu instid0(VALU_DEP_2) | instskip(NEXT) | instid1(VALU_DEP_2)
	v_mul_lo_u32 v7, s0, v6
	v_mul_hi_u32 v8, s0, v3
	v_mul_lo_u32 v9, s16, v3
	s_delay_alu instid0(VALU_DEP_2) | instskip(SKIP_1) | instid1(VALU_DEP_2)
	v_add_nc_u32_e32 v7, v8, v7
	v_mul_lo_u32 v8, s0, v3
	v_add_nc_u32_e32 v7, v7, v9
	s_delay_alu instid0(VALU_DEP_2) | instskip(NEXT) | instid1(VALU_DEP_2)
	v_mul_hi_u32 v9, v3, v8
	v_mul_lo_u32 v10, v3, v7
	v_mul_hi_u32 v11, v3, v7
	v_mul_hi_u32 v12, v6, v8
	v_mul_lo_u32 v8, v6, v8
	v_mul_hi_u32 v13, v6, v7
	v_mul_lo_u32 v7, v6, v7
	v_add_co_u32 v9, vcc_lo, v9, v10
	v_add_co_ci_u32_e32 v10, vcc_lo, 0, v11, vcc_lo
	s_delay_alu instid0(VALU_DEP_2) | instskip(NEXT) | instid1(VALU_DEP_2)
	v_add_co_u32 v8, vcc_lo, v9, v8
	v_add_co_ci_u32_e32 v8, vcc_lo, v10, v12, vcc_lo
	v_add_co_ci_u32_e32 v9, vcc_lo, 0, v13, vcc_lo
	v_ashrrev_i32_e32 v12, 31, v5
	s_delay_alu instid0(VALU_DEP_3) | instskip(NEXT) | instid1(VALU_DEP_3)
	v_add_co_u32 v7, vcc_lo, v8, v7
	v_add_co_ci_u32_e32 v8, vcc_lo, 0, v9, vcc_lo
	s_delay_alu instid0(VALU_DEP_2) | instskip(NEXT) | instid1(VALU_DEP_2)
	v_add_co_u32 v3, vcc_lo, v3, v7
	v_add_co_ci_u32_e32 v6, vcc_lo, v6, v8, vcc_lo
	s_delay_alu instid0(VALU_DEP_2) | instskip(SKIP_1) | instid1(VALU_DEP_3)
	v_mul_hi_u32 v7, s0, v3
	v_mul_lo_u32 v9, s16, v3
	v_mul_lo_u32 v8, s0, v6
	s_delay_alu instid0(VALU_DEP_1) | instskip(SKIP_1) | instid1(VALU_DEP_2)
	v_add_nc_u32_e32 v7, v7, v8
	v_mul_lo_u32 v8, s0, v3
	v_add_nc_u32_e32 v7, v7, v9
	s_delay_alu instid0(VALU_DEP_2) | instskip(NEXT) | instid1(VALU_DEP_2)
	v_mul_hi_u32 v9, v3, v8
	v_mul_lo_u32 v10, v3, v7
	v_mul_hi_u32 v11, v3, v7
	v_mul_hi_u32 v13, v6, v8
	v_mul_lo_u32 v8, v6, v8
	v_mul_hi_u32 v14, v6, v7
	v_mul_lo_u32 v7, v6, v7
	v_add_co_u32 v9, vcc_lo, v9, v10
	v_add_co_ci_u32_e32 v10, vcc_lo, 0, v11, vcc_lo
	s_delay_alu instid0(VALU_DEP_2) | instskip(NEXT) | instid1(VALU_DEP_2)
	v_add_co_u32 v8, vcc_lo, v9, v8
	v_add_co_ci_u32_e32 v8, vcc_lo, v10, v13, vcc_lo
	v_add_co_ci_u32_e32 v9, vcc_lo, 0, v14, vcc_lo
	v_add_co_u32 v10, vcc_lo, v4, v12
	v_add_co_ci_u32_e32 v5, vcc_lo, v5, v12, vcc_lo
	s_delay_alu instid0(VALU_DEP_4) | instskip(NEXT) | instid1(VALU_DEP_4)
	v_add_co_u32 v7, vcc_lo, v8, v7
	v_add_co_ci_u32_e32 v8, vcc_lo, 0, v9, vcc_lo
	s_delay_alu instid0(VALU_DEP_4) | instskip(NEXT) | instid1(VALU_DEP_3)
	v_xor_b32_e32 v11, v10, v12
	v_add_co_u32 v3, vcc_lo, v3, v7
	s_delay_alu instid0(VALU_DEP_3) | instskip(SKIP_1) | instid1(VALU_DEP_3)
	v_add_co_ci_u32_e32 v13, vcc_lo, v6, v8, vcc_lo
	v_xor_b32_e32 v14, v5, v12
	v_mul_hi_u32 v15, v11, v3
	s_delay_alu instid0(VALU_DEP_3) | instskip(NEXT) | instid1(VALU_DEP_3)
	v_mad_u64_u32 v[5:6], null, v11, v13, 0
	v_mad_u64_u32 v[7:8], null, v14, v3, 0
	;; [unrolled: 1-line block ×3, first 2 shown]
	s_delay_alu instid0(VALU_DEP_3) | instskip(NEXT) | instid1(VALU_DEP_4)
	v_add_co_u32 v3, vcc_lo, v15, v5
	v_add_co_ci_u32_e32 v5, vcc_lo, 0, v6, vcc_lo
	s_delay_alu instid0(VALU_DEP_2) | instskip(NEXT) | instid1(VALU_DEP_2)
	v_add_co_u32 v3, vcc_lo, v3, v7
	v_add_co_ci_u32_e32 v3, vcc_lo, v5, v8, vcc_lo
	v_add_co_ci_u32_e32 v5, vcc_lo, 0, v10, vcc_lo
	s_delay_alu instid0(VALU_DEP_2) | instskip(NEXT) | instid1(VALU_DEP_2)
	v_add_co_u32 v3, vcc_lo, v3, v9
	v_add_co_ci_u32_e32 v7, vcc_lo, 0, v5, vcc_lo
	s_delay_alu instid0(VALU_DEP_2) | instskip(SKIP_1) | instid1(VALU_DEP_3)
	v_mul_lo_u32 v8, s25, v3
	v_mad_u64_u32 v[5:6], null, s24, v3, 0
	v_mul_lo_u32 v9, s24, v7
	s_delay_alu instid0(VALU_DEP_2) | instskip(NEXT) | instid1(VALU_DEP_2)
	v_sub_co_u32 v5, vcc_lo, v11, v5
	v_add3_u32 v6, v6, v9, v8
	s_delay_alu instid0(VALU_DEP_1) | instskip(NEXT) | instid1(VALU_DEP_1)
	v_sub_nc_u32_e32 v8, v14, v6
	v_subrev_co_ci_u32_e64 v8, s0, s25, v8, vcc_lo
	v_add_co_u32 v9, s0, v3, 2
	s_delay_alu instid0(VALU_DEP_1) | instskip(SKIP_3) | instid1(VALU_DEP_3)
	v_add_co_ci_u32_e64 v10, s0, 0, v7, s0
	v_sub_co_u32 v11, s0, v5, s24
	v_sub_co_ci_u32_e32 v6, vcc_lo, v14, v6, vcc_lo
	v_subrev_co_ci_u32_e64 v8, s0, 0, v8, s0
	v_cmp_le_u32_e32 vcc_lo, s24, v11
	s_delay_alu instid0(VALU_DEP_3) | instskip(SKIP_1) | instid1(VALU_DEP_4)
	v_cmp_eq_u32_e64 s0, s25, v6
	v_cndmask_b32_e64 v11, 0, -1, vcc_lo
	v_cmp_le_u32_e32 vcc_lo, s25, v8
	v_cndmask_b32_e64 v13, 0, -1, vcc_lo
	v_cmp_le_u32_e32 vcc_lo, s24, v5
	;; [unrolled: 2-line block ×3, first 2 shown]
	v_cndmask_b32_e64 v14, 0, -1, vcc_lo
	v_cmp_eq_u32_e32 vcc_lo, s25, v8
	s_delay_alu instid0(VALU_DEP_2) | instskip(SKIP_3) | instid1(VALU_DEP_3)
	v_cndmask_b32_e64 v5, v14, v5, s0
	v_cndmask_b32_e32 v8, v13, v11, vcc_lo
	v_add_co_u32 v11, vcc_lo, v3, 1
	v_add_co_ci_u32_e32 v13, vcc_lo, 0, v7, vcc_lo
	v_cmp_ne_u32_e32 vcc_lo, 0, v8
	s_delay_alu instid0(VALU_DEP_3) | instskip(NEXT) | instid1(VALU_DEP_3)
	v_cndmask_b32_e32 v8, v11, v9, vcc_lo
	v_cndmask_b32_e32 v6, v13, v10, vcc_lo
	v_cmp_ne_u32_e32 vcc_lo, 0, v5
	v_xor_b32_e32 v5, s22, v12
	s_delay_alu instid0(VALU_DEP_4) | instskip(NEXT) | instid1(VALU_DEP_4)
	v_cndmask_b32_e32 v3, v3, v8, vcc_lo
	v_cndmask_b32_e32 v6, v7, v6, vcc_lo
	v_xor_b32_e32 v7, s23, v12
	s_delay_alu instid0(VALU_DEP_3) | instskip(NEXT) | instid1(VALU_DEP_2)
	v_xor_b32_e32 v3, v3, v5
	v_xor_b32_e32 v6, v6, v7
	s_delay_alu instid0(VALU_DEP_2) | instskip(NEXT) | instid1(VALU_DEP_2)
	v_sub_co_u32 v8, vcc_lo, v3, v5
	v_sub_co_ci_u32_e32 v9, vcc_lo, v6, v7, vcc_lo
.LBB77_9:                               ;   in Loop: Header=BB77_3 Depth=1
	s_and_not1_saveexec_b32 s0, s13
	s_cbranch_execz .LBB77_11
; %bb.10:                               ;   in Loop: Header=BB77_3 Depth=1
	v_cvt_f32_u32_e32 v3, s8
	s_sub_i32 s13, 0, s8
	v_mov_b32_e32 v9, v2
	s_delay_alu instid0(VALU_DEP_2) | instskip(SKIP_2) | instid1(VALU_DEP_1)
	v_rcp_iflag_f32_e32 v3, v3
	s_waitcnt_depctr 0xfff
	v_mul_f32_e32 v3, 0x4f7ffffe, v3
	v_cvt_u32_f32_e32 v3, v3
	s_delay_alu instid0(VALU_DEP_1) | instskip(NEXT) | instid1(VALU_DEP_1)
	v_mul_lo_u32 v5, s13, v3
	v_mul_hi_u32 v5, v3, v5
	s_delay_alu instid0(VALU_DEP_1) | instskip(NEXT) | instid1(VALU_DEP_1)
	v_add_nc_u32_e32 v3, v3, v5
	v_mul_hi_u32 v3, v4, v3
	s_delay_alu instid0(VALU_DEP_1) | instskip(SKIP_1) | instid1(VALU_DEP_2)
	v_mul_lo_u32 v5, v3, s8
	v_add_nc_u32_e32 v6, 1, v3
	v_sub_nc_u32_e32 v5, v4, v5
	s_delay_alu instid0(VALU_DEP_1) | instskip(SKIP_1) | instid1(VALU_DEP_4)
	v_cmp_le_u32_e32 vcc_lo, s8, v5
	v_subrev_nc_u32_e32 v7, s8, v5
	v_cndmask_b32_e32 v3, v3, v6, vcc_lo
	s_delay_alu instid0(VALU_DEP_1) | instskip(NEXT) | instid1(VALU_DEP_3)
	v_add_nc_u32_e32 v6, 1, v3
	v_cndmask_b32_e32 v5, v5, v7, vcc_lo
	s_delay_alu instid0(VALU_DEP_1) | instskip(NEXT) | instid1(VALU_DEP_3)
	v_cmp_le_u32_e32 vcc_lo, s8, v5
	v_cndmask_b32_e32 v8, v3, v6, vcc_lo
.LBB77_11:                              ;   in Loop: Header=BB77_3 Depth=1
	s_or_b32 exec_lo, exec_lo, s0
	v_mad_u64_u32 v[5:6], null, v4, s30, 0
	s_delay_alu instid0(VALU_DEP_2) | instskip(SKIP_1) | instid1(VALU_DEP_2)
	v_mad_u64_u32 v[6:7], null, v8, s8, 0
	s_and_not1_b32 vcc_lo, exec_lo, s1
	v_sub_co_u32 v19, null, v0, v5
	s_delay_alu instid0(VALU_DEP_2) | instskip(NEXT) | instid1(VALU_DEP_2)
	v_sub_co_u32 v20, null, v4, v6
	v_mul_lo_u32 v3, s18, v19
	v_mul_lo_u32 v10, s20, v19
	s_delay_alu instid0(VALU_DEP_2) | instskip(NEXT) | instid1(VALU_DEP_2)
	v_mad_u64_u32 v[6:7], null, s10, v20, v[3:4]
	v_mad_u64_u32 v[4:5], null, s12, v20, v[10:11]
	s_cbranch_vccnz .LBB77_40
; %bb.12:                               ;   in Loop: Header=BB77_3 Depth=1
	s_and_not1_b32 vcc_lo, exec_lo, s41
	s_mov_b32 s13, 1
	s_cbranch_vccnz .LBB77_20
; %bb.13:                               ;   in Loop: Header=BB77_3 Depth=1
	v_dual_mov_b32 v11, v9 :: v_dual_mov_b32 v10, v8
	s_mov_b32 s16, s38
.LBB77_14:                              ;   Parent Loop BB77_3 Depth=1
                                        ; =>  This Inner Loop Header: Depth=2
	s_delay_alu instid0(SALU_CYCLE_1)
	s_lshl_b64 s[24:25], s[16:17], 2
                                        ; implicit-def: $vgpr8_vgpr9
	s_mov_b32 s26, exec_lo
	s_add_u32 s22, s31, s24
	s_addc_u32 s23, s33, s25
	s_load_b32 s43, s[22:23], 0x8
	s_waitcnt lgkmcnt(0)
	s_ashr_i32 s0, s43, 31
	s_delay_alu instid0(SALU_CYCLE_1) | instskip(NEXT) | instid1(VALU_DEP_1)
	v_or_b32_e32 v3, s0, v11
	v_cmpx_ne_u64_e32 0, v[2:3]
	s_xor_b32 s44, exec_lo, s26
	s_cbranch_execz .LBB77_16
; %bb.15:                               ;   in Loop: Header=BB77_14 Depth=2
	s_add_u32 s28, s43, s0
	s_mov_b32 s26, s0
	s_mov_b32 s27, s0
	s_addc_u32 s29, s0, s0
	s_delay_alu instid0(SALU_CYCLE_1) | instskip(NEXT) | instid1(SALU_CYCLE_1)
	s_xor_b64 s[28:29], s[28:29], s[26:27]
	v_cvt_f32_u32_e32 v3, s28
	v_cvt_f32_u32_e32 v5, s29
	s_sub_u32 s0, 0, s28
	s_subb_u32 s45, 0, s29
	s_delay_alu instid0(VALU_DEP_1) | instskip(NEXT) | instid1(VALU_DEP_1)
	v_fmac_f32_e32 v3, 0x4f800000, v5
	v_rcp_f32_e32 v3, v3
	s_waitcnt_depctr 0xfff
	v_mul_f32_e32 v3, 0x5f7ffffc, v3
	s_delay_alu instid0(VALU_DEP_1) | instskip(NEXT) | instid1(VALU_DEP_1)
	v_mul_f32_e32 v5, 0x2f800000, v3
	v_trunc_f32_e32 v5, v5
	s_delay_alu instid0(VALU_DEP_1) | instskip(SKIP_1) | instid1(VALU_DEP_2)
	v_fmac_f32_e32 v3, 0xcf800000, v5
	v_cvt_u32_f32_e32 v5, v5
	v_cvt_u32_f32_e32 v3, v3
	s_delay_alu instid0(VALU_DEP_2) | instskip(NEXT) | instid1(VALU_DEP_2)
	v_mul_lo_u32 v7, s0, v5
	v_mul_hi_u32 v8, s0, v3
	v_mul_lo_u32 v9, s45, v3
	s_delay_alu instid0(VALU_DEP_2) | instskip(SKIP_1) | instid1(VALU_DEP_2)
	v_add_nc_u32_e32 v7, v8, v7
	v_mul_lo_u32 v8, s0, v3
	v_add_nc_u32_e32 v7, v7, v9
	s_delay_alu instid0(VALU_DEP_2) | instskip(NEXT) | instid1(VALU_DEP_2)
	v_mul_hi_u32 v9, v3, v8
	v_mul_lo_u32 v12, v3, v7
	v_mul_hi_u32 v13, v3, v7
	v_mul_hi_u32 v14, v5, v8
	v_mul_lo_u32 v8, v5, v8
	v_mul_hi_u32 v15, v5, v7
	v_mul_lo_u32 v7, v5, v7
	v_add_co_u32 v9, vcc_lo, v9, v12
	v_add_co_ci_u32_e32 v12, vcc_lo, 0, v13, vcc_lo
	s_delay_alu instid0(VALU_DEP_2) | instskip(NEXT) | instid1(VALU_DEP_2)
	v_add_co_u32 v8, vcc_lo, v9, v8
	v_add_co_ci_u32_e32 v8, vcc_lo, v12, v14, vcc_lo
	v_add_co_ci_u32_e32 v9, vcc_lo, 0, v15, vcc_lo
	v_ashrrev_i32_e32 v15, 31, v11
	s_delay_alu instid0(VALU_DEP_3) | instskip(NEXT) | instid1(VALU_DEP_3)
	v_add_co_u32 v7, vcc_lo, v8, v7
	v_add_co_ci_u32_e32 v8, vcc_lo, 0, v9, vcc_lo
	s_delay_alu instid0(VALU_DEP_2) | instskip(NEXT) | instid1(VALU_DEP_2)
	v_add_co_u32 v3, vcc_lo, v3, v7
	v_add_co_ci_u32_e32 v5, vcc_lo, v5, v8, vcc_lo
	s_delay_alu instid0(VALU_DEP_2) | instskip(SKIP_1) | instid1(VALU_DEP_3)
	v_mul_hi_u32 v7, s0, v3
	v_mul_lo_u32 v9, s45, v3
	v_mul_lo_u32 v8, s0, v5
	s_delay_alu instid0(VALU_DEP_1) | instskip(SKIP_1) | instid1(VALU_DEP_2)
	v_add_nc_u32_e32 v7, v7, v8
	v_mul_lo_u32 v8, s0, v3
	v_add_nc_u32_e32 v7, v7, v9
	s_delay_alu instid0(VALU_DEP_2) | instskip(NEXT) | instid1(VALU_DEP_2)
	v_mul_hi_u32 v9, v3, v8
	v_mul_lo_u32 v12, v3, v7
	v_mul_hi_u32 v13, v3, v7
	v_mul_hi_u32 v14, v5, v8
	v_mul_lo_u32 v8, v5, v8
	v_mul_hi_u32 v16, v5, v7
	v_mul_lo_u32 v7, v5, v7
	v_add_co_u32 v9, vcc_lo, v9, v12
	v_add_co_ci_u32_e32 v12, vcc_lo, 0, v13, vcc_lo
	s_delay_alu instid0(VALU_DEP_2) | instskip(NEXT) | instid1(VALU_DEP_2)
	v_add_co_u32 v8, vcc_lo, v9, v8
	v_add_co_ci_u32_e32 v8, vcc_lo, v12, v14, vcc_lo
	v_add_co_ci_u32_e32 v9, vcc_lo, 0, v16, vcc_lo
	v_add_co_u32 v12, vcc_lo, v10, v15
	v_add_co_ci_u32_e32 v11, vcc_lo, v11, v15, vcc_lo
	s_delay_alu instid0(VALU_DEP_4) | instskip(NEXT) | instid1(VALU_DEP_4)
	v_add_co_u32 v7, vcc_lo, v8, v7
	v_add_co_ci_u32_e32 v8, vcc_lo, 0, v9, vcc_lo
	s_delay_alu instid0(VALU_DEP_4) | instskip(NEXT) | instid1(VALU_DEP_3)
	v_xor_b32_e32 v9, v12, v15
	v_add_co_u32 v3, vcc_lo, v3, v7
	s_delay_alu instid0(VALU_DEP_3) | instskip(SKIP_1) | instid1(VALU_DEP_3)
	v_add_co_ci_u32_e32 v5, vcc_lo, v5, v8, vcc_lo
	v_xor_b32_e32 v16, v11, v15
	v_mul_hi_u32 v17, v9, v3
	s_delay_alu instid0(VALU_DEP_3) | instskip(NEXT) | instid1(VALU_DEP_3)
	v_mad_u64_u32 v[7:8], null, v9, v5, 0
	v_mad_u64_u32 v[11:12], null, v16, v3, 0
	;; [unrolled: 1-line block ×3, first 2 shown]
	s_delay_alu instid0(VALU_DEP_3) | instskip(NEXT) | instid1(VALU_DEP_4)
	v_add_co_u32 v3, vcc_lo, v17, v7
	v_add_co_ci_u32_e32 v5, vcc_lo, 0, v8, vcc_lo
	s_delay_alu instid0(VALU_DEP_2) | instskip(NEXT) | instid1(VALU_DEP_2)
	v_add_co_u32 v3, vcc_lo, v3, v11
	v_add_co_ci_u32_e32 v3, vcc_lo, v5, v12, vcc_lo
	v_add_co_ci_u32_e32 v5, vcc_lo, 0, v14, vcc_lo
	s_delay_alu instid0(VALU_DEP_2) | instskip(NEXT) | instid1(VALU_DEP_2)
	v_add_co_u32 v3, vcc_lo, v3, v13
	v_add_co_ci_u32_e32 v5, vcc_lo, 0, v5, vcc_lo
	s_delay_alu instid0(VALU_DEP_2) | instskip(SKIP_1) | instid1(VALU_DEP_3)
	v_mul_lo_u32 v11, s29, v3
	v_mad_u64_u32 v[7:8], null, s28, v3, 0
	v_mul_lo_u32 v12, s28, v5
	s_delay_alu instid0(VALU_DEP_2) | instskip(NEXT) | instid1(VALU_DEP_2)
	v_sub_co_u32 v7, vcc_lo, v9, v7
	v_add3_u32 v8, v8, v12, v11
	s_delay_alu instid0(VALU_DEP_1) | instskip(NEXT) | instid1(VALU_DEP_1)
	v_sub_nc_u32_e32 v11, v16, v8
	v_subrev_co_ci_u32_e64 v9, s0, s29, v11, vcc_lo
	v_add_co_u32 v11, s0, v3, 2
	s_delay_alu instid0(VALU_DEP_1) | instskip(SKIP_3) | instid1(VALU_DEP_3)
	v_add_co_ci_u32_e64 v12, s0, 0, v5, s0
	v_sub_co_u32 v13, s0, v7, s28
	v_sub_co_ci_u32_e32 v8, vcc_lo, v16, v8, vcc_lo
	v_subrev_co_ci_u32_e64 v9, s0, 0, v9, s0
	v_cmp_le_u32_e32 vcc_lo, s28, v13
	s_delay_alu instid0(VALU_DEP_3) | instskip(SKIP_1) | instid1(VALU_DEP_4)
	v_cmp_eq_u32_e64 s0, s29, v8
	v_cndmask_b32_e64 v13, 0, -1, vcc_lo
	v_cmp_le_u32_e32 vcc_lo, s29, v9
	v_cndmask_b32_e64 v14, 0, -1, vcc_lo
	v_cmp_le_u32_e32 vcc_lo, s28, v7
	;; [unrolled: 2-line block ×3, first 2 shown]
	v_cndmask_b32_e64 v16, 0, -1, vcc_lo
	v_cmp_eq_u32_e32 vcc_lo, s29, v9
	s_delay_alu instid0(VALU_DEP_2) | instskip(SKIP_3) | instid1(VALU_DEP_3)
	v_cndmask_b32_e64 v7, v16, v7, s0
	v_cndmask_b32_e32 v9, v14, v13, vcc_lo
	v_add_co_u32 v13, vcc_lo, v3, 1
	v_add_co_ci_u32_e32 v14, vcc_lo, 0, v5, vcc_lo
	v_cmp_ne_u32_e32 vcc_lo, 0, v9
	s_delay_alu instid0(VALU_DEP_2) | instskip(SKIP_2) | instid1(VALU_DEP_3)
	v_dual_cndmask_b32 v8, v14, v12 :: v_dual_cndmask_b32 v9, v13, v11
	v_cmp_ne_u32_e32 vcc_lo, 0, v7
	v_xor_b32_e32 v7, s26, v15
	v_cndmask_b32_e32 v3, v3, v9, vcc_lo
	s_delay_alu instid0(VALU_DEP_4) | instskip(SKIP_1) | instid1(VALU_DEP_3)
	v_cndmask_b32_e32 v5, v5, v8, vcc_lo
	v_xor_b32_e32 v9, s27, v15
	v_xor_b32_e32 v3, v3, v7
	s_delay_alu instid0(VALU_DEP_2) | instskip(NEXT) | instid1(VALU_DEP_2)
	v_xor_b32_e32 v5, v5, v9
	v_sub_co_u32 v8, vcc_lo, v3, v7
	s_delay_alu instid0(VALU_DEP_2)
	v_sub_co_ci_u32_e32 v9, vcc_lo, v5, v9, vcc_lo
.LBB77_16:                              ;   in Loop: Header=BB77_14 Depth=2
	s_and_not1_saveexec_b32 s0, s44
	s_cbranch_execz .LBB77_18
; %bb.17:                               ;   in Loop: Header=BB77_14 Depth=2
	v_cvt_f32_u32_e32 v3, s43
	s_sub_i32 s26, 0, s43
	v_mov_b32_e32 v9, v2
	s_delay_alu instid0(VALU_DEP_2) | instskip(SKIP_2) | instid1(VALU_DEP_1)
	v_rcp_iflag_f32_e32 v3, v3
	s_waitcnt_depctr 0xfff
	v_mul_f32_e32 v3, 0x4f7ffffe, v3
	v_cvt_u32_f32_e32 v3, v3
	s_delay_alu instid0(VALU_DEP_1) | instskip(NEXT) | instid1(VALU_DEP_1)
	v_mul_lo_u32 v5, s26, v3
	v_mul_hi_u32 v5, v3, v5
	s_delay_alu instid0(VALU_DEP_1) | instskip(NEXT) | instid1(VALU_DEP_1)
	v_add_nc_u32_e32 v3, v3, v5
	v_mul_hi_u32 v3, v10, v3
	s_delay_alu instid0(VALU_DEP_1) | instskip(SKIP_1) | instid1(VALU_DEP_2)
	v_mul_lo_u32 v5, v3, s43
	v_add_nc_u32_e32 v7, 1, v3
	v_sub_nc_u32_e32 v5, v10, v5
	s_delay_alu instid0(VALU_DEP_1) | instskip(SKIP_1) | instid1(VALU_DEP_4)
	v_cmp_le_u32_e32 vcc_lo, s43, v5
	v_subrev_nc_u32_e32 v8, s43, v5
	v_cndmask_b32_e32 v3, v3, v7, vcc_lo
	s_delay_alu instid0(VALU_DEP_1) | instskip(NEXT) | instid1(VALU_DEP_3)
	v_add_nc_u32_e32 v7, 1, v3
	v_cndmask_b32_e32 v5, v5, v8, vcc_lo
	s_delay_alu instid0(VALU_DEP_1) | instskip(NEXT) | instid1(VALU_DEP_3)
	v_cmp_le_u32_e32 vcc_lo, s43, v5
	v_cndmask_b32_e32 v8, v3, v7, vcc_lo
.LBB77_18:                              ;   in Loop: Header=BB77_14 Depth=2
	s_or_b32 exec_lo, exec_lo, s0
	s_add_u32 s24, s36, s24
	s_addc_u32 s25, s37, s25
	s_clause 0x1
	s_load_b32 s0, s[22:23], 0x6c
	s_load_b32 s22, s[24:25], 0x0
	v_mul_lo_u32 v3, v8, s43
	s_add_i32 s16, s16, -1
	s_delay_alu instid0(VALU_DEP_1) | instskip(SKIP_1) | instid1(VALU_DEP_1)
	v_sub_nc_u32_e32 v3, v10, v3
	s_waitcnt lgkmcnt(0)
	v_mad_u64_u32 v[10:11], null, s0, v3, v[6:7]
	v_mad_u64_u32 v[5:6], null, s22, v3, v[4:5]
	s_xor_b32 s0, s39, s13
	s_add_i32 s13, s13, 1
	s_cmp_lg_u32 s0, 2
	s_delay_alu instid0(VALU_DEP_2) | instskip(NEXT) | instid1(VALU_DEP_2)
	v_mov_b32_e32 v6, v10
	v_mov_b32_e32 v4, v5
	s_cbranch_scc0 .LBB77_21
; %bb.19:                               ;   in Loop: Header=BB77_14 Depth=2
	v_dual_mov_b32 v11, v9 :: v_dual_mov_b32 v10, v8
	s_branch .LBB77_14
.LBB77_20:                              ;   in Loop: Header=BB77_3 Depth=1
	s_mov_b32 s16, s38
.LBB77_21:                              ;   in Loop: Header=BB77_3 Depth=1
	s_and_b32 vcc_lo, exec_lo, s42
	s_cbranch_vccz .LBB77_40
.LBB77_22:                              ;   Parent Loop BB77_3 Depth=1
                                        ; =>  This Inner Loop Header: Depth=2
	s_lshl_b64 s[22:23], s[16:17], 2
                                        ; implicit-def: $vgpr10_vgpr11
	s_mov_b32 s26, exec_lo
	s_add_u32 s24, s31, s22
	s_addc_u32 s25, s33, s23
	s_load_b32 s13, s[24:25], 0x8
	s_waitcnt lgkmcnt(0)
	s_ashr_i32 s0, s13, 31
	s_delay_alu instid0(SALU_CYCLE_1) | instskip(NEXT) | instid1(VALU_DEP_1)
	v_or_b32_e32 v3, s0, v9
	v_cmpx_ne_u64_e32 0, v[2:3]
	s_xor_b32 s43, exec_lo, s26
	s_cbranch_execz .LBB77_24
; %bb.23:                               ;   in Loop: Header=BB77_22 Depth=2
	s_add_u32 s28, s13, s0
	s_mov_b32 s26, s0
	s_mov_b32 s27, s0
	s_addc_u32 s29, s0, s0
	s_delay_alu instid0(SALU_CYCLE_1) | instskip(NEXT) | instid1(SALU_CYCLE_1)
	s_xor_b64 s[28:29], s[28:29], s[26:27]
	v_cvt_f32_u32_e32 v3, s28
	v_cvt_f32_u32_e32 v5, s29
	s_sub_u32 s0, 0, s28
	s_subb_u32 s44, 0, s29
	s_delay_alu instid0(VALU_DEP_1) | instskip(NEXT) | instid1(VALU_DEP_1)
	v_fmac_f32_e32 v3, 0x4f800000, v5
	v_rcp_f32_e32 v3, v3
	s_waitcnt_depctr 0xfff
	v_mul_f32_e32 v3, 0x5f7ffffc, v3
	s_delay_alu instid0(VALU_DEP_1) | instskip(NEXT) | instid1(VALU_DEP_1)
	v_mul_f32_e32 v5, 0x2f800000, v3
	v_trunc_f32_e32 v5, v5
	s_delay_alu instid0(VALU_DEP_1) | instskip(SKIP_1) | instid1(VALU_DEP_2)
	v_fmac_f32_e32 v3, 0xcf800000, v5
	v_cvt_u32_f32_e32 v5, v5
	v_cvt_u32_f32_e32 v3, v3
	s_delay_alu instid0(VALU_DEP_2) | instskip(NEXT) | instid1(VALU_DEP_2)
	v_mul_lo_u32 v7, s0, v5
	v_mul_hi_u32 v10, s0, v3
	v_mul_lo_u32 v11, s44, v3
	s_delay_alu instid0(VALU_DEP_2) | instskip(SKIP_1) | instid1(VALU_DEP_2)
	v_add_nc_u32_e32 v7, v10, v7
	v_mul_lo_u32 v10, s0, v3
	v_add_nc_u32_e32 v7, v7, v11
	s_delay_alu instid0(VALU_DEP_2) | instskip(NEXT) | instid1(VALU_DEP_2)
	v_mul_hi_u32 v11, v3, v10
	v_mul_lo_u32 v12, v3, v7
	v_mul_hi_u32 v13, v3, v7
	v_mul_hi_u32 v14, v5, v10
	v_mul_lo_u32 v10, v5, v10
	v_mul_hi_u32 v15, v5, v7
	v_mul_lo_u32 v7, v5, v7
	v_add_co_u32 v11, vcc_lo, v11, v12
	v_add_co_ci_u32_e32 v12, vcc_lo, 0, v13, vcc_lo
	s_delay_alu instid0(VALU_DEP_2) | instskip(NEXT) | instid1(VALU_DEP_2)
	v_add_co_u32 v10, vcc_lo, v11, v10
	v_add_co_ci_u32_e32 v10, vcc_lo, v12, v14, vcc_lo
	v_add_co_ci_u32_e32 v11, vcc_lo, 0, v15, vcc_lo
	v_ashrrev_i32_e32 v15, 31, v9
	s_delay_alu instid0(VALU_DEP_3) | instskip(NEXT) | instid1(VALU_DEP_3)
	v_add_co_u32 v7, vcc_lo, v10, v7
	v_add_co_ci_u32_e32 v10, vcc_lo, 0, v11, vcc_lo
	s_delay_alu instid0(VALU_DEP_2) | instskip(NEXT) | instid1(VALU_DEP_2)
	v_add_co_u32 v3, vcc_lo, v3, v7
	v_add_co_ci_u32_e32 v5, vcc_lo, v5, v10, vcc_lo
	s_delay_alu instid0(VALU_DEP_2) | instskip(SKIP_1) | instid1(VALU_DEP_3)
	v_mul_hi_u32 v7, s0, v3
	v_mul_lo_u32 v11, s44, v3
	v_mul_lo_u32 v10, s0, v5
	s_delay_alu instid0(VALU_DEP_1) | instskip(SKIP_1) | instid1(VALU_DEP_2)
	v_add_nc_u32_e32 v7, v7, v10
	v_mul_lo_u32 v10, s0, v3
	v_add_nc_u32_e32 v7, v7, v11
	s_delay_alu instid0(VALU_DEP_2) | instskip(NEXT) | instid1(VALU_DEP_2)
	v_mul_hi_u32 v11, v3, v10
	v_mul_lo_u32 v12, v3, v7
	v_mul_hi_u32 v13, v3, v7
	v_mul_hi_u32 v14, v5, v10
	v_mul_lo_u32 v10, v5, v10
	v_mul_hi_u32 v16, v5, v7
	v_mul_lo_u32 v7, v5, v7
	v_add_co_u32 v11, vcc_lo, v11, v12
	v_add_co_ci_u32_e32 v12, vcc_lo, 0, v13, vcc_lo
	s_delay_alu instid0(VALU_DEP_2) | instskip(NEXT) | instid1(VALU_DEP_2)
	v_add_co_u32 v10, vcc_lo, v11, v10
	v_add_co_ci_u32_e32 v10, vcc_lo, v12, v14, vcc_lo
	v_add_co_ci_u32_e32 v11, vcc_lo, 0, v16, vcc_lo
	v_add_co_u32 v12, vcc_lo, v8, v15
	v_add_co_ci_u32_e32 v9, vcc_lo, v9, v15, vcc_lo
	s_delay_alu instid0(VALU_DEP_4) | instskip(NEXT) | instid1(VALU_DEP_4)
	v_add_co_u32 v7, vcc_lo, v10, v7
	v_add_co_ci_u32_e32 v10, vcc_lo, 0, v11, vcc_lo
	s_delay_alu instid0(VALU_DEP_4) | instskip(NEXT) | instid1(VALU_DEP_3)
	v_xor_b32_e32 v16, v12, v15
	v_add_co_u32 v3, vcc_lo, v3, v7
	s_delay_alu instid0(VALU_DEP_3) | instskip(SKIP_1) | instid1(VALU_DEP_3)
	v_add_co_ci_u32_e32 v5, vcc_lo, v5, v10, vcc_lo
	v_xor_b32_e32 v7, v9, v15
	v_mul_hi_u32 v17, v16, v3
	s_delay_alu instid0(VALU_DEP_3) | instskip(NEXT) | instid1(VALU_DEP_3)
	v_mad_u64_u32 v[9:10], null, v16, v5, 0
	v_mad_u64_u32 v[11:12], null, v7, v3, 0
	;; [unrolled: 1-line block ×3, first 2 shown]
	s_delay_alu instid0(VALU_DEP_3) | instskip(NEXT) | instid1(VALU_DEP_4)
	v_add_co_u32 v3, vcc_lo, v17, v9
	v_add_co_ci_u32_e32 v5, vcc_lo, 0, v10, vcc_lo
	s_delay_alu instid0(VALU_DEP_2) | instskip(NEXT) | instid1(VALU_DEP_2)
	v_add_co_u32 v3, vcc_lo, v3, v11
	v_add_co_ci_u32_e32 v3, vcc_lo, v5, v12, vcc_lo
	v_add_co_ci_u32_e32 v5, vcc_lo, 0, v14, vcc_lo
	s_delay_alu instid0(VALU_DEP_2) | instskip(NEXT) | instid1(VALU_DEP_2)
	v_add_co_u32 v3, vcc_lo, v3, v13
	v_add_co_ci_u32_e32 v5, vcc_lo, 0, v5, vcc_lo
	s_delay_alu instid0(VALU_DEP_2) | instskip(SKIP_1) | instid1(VALU_DEP_3)
	v_mul_lo_u32 v11, s29, v3
	v_mad_u64_u32 v[9:10], null, s28, v3, 0
	v_mul_lo_u32 v12, s28, v5
	s_delay_alu instid0(VALU_DEP_2) | instskip(NEXT) | instid1(VALU_DEP_2)
	v_sub_co_u32 v9, vcc_lo, v16, v9
	v_add3_u32 v10, v10, v12, v11
	s_delay_alu instid0(VALU_DEP_1) | instskip(NEXT) | instid1(VALU_DEP_1)
	v_sub_nc_u32_e32 v11, v7, v10
	v_subrev_co_ci_u32_e64 v11, s0, s29, v11, vcc_lo
	v_add_co_u32 v12, s0, v3, 2
	s_delay_alu instid0(VALU_DEP_1) | instskip(SKIP_3) | instid1(VALU_DEP_3)
	v_add_co_ci_u32_e64 v13, s0, 0, v5, s0
	v_sub_co_u32 v14, s0, v9, s28
	v_sub_co_ci_u32_e32 v7, vcc_lo, v7, v10, vcc_lo
	v_subrev_co_ci_u32_e64 v11, s0, 0, v11, s0
	v_cmp_le_u32_e32 vcc_lo, s28, v14
	s_delay_alu instid0(VALU_DEP_3) | instskip(SKIP_1) | instid1(VALU_DEP_4)
	v_cmp_eq_u32_e64 s0, s29, v7
	v_cndmask_b32_e64 v10, 0, -1, vcc_lo
	v_cmp_le_u32_e32 vcc_lo, s29, v11
	v_cndmask_b32_e64 v14, 0, -1, vcc_lo
	v_cmp_le_u32_e32 vcc_lo, s28, v9
	v_cndmask_b32_e64 v9, 0, -1, vcc_lo
	v_cmp_le_u32_e32 vcc_lo, s29, v7
	v_cndmask_b32_e64 v16, 0, -1, vcc_lo
	v_cmp_eq_u32_e32 vcc_lo, s29, v11
	s_delay_alu instid0(VALU_DEP_2) | instskip(SKIP_3) | instid1(VALU_DEP_3)
	v_cndmask_b32_e64 v7, v16, v9, s0
	v_cndmask_b32_e32 v10, v14, v10, vcc_lo
	v_add_co_u32 v11, vcc_lo, v3, 1
	v_add_co_ci_u32_e32 v14, vcc_lo, 0, v5, vcc_lo
	v_cmp_ne_u32_e32 vcc_lo, 0, v10
	s_delay_alu instid0(VALU_DEP_2) | instskip(SKIP_2) | instid1(VALU_DEP_3)
	v_dual_cndmask_b32 v10, v11, v12 :: v_dual_cndmask_b32 v9, v14, v13
	v_cmp_ne_u32_e32 vcc_lo, 0, v7
	v_xor_b32_e32 v7, s26, v15
	v_cndmask_b32_e32 v3, v3, v10, vcc_lo
	s_delay_alu instid0(VALU_DEP_4) | instskip(SKIP_1) | instid1(VALU_DEP_3)
	v_cndmask_b32_e32 v5, v5, v9, vcc_lo
	v_xor_b32_e32 v9, s27, v15
	v_xor_b32_e32 v3, v3, v7
	s_delay_alu instid0(VALU_DEP_2) | instskip(NEXT) | instid1(VALU_DEP_2)
	v_xor_b32_e32 v5, v5, v9
	v_sub_co_u32 v10, vcc_lo, v3, v7
	s_delay_alu instid0(VALU_DEP_2)
	v_sub_co_ci_u32_e32 v11, vcc_lo, v5, v9, vcc_lo
.LBB77_24:                              ;   in Loop: Header=BB77_22 Depth=2
	s_and_not1_saveexec_b32 s0, s43
	s_cbranch_execz .LBB77_26
; %bb.25:                               ;   in Loop: Header=BB77_22 Depth=2
	v_cvt_f32_u32_e32 v3, s13
	s_sub_i32 s26, 0, s13
	v_mov_b32_e32 v11, v2
	s_delay_alu instid0(VALU_DEP_2) | instskip(SKIP_2) | instid1(VALU_DEP_1)
	v_rcp_iflag_f32_e32 v3, v3
	s_waitcnt_depctr 0xfff
	v_mul_f32_e32 v3, 0x4f7ffffe, v3
	v_cvt_u32_f32_e32 v3, v3
	s_delay_alu instid0(VALU_DEP_1) | instskip(NEXT) | instid1(VALU_DEP_1)
	v_mul_lo_u32 v5, s26, v3
	v_mul_hi_u32 v5, v3, v5
	s_delay_alu instid0(VALU_DEP_1) | instskip(NEXT) | instid1(VALU_DEP_1)
	v_add_nc_u32_e32 v3, v3, v5
	v_mul_hi_u32 v3, v8, v3
	s_delay_alu instid0(VALU_DEP_1) | instskip(SKIP_1) | instid1(VALU_DEP_2)
	v_mul_lo_u32 v5, v3, s13
	v_add_nc_u32_e32 v7, 1, v3
	v_sub_nc_u32_e32 v5, v8, v5
	s_delay_alu instid0(VALU_DEP_1) | instskip(SKIP_1) | instid1(VALU_DEP_4)
	v_cmp_le_u32_e32 vcc_lo, s13, v5
	v_subrev_nc_u32_e32 v9, s13, v5
	v_cndmask_b32_e32 v3, v3, v7, vcc_lo
	s_delay_alu instid0(VALU_DEP_1) | instskip(NEXT) | instid1(VALU_DEP_3)
	v_add_nc_u32_e32 v7, 1, v3
	v_cndmask_b32_e32 v5, v5, v9, vcc_lo
	s_delay_alu instid0(VALU_DEP_1) | instskip(NEXT) | instid1(VALU_DEP_3)
	v_cmp_le_u32_e32 vcc_lo, s13, v5
	v_cndmask_b32_e32 v10, v3, v7, vcc_lo
.LBB77_26:                              ;   in Loop: Header=BB77_22 Depth=2
	s_or_b32 exec_lo, exec_lo, s0
	s_add_u32 s28, s36, s22
	s_addc_u32 s29, s37, s23
	s_add_i32 s22, s16, -1
	s_mov_b32 s23, s17
                                        ; implicit-def: $vgpr12_vgpr13
	s_delay_alu instid0(SALU_CYCLE_1) | instskip(NEXT) | instid1(SALU_CYCLE_1)
	s_lshl_b64 s[26:27], s[22:23], 2
	s_add_u32 s22, s31, s26
	s_addc_u32 s23, s33, s27
	s_clause 0x2
	s_load_b32 s45, s[22:23], 0x8
	s_load_b32 s43, s[24:25], 0x6c
	;; [unrolled: 1-line block ×3, first 2 shown]
	s_mov_b32 s24, exec_lo
	s_waitcnt lgkmcnt(0)
	s_ashr_i32 s0, s45, 31
	s_delay_alu instid0(SALU_CYCLE_1) | instskip(NEXT) | instid1(VALU_DEP_1)
	v_or_b32_e32 v3, s0, v11
	v_cmpx_ne_u64_e32 0, v[2:3]
	s_xor_b32 s46, exec_lo, s24
	s_cbranch_execz .LBB77_28
; %bb.27:                               ;   in Loop: Header=BB77_22 Depth=2
	s_add_u32 s28, s45, s0
	s_mov_b32 s24, s0
	s_mov_b32 s25, s0
	s_addc_u32 s29, s0, s0
	v_ashrrev_i32_e32 v17, 31, v11
	s_xor_b64 s[28:29], s[28:29], s[24:25]
	s_delay_alu instid0(SALU_CYCLE_1) | instskip(SKIP_3) | instid1(VALU_DEP_1)
	v_cvt_f32_u32_e32 v3, s28
	v_cvt_f32_u32_e32 v5, s29
	s_sub_u32 s0, 0, s28
	s_subb_u32 s47, 0, s29
	v_fmac_f32_e32 v3, 0x4f800000, v5
	s_delay_alu instid0(VALU_DEP_1) | instskip(SKIP_2) | instid1(VALU_DEP_1)
	v_rcp_f32_e32 v3, v3
	s_waitcnt_depctr 0xfff
	v_mul_f32_e32 v3, 0x5f7ffffc, v3
	v_mul_f32_e32 v5, 0x2f800000, v3
	s_delay_alu instid0(VALU_DEP_1) | instskip(NEXT) | instid1(VALU_DEP_1)
	v_trunc_f32_e32 v5, v5
	v_fmac_f32_e32 v3, 0xcf800000, v5
	v_cvt_u32_f32_e32 v5, v5
	s_delay_alu instid0(VALU_DEP_2) | instskip(NEXT) | instid1(VALU_DEP_2)
	v_cvt_u32_f32_e32 v3, v3
	v_mul_lo_u32 v7, s0, v5
	s_delay_alu instid0(VALU_DEP_2) | instskip(SKIP_1) | instid1(VALU_DEP_2)
	v_mul_hi_u32 v9, s0, v3
	v_mul_lo_u32 v12, s47, v3
	v_add_nc_u32_e32 v7, v9, v7
	v_mul_lo_u32 v9, s0, v3
	s_delay_alu instid0(VALU_DEP_2) | instskip(NEXT) | instid1(VALU_DEP_2)
	v_add_nc_u32_e32 v7, v7, v12
	v_mul_hi_u32 v12, v3, v9
	s_delay_alu instid0(VALU_DEP_2)
	v_mul_lo_u32 v13, v3, v7
	v_mul_hi_u32 v14, v3, v7
	v_mul_hi_u32 v15, v5, v9
	v_mul_lo_u32 v9, v5, v9
	v_mul_hi_u32 v16, v5, v7
	v_mul_lo_u32 v7, v5, v7
	v_add_co_u32 v12, vcc_lo, v12, v13
	v_add_co_ci_u32_e32 v13, vcc_lo, 0, v14, vcc_lo
	s_delay_alu instid0(VALU_DEP_2) | instskip(NEXT) | instid1(VALU_DEP_2)
	v_add_co_u32 v9, vcc_lo, v12, v9
	v_add_co_ci_u32_e32 v9, vcc_lo, v13, v15, vcc_lo
	v_add_co_ci_u32_e32 v12, vcc_lo, 0, v16, vcc_lo
	s_delay_alu instid0(VALU_DEP_2) | instskip(NEXT) | instid1(VALU_DEP_2)
	v_add_co_u32 v7, vcc_lo, v9, v7
	v_add_co_ci_u32_e32 v9, vcc_lo, 0, v12, vcc_lo
	s_delay_alu instid0(VALU_DEP_2) | instskip(NEXT) | instid1(VALU_DEP_2)
	v_add_co_u32 v3, vcc_lo, v3, v7
	v_add_co_ci_u32_e32 v5, vcc_lo, v5, v9, vcc_lo
	s_delay_alu instid0(VALU_DEP_2) | instskip(SKIP_1) | instid1(VALU_DEP_3)
	v_mul_hi_u32 v7, s0, v3
	v_mul_lo_u32 v12, s47, v3
	v_mul_lo_u32 v9, s0, v5
	s_delay_alu instid0(VALU_DEP_1) | instskip(SKIP_1) | instid1(VALU_DEP_2)
	v_add_nc_u32_e32 v7, v7, v9
	v_mul_lo_u32 v9, s0, v3
	v_add_nc_u32_e32 v7, v7, v12
	s_delay_alu instid0(VALU_DEP_2) | instskip(NEXT) | instid1(VALU_DEP_2)
	v_mul_hi_u32 v12, v3, v9
	v_mul_lo_u32 v13, v3, v7
	v_mul_hi_u32 v14, v3, v7
	v_mul_hi_u32 v15, v5, v9
	v_mul_lo_u32 v9, v5, v9
	v_mul_hi_u32 v16, v5, v7
	v_mul_lo_u32 v7, v5, v7
	v_add_co_u32 v12, vcc_lo, v12, v13
	v_add_co_ci_u32_e32 v13, vcc_lo, 0, v14, vcc_lo
	s_delay_alu instid0(VALU_DEP_2) | instskip(NEXT) | instid1(VALU_DEP_2)
	v_add_co_u32 v9, vcc_lo, v12, v9
	v_add_co_ci_u32_e32 v9, vcc_lo, v13, v15, vcc_lo
	v_add_co_ci_u32_e32 v12, vcc_lo, 0, v16, vcc_lo
	v_add_co_u32 v13, vcc_lo, v10, v17
	v_add_co_ci_u32_e32 v11, vcc_lo, v11, v17, vcc_lo
	s_delay_alu instid0(VALU_DEP_4) | instskip(NEXT) | instid1(VALU_DEP_4)
	v_add_co_u32 v7, vcc_lo, v9, v7
	v_add_co_ci_u32_e32 v9, vcc_lo, 0, v12, vcc_lo
	s_delay_alu instid0(VALU_DEP_4) | instskip(NEXT) | instid1(VALU_DEP_3)
	v_xor_b32_e32 v21, v13, v17
	v_add_co_u32 v3, vcc_lo, v3, v7
	s_delay_alu instid0(VALU_DEP_3) | instskip(SKIP_1) | instid1(VALU_DEP_3)
	v_add_co_ci_u32_e32 v5, vcc_lo, v5, v9, vcc_lo
	v_xor_b32_e32 v7, v11, v17
	v_mul_hi_u32 v9, v21, v3
	s_delay_alu instid0(VALU_DEP_3) | instskip(NEXT) | instid1(VALU_DEP_3)
	v_mad_u64_u32 v[11:12], null, v21, v5, 0
	v_mad_u64_u32 v[13:14], null, v7, v3, 0
	;; [unrolled: 1-line block ×3, first 2 shown]
	s_delay_alu instid0(VALU_DEP_3) | instskip(NEXT) | instid1(VALU_DEP_4)
	v_add_co_u32 v3, vcc_lo, v9, v11
	v_add_co_ci_u32_e32 v5, vcc_lo, 0, v12, vcc_lo
	s_delay_alu instid0(VALU_DEP_2) | instskip(NEXT) | instid1(VALU_DEP_2)
	v_add_co_u32 v3, vcc_lo, v3, v13
	v_add_co_ci_u32_e32 v3, vcc_lo, v5, v14, vcc_lo
	v_add_co_ci_u32_e32 v5, vcc_lo, 0, v16, vcc_lo
	s_delay_alu instid0(VALU_DEP_2) | instskip(NEXT) | instid1(VALU_DEP_2)
	v_add_co_u32 v3, vcc_lo, v3, v15
	v_add_co_ci_u32_e32 v5, vcc_lo, 0, v5, vcc_lo
	s_delay_alu instid0(VALU_DEP_2) | instskip(SKIP_1) | instid1(VALU_DEP_3)
	v_mul_lo_u32 v9, s29, v3
	v_mad_u64_u32 v[11:12], null, s28, v3, 0
	v_mul_lo_u32 v13, s28, v5
	s_delay_alu instid0(VALU_DEP_2) | instskip(NEXT) | instid1(VALU_DEP_2)
	v_sub_co_u32 v11, vcc_lo, v21, v11
	v_add3_u32 v9, v12, v13, v9
	s_delay_alu instid0(VALU_DEP_1) | instskip(NEXT) | instid1(VALU_DEP_1)
	v_sub_nc_u32_e32 v12, v7, v9
	v_subrev_co_ci_u32_e64 v12, s0, s29, v12, vcc_lo
	v_add_co_u32 v13, s0, v3, 2
	s_delay_alu instid0(VALU_DEP_1) | instskip(SKIP_3) | instid1(VALU_DEP_3)
	v_add_co_ci_u32_e64 v14, s0, 0, v5, s0
	v_sub_co_u32 v15, s0, v11, s28
	v_sub_co_ci_u32_e32 v7, vcc_lo, v7, v9, vcc_lo
	v_subrev_co_ci_u32_e64 v12, s0, 0, v12, s0
	v_cmp_le_u32_e32 vcc_lo, s28, v15
	s_delay_alu instid0(VALU_DEP_3) | instskip(SKIP_1) | instid1(VALU_DEP_4)
	v_cmp_eq_u32_e64 s0, s29, v7
	v_cndmask_b32_e64 v9, 0, -1, vcc_lo
	v_cmp_le_u32_e32 vcc_lo, s29, v12
	v_cndmask_b32_e64 v15, 0, -1, vcc_lo
	v_cmp_le_u32_e32 vcc_lo, s28, v11
	;; [unrolled: 2-line block ×3, first 2 shown]
	v_cndmask_b32_e64 v16, 0, -1, vcc_lo
	v_cmp_eq_u32_e32 vcc_lo, s29, v12
	s_delay_alu instid0(VALU_DEP_2) | instskip(SKIP_3) | instid1(VALU_DEP_3)
	v_cndmask_b32_e64 v7, v16, v11, s0
	v_cndmask_b32_e32 v9, v15, v9, vcc_lo
	v_add_co_u32 v12, vcc_lo, v3, 1
	v_add_co_ci_u32_e32 v15, vcc_lo, 0, v5, vcc_lo
	v_cmp_ne_u32_e32 vcc_lo, 0, v9
	s_delay_alu instid0(VALU_DEP_2) | instskip(NEXT) | instid1(VALU_DEP_4)
	v_cndmask_b32_e32 v9, v15, v14, vcc_lo
	v_cndmask_b32_e32 v11, v12, v13, vcc_lo
	v_cmp_ne_u32_e32 vcc_lo, 0, v7
	v_xor_b32_e32 v7, s24, v17
	s_delay_alu instid0(VALU_DEP_3) | instskip(SKIP_2) | instid1(VALU_DEP_3)
	v_cndmask_b32_e32 v3, v3, v11, vcc_lo
	v_cndmask_b32_e32 v5, v5, v9, vcc_lo
	v_xor_b32_e32 v9, s25, v17
	v_xor_b32_e32 v3, v3, v7
	s_delay_alu instid0(VALU_DEP_2) | instskip(NEXT) | instid1(VALU_DEP_2)
	v_xor_b32_e32 v5, v5, v9
	v_sub_co_u32 v12, vcc_lo, v3, v7
	s_delay_alu instid0(VALU_DEP_2)
	v_sub_co_ci_u32_e32 v13, vcc_lo, v5, v9, vcc_lo
.LBB77_28:                              ;   in Loop: Header=BB77_22 Depth=2
	s_and_not1_saveexec_b32 s0, s46
	s_cbranch_execz .LBB77_30
; %bb.29:                               ;   in Loop: Header=BB77_22 Depth=2
	v_cvt_f32_u32_e32 v3, s45
	s_sub_i32 s24, 0, s45
	v_mov_b32_e32 v13, v2
	s_delay_alu instid0(VALU_DEP_2) | instskip(SKIP_2) | instid1(VALU_DEP_1)
	v_rcp_iflag_f32_e32 v3, v3
	s_waitcnt_depctr 0xfff
	v_mul_f32_e32 v3, 0x4f7ffffe, v3
	v_cvt_u32_f32_e32 v3, v3
	s_delay_alu instid0(VALU_DEP_1) | instskip(NEXT) | instid1(VALU_DEP_1)
	v_mul_lo_u32 v5, s24, v3
	v_mul_hi_u32 v5, v3, v5
	s_delay_alu instid0(VALU_DEP_1) | instskip(NEXT) | instid1(VALU_DEP_1)
	v_add_nc_u32_e32 v3, v3, v5
	v_mul_hi_u32 v3, v10, v3
	s_delay_alu instid0(VALU_DEP_1) | instskip(SKIP_1) | instid1(VALU_DEP_2)
	v_mul_lo_u32 v5, v3, s45
	v_add_nc_u32_e32 v7, 1, v3
	v_sub_nc_u32_e32 v5, v10, v5
	s_delay_alu instid0(VALU_DEP_1) | instskip(SKIP_1) | instid1(VALU_DEP_4)
	v_cmp_le_u32_e32 vcc_lo, s45, v5
	v_subrev_nc_u32_e32 v9, s45, v5
	v_cndmask_b32_e32 v3, v3, v7, vcc_lo
	s_delay_alu instid0(VALU_DEP_1) | instskip(NEXT) | instid1(VALU_DEP_3)
	v_add_nc_u32_e32 v7, 1, v3
	v_cndmask_b32_e32 v5, v5, v9, vcc_lo
	s_delay_alu instid0(VALU_DEP_1) | instskip(NEXT) | instid1(VALU_DEP_3)
	v_cmp_le_u32_e32 vcc_lo, s45, v5
	v_cndmask_b32_e32 v12, v3, v7, vcc_lo
.LBB77_30:                              ;   in Loop: Header=BB77_22 Depth=2
	s_or_b32 exec_lo, exec_lo, s0
	s_add_u32 s28, s36, s26
	s_addc_u32 s29, s37, s27
	s_add_i32 s24, s16, -2
	s_mov_b32 s25, s17
                                        ; implicit-def: $vgpr14_vgpr15
	s_delay_alu instid0(SALU_CYCLE_1) | instskip(NEXT) | instid1(SALU_CYCLE_1)
	s_lshl_b64 s[24:25], s[24:25], 2
	s_add_u32 s26, s31, s24
	s_addc_u32 s27, s33, s25
	s_clause 0x2
	s_load_b32 s48, s[26:27], 0x8
	s_load_b32 s46, s[22:23], 0x6c
	;; [unrolled: 1-line block ×3, first 2 shown]
	s_mov_b32 s22, exec_lo
	s_waitcnt lgkmcnt(0)
	s_ashr_i32 s0, s48, 31
	s_delay_alu instid0(SALU_CYCLE_1) | instskip(NEXT) | instid1(VALU_DEP_1)
	v_or_b32_e32 v3, s0, v13
	v_cmpx_ne_u64_e32 0, v[2:3]
	s_xor_b32 s49, exec_lo, s22
	s_cbranch_execz .LBB77_32
; %bb.31:                               ;   in Loop: Header=BB77_22 Depth=2
	s_add_u32 s28, s48, s0
	s_mov_b32 s22, s0
	s_mov_b32 s23, s0
	s_addc_u32 s29, s0, s0
	s_delay_alu instid0(SALU_CYCLE_1) | instskip(NEXT) | instid1(SALU_CYCLE_1)
	s_xor_b64 s[28:29], s[28:29], s[22:23]
	v_cvt_f32_u32_e32 v3, s28
	v_cvt_f32_u32_e32 v5, s29
	s_sub_u32 s0, 0, s28
	s_subb_u32 s50, 0, s29
	s_delay_alu instid0(VALU_DEP_1) | instskip(NEXT) | instid1(VALU_DEP_1)
	v_fmac_f32_e32 v3, 0x4f800000, v5
	v_rcp_f32_e32 v3, v3
	s_waitcnt_depctr 0xfff
	v_mul_f32_e32 v3, 0x5f7ffffc, v3
	s_delay_alu instid0(VALU_DEP_1) | instskip(NEXT) | instid1(VALU_DEP_1)
	v_mul_f32_e32 v5, 0x2f800000, v3
	v_trunc_f32_e32 v5, v5
	s_delay_alu instid0(VALU_DEP_1) | instskip(SKIP_1) | instid1(VALU_DEP_2)
	v_fmac_f32_e32 v3, 0xcf800000, v5
	v_cvt_u32_f32_e32 v5, v5
	v_cvt_u32_f32_e32 v3, v3
	s_delay_alu instid0(VALU_DEP_2) | instskip(NEXT) | instid1(VALU_DEP_2)
	v_mul_lo_u32 v7, s0, v5
	v_mul_hi_u32 v9, s0, v3
	v_mul_lo_u32 v11, s50, v3
	s_delay_alu instid0(VALU_DEP_2) | instskip(SKIP_1) | instid1(VALU_DEP_2)
	v_add_nc_u32_e32 v7, v9, v7
	v_mul_lo_u32 v9, s0, v3
	v_add_nc_u32_e32 v7, v7, v11
	s_delay_alu instid0(VALU_DEP_2) | instskip(NEXT) | instid1(VALU_DEP_2)
	v_mul_hi_u32 v11, v3, v9
	v_mul_lo_u32 v14, v3, v7
	v_mul_hi_u32 v15, v3, v7
	v_mul_hi_u32 v16, v5, v9
	v_mul_lo_u32 v9, v5, v9
	v_mul_hi_u32 v17, v5, v7
	v_mul_lo_u32 v7, v5, v7
	v_add_co_u32 v11, vcc_lo, v11, v14
	v_add_co_ci_u32_e32 v14, vcc_lo, 0, v15, vcc_lo
	s_delay_alu instid0(VALU_DEP_2) | instskip(NEXT) | instid1(VALU_DEP_2)
	v_add_co_u32 v9, vcc_lo, v11, v9
	v_add_co_ci_u32_e32 v9, vcc_lo, v14, v16, vcc_lo
	v_add_co_ci_u32_e32 v11, vcc_lo, 0, v17, vcc_lo
	v_ashrrev_i32_e32 v17, 31, v13
	s_delay_alu instid0(VALU_DEP_3) | instskip(NEXT) | instid1(VALU_DEP_3)
	v_add_co_u32 v7, vcc_lo, v9, v7
	v_add_co_ci_u32_e32 v9, vcc_lo, 0, v11, vcc_lo
	s_delay_alu instid0(VALU_DEP_2) | instskip(NEXT) | instid1(VALU_DEP_2)
	v_add_co_u32 v3, vcc_lo, v3, v7
	v_add_co_ci_u32_e32 v5, vcc_lo, v5, v9, vcc_lo
	s_delay_alu instid0(VALU_DEP_2) | instskip(SKIP_1) | instid1(VALU_DEP_3)
	v_mul_hi_u32 v7, s0, v3
	v_mul_lo_u32 v11, s50, v3
	v_mul_lo_u32 v9, s0, v5
	s_delay_alu instid0(VALU_DEP_1) | instskip(SKIP_1) | instid1(VALU_DEP_2)
	v_add_nc_u32_e32 v7, v7, v9
	v_mul_lo_u32 v9, s0, v3
	v_add_nc_u32_e32 v7, v7, v11
	s_delay_alu instid0(VALU_DEP_2) | instskip(NEXT) | instid1(VALU_DEP_2)
	v_mul_hi_u32 v11, v3, v9
	v_mul_lo_u32 v14, v3, v7
	v_mul_hi_u32 v15, v3, v7
	v_mul_hi_u32 v16, v5, v9
	v_mul_lo_u32 v9, v5, v9
	v_mul_hi_u32 v21, v5, v7
	v_mul_lo_u32 v7, v5, v7
	v_add_co_u32 v11, vcc_lo, v11, v14
	v_add_co_ci_u32_e32 v14, vcc_lo, 0, v15, vcc_lo
	s_delay_alu instid0(VALU_DEP_2) | instskip(NEXT) | instid1(VALU_DEP_2)
	v_add_co_u32 v9, vcc_lo, v11, v9
	v_add_co_ci_u32_e32 v9, vcc_lo, v14, v16, vcc_lo
	v_add_co_ci_u32_e32 v11, vcc_lo, 0, v21, vcc_lo
	v_add_co_u32 v14, vcc_lo, v12, v17
	v_add_co_ci_u32_e32 v13, vcc_lo, v13, v17, vcc_lo
	s_delay_alu instid0(VALU_DEP_4) | instskip(NEXT) | instid1(VALU_DEP_4)
	v_add_co_u32 v7, vcc_lo, v9, v7
	v_add_co_ci_u32_e32 v9, vcc_lo, 0, v11, vcc_lo
	s_delay_alu instid0(VALU_DEP_4) | instskip(NEXT) | instid1(VALU_DEP_3)
	v_xor_b32_e32 v11, v14, v17
	v_add_co_u32 v3, vcc_lo, v3, v7
	s_delay_alu instid0(VALU_DEP_3) | instskip(SKIP_1) | instid1(VALU_DEP_3)
	v_add_co_ci_u32_e32 v5, vcc_lo, v5, v9, vcc_lo
	v_xor_b32_e32 v7, v13, v17
	v_mul_hi_u32 v9, v11, v3
	s_delay_alu instid0(VALU_DEP_3) | instskip(NEXT) | instid1(VALU_DEP_3)
	v_mad_u64_u32 v[13:14], null, v11, v5, 0
	v_mad_u64_u32 v[15:16], null, v7, v3, 0
	;; [unrolled: 1-line block ×3, first 2 shown]
	s_delay_alu instid0(VALU_DEP_3) | instskip(NEXT) | instid1(VALU_DEP_4)
	v_add_co_u32 v3, vcc_lo, v9, v13
	v_add_co_ci_u32_e32 v5, vcc_lo, 0, v14, vcc_lo
	s_delay_alu instid0(VALU_DEP_2) | instskip(NEXT) | instid1(VALU_DEP_2)
	v_add_co_u32 v3, vcc_lo, v3, v15
	v_add_co_ci_u32_e32 v3, vcc_lo, v5, v16, vcc_lo
	v_add_co_ci_u32_e32 v5, vcc_lo, 0, v22, vcc_lo
	s_delay_alu instid0(VALU_DEP_2) | instskip(NEXT) | instid1(VALU_DEP_2)
	v_add_co_u32 v3, vcc_lo, v3, v21
	v_add_co_ci_u32_e32 v5, vcc_lo, 0, v5, vcc_lo
	s_delay_alu instid0(VALU_DEP_2) | instskip(SKIP_1) | instid1(VALU_DEP_3)
	v_mul_lo_u32 v9, s29, v3
	v_mad_u64_u32 v[13:14], null, s28, v3, 0
	v_mul_lo_u32 v15, s28, v5
	s_delay_alu instid0(VALU_DEP_2) | instskip(NEXT) | instid1(VALU_DEP_2)
	v_sub_co_u32 v11, vcc_lo, v11, v13
	v_add3_u32 v9, v14, v15, v9
	s_delay_alu instid0(VALU_DEP_1) | instskip(NEXT) | instid1(VALU_DEP_1)
	v_sub_nc_u32_e32 v14, v7, v9
	v_subrev_co_ci_u32_e64 v13, s0, s29, v14, vcc_lo
	v_add_co_u32 v14, s0, v3, 2
	s_delay_alu instid0(VALU_DEP_1) | instskip(SKIP_3) | instid1(VALU_DEP_3)
	v_add_co_ci_u32_e64 v15, s0, 0, v5, s0
	v_sub_co_u32 v16, s0, v11, s28
	v_sub_co_ci_u32_e32 v7, vcc_lo, v7, v9, vcc_lo
	v_subrev_co_ci_u32_e64 v13, s0, 0, v13, s0
	v_cmp_le_u32_e32 vcc_lo, s28, v16
	s_delay_alu instid0(VALU_DEP_3) | instskip(SKIP_1) | instid1(VALU_DEP_4)
	v_cmp_eq_u32_e64 s0, s29, v7
	v_cndmask_b32_e64 v9, 0, -1, vcc_lo
	v_cmp_le_u32_e32 vcc_lo, s29, v13
	v_cndmask_b32_e64 v16, 0, -1, vcc_lo
	v_cmp_le_u32_e32 vcc_lo, s28, v11
	;; [unrolled: 2-line block ×3, first 2 shown]
	v_cndmask_b32_e64 v21, 0, -1, vcc_lo
	v_cmp_eq_u32_e32 vcc_lo, s29, v13
	s_delay_alu instid0(VALU_DEP_2) | instskip(SKIP_3) | instid1(VALU_DEP_3)
	v_cndmask_b32_e64 v7, v21, v11, s0
	v_cndmask_b32_e32 v9, v16, v9, vcc_lo
	v_add_co_u32 v13, vcc_lo, v3, 1
	v_add_co_ci_u32_e32 v16, vcc_lo, 0, v5, vcc_lo
	v_cmp_ne_u32_e32 vcc_lo, 0, v9
	s_delay_alu instid0(VALU_DEP_2) | instskip(NEXT) | instid1(VALU_DEP_4)
	v_cndmask_b32_e32 v9, v16, v15, vcc_lo
	v_cndmask_b32_e32 v11, v13, v14, vcc_lo
	v_cmp_ne_u32_e32 vcc_lo, 0, v7
	v_xor_b32_e32 v7, s22, v17
	s_delay_alu instid0(VALU_DEP_3) | instskip(SKIP_2) | instid1(VALU_DEP_3)
	v_cndmask_b32_e32 v3, v3, v11, vcc_lo
	v_cndmask_b32_e32 v5, v5, v9, vcc_lo
	v_xor_b32_e32 v9, s23, v17
	v_xor_b32_e32 v3, v3, v7
	s_delay_alu instid0(VALU_DEP_2) | instskip(NEXT) | instid1(VALU_DEP_2)
	v_xor_b32_e32 v5, v5, v9
	v_sub_co_u32 v14, vcc_lo, v3, v7
	s_delay_alu instid0(VALU_DEP_2)
	v_sub_co_ci_u32_e32 v15, vcc_lo, v5, v9, vcc_lo
.LBB77_32:                              ;   in Loop: Header=BB77_22 Depth=2
	s_and_not1_saveexec_b32 s0, s49
	s_cbranch_execz .LBB77_34
; %bb.33:                               ;   in Loop: Header=BB77_22 Depth=2
	v_cvt_f32_u32_e32 v3, s48
	s_sub_i32 s22, 0, s48
	v_mov_b32_e32 v15, v2
	s_delay_alu instid0(VALU_DEP_2) | instskip(SKIP_2) | instid1(VALU_DEP_1)
	v_rcp_iflag_f32_e32 v3, v3
	s_waitcnt_depctr 0xfff
	v_mul_f32_e32 v3, 0x4f7ffffe, v3
	v_cvt_u32_f32_e32 v3, v3
	s_delay_alu instid0(VALU_DEP_1) | instskip(NEXT) | instid1(VALU_DEP_1)
	v_mul_lo_u32 v5, s22, v3
	v_mul_hi_u32 v5, v3, v5
	s_delay_alu instid0(VALU_DEP_1) | instskip(NEXT) | instid1(VALU_DEP_1)
	v_add_nc_u32_e32 v3, v3, v5
	v_mul_hi_u32 v3, v12, v3
	s_delay_alu instid0(VALU_DEP_1) | instskip(SKIP_1) | instid1(VALU_DEP_2)
	v_mul_lo_u32 v5, v3, s48
	v_add_nc_u32_e32 v7, 1, v3
	v_sub_nc_u32_e32 v5, v12, v5
	s_delay_alu instid0(VALU_DEP_1) | instskip(SKIP_1) | instid1(VALU_DEP_4)
	v_cmp_le_u32_e32 vcc_lo, s48, v5
	v_subrev_nc_u32_e32 v9, s48, v5
	v_cndmask_b32_e32 v3, v3, v7, vcc_lo
	s_delay_alu instid0(VALU_DEP_1) | instskip(NEXT) | instid1(VALU_DEP_3)
	v_add_nc_u32_e32 v7, 1, v3
	v_cndmask_b32_e32 v5, v5, v9, vcc_lo
	s_delay_alu instid0(VALU_DEP_1) | instskip(NEXT) | instid1(VALU_DEP_3)
	v_cmp_le_u32_e32 vcc_lo, s48, v5
	v_cndmask_b32_e32 v14, v3, v7, vcc_lo
.LBB77_34:                              ;   in Loop: Header=BB77_22 Depth=2
	s_or_b32 exec_lo, exec_lo, s0
	s_add_u32 s28, s36, s24
	s_addc_u32 s29, s37, s25
	s_add_i32 s22, s16, -3
	s_mov_b32 s23, s17
                                        ; implicit-def: $vgpr16_vgpr17
	s_delay_alu instid0(SALU_CYCLE_1) | instskip(NEXT) | instid1(SALU_CYCLE_1)
	s_lshl_b64 s[24:25], s[22:23], 2
	s_add_u32 s22, s31, s24
	s_addc_u32 s23, s33, s25
	s_clause 0x2
	s_load_b32 s51, s[22:23], 0x8
	s_load_b32 s49, s[26:27], 0x6c
	s_load_b32 s50, s[28:29], 0x0
	s_mov_b32 s26, exec_lo
	s_waitcnt lgkmcnt(0)
	s_ashr_i32 s0, s51, 31
	s_delay_alu instid0(SALU_CYCLE_1) | instskip(NEXT) | instid1(VALU_DEP_1)
	v_or_b32_e32 v3, s0, v15
	v_cmpx_ne_u64_e32 0, v[2:3]
	s_xor_b32 s52, exec_lo, s26
	s_cbranch_execz .LBB77_36
; %bb.35:                               ;   in Loop: Header=BB77_22 Depth=2
	s_add_u32 s28, s51, s0
	s_mov_b32 s26, s0
	s_mov_b32 s27, s0
	s_addc_u32 s29, s0, s0
	s_delay_alu instid0(SALU_CYCLE_1) | instskip(NEXT) | instid1(SALU_CYCLE_1)
	s_xor_b64 s[28:29], s[28:29], s[26:27]
	v_cvt_f32_u32_e32 v3, s28
	v_cvt_f32_u32_e32 v5, s29
	s_sub_u32 s0, 0, s28
	s_subb_u32 s53, 0, s29
	s_delay_alu instid0(VALU_DEP_1) | instskip(NEXT) | instid1(VALU_DEP_1)
	v_fmac_f32_e32 v3, 0x4f800000, v5
	v_rcp_f32_e32 v3, v3
	s_waitcnt_depctr 0xfff
	v_mul_f32_e32 v3, 0x5f7ffffc, v3
	s_delay_alu instid0(VALU_DEP_1) | instskip(NEXT) | instid1(VALU_DEP_1)
	v_mul_f32_e32 v5, 0x2f800000, v3
	v_trunc_f32_e32 v5, v5
	s_delay_alu instid0(VALU_DEP_1) | instskip(SKIP_1) | instid1(VALU_DEP_2)
	v_fmac_f32_e32 v3, 0xcf800000, v5
	v_cvt_u32_f32_e32 v5, v5
	v_cvt_u32_f32_e32 v3, v3
	s_delay_alu instid0(VALU_DEP_2) | instskip(NEXT) | instid1(VALU_DEP_2)
	v_mul_lo_u32 v7, s0, v5
	v_mul_hi_u32 v9, s0, v3
	v_mul_lo_u32 v11, s53, v3
	s_delay_alu instid0(VALU_DEP_2) | instskip(SKIP_1) | instid1(VALU_DEP_2)
	v_add_nc_u32_e32 v7, v9, v7
	v_mul_lo_u32 v9, s0, v3
	v_add_nc_u32_e32 v7, v7, v11
	s_delay_alu instid0(VALU_DEP_2) | instskip(NEXT) | instid1(VALU_DEP_2)
	v_mul_hi_u32 v11, v3, v9
	v_mul_lo_u32 v13, v3, v7
	v_mul_hi_u32 v16, v3, v7
	v_mul_hi_u32 v17, v5, v9
	v_mul_lo_u32 v9, v5, v9
	v_mul_hi_u32 v21, v5, v7
	v_mul_lo_u32 v7, v5, v7
	v_add_co_u32 v11, vcc_lo, v11, v13
	v_add_co_ci_u32_e32 v13, vcc_lo, 0, v16, vcc_lo
	s_delay_alu instid0(VALU_DEP_2) | instskip(NEXT) | instid1(VALU_DEP_2)
	v_add_co_u32 v9, vcc_lo, v11, v9
	v_add_co_ci_u32_e32 v9, vcc_lo, v13, v17, vcc_lo
	v_add_co_ci_u32_e32 v11, vcc_lo, 0, v21, vcc_lo
	v_ashrrev_i32_e32 v17, 31, v15
	s_delay_alu instid0(VALU_DEP_3) | instskip(NEXT) | instid1(VALU_DEP_3)
	v_add_co_u32 v7, vcc_lo, v9, v7
	v_add_co_ci_u32_e32 v9, vcc_lo, 0, v11, vcc_lo
	s_delay_alu instid0(VALU_DEP_2) | instskip(NEXT) | instid1(VALU_DEP_2)
	v_add_co_u32 v3, vcc_lo, v3, v7
	v_add_co_ci_u32_e32 v5, vcc_lo, v5, v9, vcc_lo
	s_delay_alu instid0(VALU_DEP_2) | instskip(SKIP_1) | instid1(VALU_DEP_3)
	v_mul_hi_u32 v7, s0, v3
	v_mul_lo_u32 v11, s53, v3
	v_mul_lo_u32 v9, s0, v5
	s_delay_alu instid0(VALU_DEP_1) | instskip(SKIP_1) | instid1(VALU_DEP_2)
	v_add_nc_u32_e32 v7, v7, v9
	v_mul_lo_u32 v9, s0, v3
	v_add_nc_u32_e32 v7, v7, v11
	s_delay_alu instid0(VALU_DEP_2) | instskip(NEXT) | instid1(VALU_DEP_2)
	v_mul_hi_u32 v11, v3, v9
	v_mul_lo_u32 v13, v3, v7
	v_mul_hi_u32 v16, v3, v7
	v_mul_hi_u32 v21, v5, v9
	v_mul_lo_u32 v9, v5, v9
	v_mul_hi_u32 v22, v5, v7
	v_mul_lo_u32 v7, v5, v7
	v_add_co_u32 v11, vcc_lo, v11, v13
	v_add_co_ci_u32_e32 v13, vcc_lo, 0, v16, vcc_lo
	s_delay_alu instid0(VALU_DEP_2) | instskip(NEXT) | instid1(VALU_DEP_2)
	v_add_co_u32 v9, vcc_lo, v11, v9
	v_add_co_ci_u32_e32 v9, vcc_lo, v13, v21, vcc_lo
	v_add_co_ci_u32_e32 v11, vcc_lo, 0, v22, vcc_lo
	v_add_co_u32 v13, vcc_lo, v14, v17
	v_add_co_ci_u32_e32 v15, vcc_lo, v15, v17, vcc_lo
	s_delay_alu instid0(VALU_DEP_4) | instskip(NEXT) | instid1(VALU_DEP_4)
	v_add_co_u32 v7, vcc_lo, v9, v7
	v_add_co_ci_u32_e32 v9, vcc_lo, 0, v11, vcc_lo
	s_delay_alu instid0(VALU_DEP_4) | instskip(NEXT) | instid1(VALU_DEP_3)
	v_xor_b32_e32 v11, v13, v17
	v_add_co_u32 v3, vcc_lo, v3, v7
	s_delay_alu instid0(VALU_DEP_3) | instskip(SKIP_1) | instid1(VALU_DEP_3)
	v_add_co_ci_u32_e32 v5, vcc_lo, v5, v9, vcc_lo
	v_xor_b32_e32 v7, v15, v17
	v_mul_hi_u32 v9, v11, v3
	s_delay_alu instid0(VALU_DEP_3) | instskip(NEXT) | instid1(VALU_DEP_3)
	v_mad_u64_u32 v[15:16], null, v11, v5, 0
	v_mad_u64_u32 v[21:22], null, v7, v3, 0
	;; [unrolled: 1-line block ×3, first 2 shown]
	s_delay_alu instid0(VALU_DEP_3) | instskip(NEXT) | instid1(VALU_DEP_4)
	v_add_co_u32 v3, vcc_lo, v9, v15
	v_add_co_ci_u32_e32 v5, vcc_lo, 0, v16, vcc_lo
	s_delay_alu instid0(VALU_DEP_2) | instskip(NEXT) | instid1(VALU_DEP_2)
	v_add_co_u32 v3, vcc_lo, v3, v21
	v_add_co_ci_u32_e32 v3, vcc_lo, v5, v22, vcc_lo
	v_add_co_ci_u32_e32 v5, vcc_lo, 0, v24, vcc_lo
	s_delay_alu instid0(VALU_DEP_2) | instskip(NEXT) | instid1(VALU_DEP_2)
	v_add_co_u32 v3, vcc_lo, v3, v23
	v_add_co_ci_u32_e32 v5, vcc_lo, 0, v5, vcc_lo
	s_delay_alu instid0(VALU_DEP_2) | instskip(SKIP_1) | instid1(VALU_DEP_3)
	v_mul_lo_u32 v9, s29, v3
	v_mad_u64_u32 v[15:16], null, s28, v3, 0
	v_mul_lo_u32 v13, s28, v5
	s_delay_alu instid0(VALU_DEP_2) | instskip(NEXT) | instid1(VALU_DEP_2)
	v_sub_co_u32 v11, vcc_lo, v11, v15
	v_add3_u32 v9, v16, v13, v9
	s_delay_alu instid0(VALU_DEP_1) | instskip(NEXT) | instid1(VALU_DEP_1)
	v_sub_nc_u32_e32 v13, v7, v9
	v_subrev_co_ci_u32_e64 v13, s0, s29, v13, vcc_lo
	v_add_co_u32 v15, s0, v3, 2
	s_delay_alu instid0(VALU_DEP_1) | instskip(SKIP_3) | instid1(VALU_DEP_3)
	v_add_co_ci_u32_e64 v16, s0, 0, v5, s0
	v_sub_co_u32 v21, s0, v11, s28
	v_sub_co_ci_u32_e32 v7, vcc_lo, v7, v9, vcc_lo
	v_subrev_co_ci_u32_e64 v13, s0, 0, v13, s0
	v_cmp_le_u32_e32 vcc_lo, s28, v21
	s_delay_alu instid0(VALU_DEP_3) | instskip(SKIP_1) | instid1(VALU_DEP_4)
	v_cmp_eq_u32_e64 s0, s29, v7
	v_cndmask_b32_e64 v9, 0, -1, vcc_lo
	v_cmp_le_u32_e32 vcc_lo, s29, v13
	v_cndmask_b32_e64 v21, 0, -1, vcc_lo
	v_cmp_le_u32_e32 vcc_lo, s28, v11
	;; [unrolled: 2-line block ×3, first 2 shown]
	v_cndmask_b32_e64 v22, 0, -1, vcc_lo
	v_cmp_eq_u32_e32 vcc_lo, s29, v13
	s_delay_alu instid0(VALU_DEP_2) | instskip(SKIP_3) | instid1(VALU_DEP_3)
	v_cndmask_b32_e64 v7, v22, v11, s0
	v_cndmask_b32_e32 v9, v21, v9, vcc_lo
	v_add_co_u32 v13, vcc_lo, v3, 1
	v_add_co_ci_u32_e32 v21, vcc_lo, 0, v5, vcc_lo
	v_cmp_ne_u32_e32 vcc_lo, 0, v9
	s_delay_alu instid0(VALU_DEP_2) | instskip(NEXT) | instid1(VALU_DEP_4)
	v_cndmask_b32_e32 v9, v21, v16, vcc_lo
	v_cndmask_b32_e32 v11, v13, v15, vcc_lo
	v_cmp_ne_u32_e32 vcc_lo, 0, v7
	v_xor_b32_e32 v7, s26, v17
	s_delay_alu instid0(VALU_DEP_3) | instskip(SKIP_2) | instid1(VALU_DEP_3)
	v_cndmask_b32_e32 v3, v3, v11, vcc_lo
	v_cndmask_b32_e32 v5, v5, v9, vcc_lo
	v_xor_b32_e32 v9, s27, v17
	v_xor_b32_e32 v3, v3, v7
	s_delay_alu instid0(VALU_DEP_2) | instskip(NEXT) | instid1(VALU_DEP_2)
	v_xor_b32_e32 v5, v5, v9
	v_sub_co_u32 v16, vcc_lo, v3, v7
	s_delay_alu instid0(VALU_DEP_2)
	v_sub_co_ci_u32_e32 v17, vcc_lo, v5, v9, vcc_lo
.LBB77_36:                              ;   in Loop: Header=BB77_22 Depth=2
	s_and_not1_saveexec_b32 s0, s52
	s_cbranch_execz .LBB77_38
; %bb.37:                               ;   in Loop: Header=BB77_22 Depth=2
	v_cvt_f32_u32_e32 v3, s51
	s_sub_i32 s26, 0, s51
	v_mov_b32_e32 v17, v2
	s_delay_alu instid0(VALU_DEP_2) | instskip(SKIP_2) | instid1(VALU_DEP_1)
	v_rcp_iflag_f32_e32 v3, v3
	s_waitcnt_depctr 0xfff
	v_mul_f32_e32 v3, 0x4f7ffffe, v3
	v_cvt_u32_f32_e32 v3, v3
	s_delay_alu instid0(VALU_DEP_1) | instskip(NEXT) | instid1(VALU_DEP_1)
	v_mul_lo_u32 v5, s26, v3
	v_mul_hi_u32 v5, v3, v5
	s_delay_alu instid0(VALU_DEP_1) | instskip(NEXT) | instid1(VALU_DEP_1)
	v_add_nc_u32_e32 v3, v3, v5
	v_mul_hi_u32 v3, v14, v3
	s_delay_alu instid0(VALU_DEP_1) | instskip(SKIP_1) | instid1(VALU_DEP_2)
	v_mul_lo_u32 v5, v3, s51
	v_add_nc_u32_e32 v7, 1, v3
	v_sub_nc_u32_e32 v5, v14, v5
	s_delay_alu instid0(VALU_DEP_1) | instskip(SKIP_1) | instid1(VALU_DEP_4)
	v_cmp_le_u32_e32 vcc_lo, s51, v5
	v_subrev_nc_u32_e32 v9, s51, v5
	v_cndmask_b32_e32 v3, v3, v7, vcc_lo
	s_delay_alu instid0(VALU_DEP_1) | instskip(NEXT) | instid1(VALU_DEP_3)
	v_add_nc_u32_e32 v7, 1, v3
	v_cndmask_b32_e32 v5, v5, v9, vcc_lo
	s_delay_alu instid0(VALU_DEP_1) | instskip(NEXT) | instid1(VALU_DEP_3)
	v_cmp_le_u32_e32 vcc_lo, s51, v5
	v_cndmask_b32_e32 v16, v3, v7, vcc_lo
.LBB77_38:                              ;   in Loop: Header=BB77_22 Depth=2
	s_or_b32 exec_lo, exec_lo, s0
	s_add_u32 s24, s36, s24
	s_addc_u32 s25, s37, s25
	v_mul_lo_u32 v3, v10, s13
	s_clause 0x1
	s_load_b32 s0, s[22:23], 0x6c
	s_load_b32 s13, s[24:25], 0x0
	v_mul_lo_u32 v5, v12, s45
	v_mul_lo_u32 v7, v14, s48
	;; [unrolled: 1-line block ×3, first 2 shown]
	s_add_i32 s16, s16, -4
	s_delay_alu instid0(SALU_CYCLE_1) | instskip(SKIP_1) | instid1(VALU_DEP_4)
	s_cmp_eq_u32 s16, -1
	v_sub_nc_u32_e32 v3, v8, v3
	v_sub_nc_u32_e32 v5, v10, v5
	s_delay_alu instid0(VALU_DEP_4) | instskip(NEXT) | instid1(VALU_DEP_4)
	v_sub_nc_u32_e32 v7, v12, v7
	v_sub_nc_u32_e32 v8, v14, v9
	s_delay_alu instid0(VALU_DEP_4)
	v_mul_lo_u32 v9, s43, v3
	v_mul_lo_u32 v3, s44, v3
	;; [unrolled: 1-line block ×6, first 2 shown]
	s_waitcnt lgkmcnt(0)
	v_mul_lo_u32 v12, s0, v8
	v_mul_lo_u32 v8, s13, v8
	v_add3_u32 v6, v9, v6, v10
	v_add3_u32 v3, v3, v4, v5
	s_delay_alu instid0(VALU_DEP_2) | instskip(NEXT) | instid1(VALU_DEP_2)
	v_add3_u32 v6, v11, v6, v12
	v_add3_u32 v4, v7, v3, v8
	s_cbranch_scc1 .LBB77_40
; %bb.39:                               ;   in Loop: Header=BB77_22 Depth=2
	v_dual_mov_b32 v8, v16 :: v_dual_mov_b32 v9, v17
	s_branch .LBB77_22
.LBB77_40:                              ;   in Loop: Header=BB77_3 Depth=1
	v_sub_nc_u32_e32 v5, v19, v20
	s_delay_alu instid0(VALU_DEP_1) | instskip(NEXT) | instid1(VALU_DEP_1)
	v_add_nc_u32_e32 v7, 2, v5
	v_ashrrev_i32_e32 v8, 31, v7
	s_delay_alu instid0(VALU_DEP_1)
	v_cmp_le_i64_e32 vcc_lo, s[4:5], v[7:8]
	v_dual_mov_b32 v8, 0 :: v_dual_mov_b32 v7, 0
	s_and_saveexec_b32 s0, vcc_lo
	s_cbranch_execz .LBB77_46
; %bb.41:                               ;   in Loop: Header=BB77_3 Depth=1
	v_mov_b32_e32 v3, 0
	v_mov_b32_e32 v9, 0
	s_mov_b32 s13, exec_lo
	v_cmpx_gt_i32_e64 s9, v19
	s_cbranch_execz .LBB77_45
; %bb.42:                               ;   in Loop: Header=BB77_3 Depth=1
	v_ashrrev_i32_e32 v7, 31, v6
	v_dual_mov_b32 v9, 0 :: v_dual_add_nc_u32 v8, 1, v19
	s_mov_b32 s16, exec_lo
	s_delay_alu instid0(VALU_DEP_2) | instskip(NEXT) | instid1(VALU_DEP_1)
	v_lshlrev_b64 v[6:7], 2, v[6:7]
	v_add_co_u32 v6, vcc_lo, s2, v6
	s_delay_alu instid0(VALU_DEP_2)
	v_add_co_ci_u32_e32 v7, vcc_lo, s3, v7, vcc_lo
	global_load_b32 v3, v[6:7], off
	v_cmpx_gt_i32_e64 s9, v8
	s_xor_b32 s16, exec_lo, s16
	s_cbranch_execz .LBB77_44
; %bb.43:                               ;   in Loop: Header=BB77_3 Depth=1
	s_lshl_b64 s[22:23], s[18:19], 2
	s_delay_alu instid0(SALU_CYCLE_1)
	v_add_co_u32 v6, vcc_lo, v6, s22
	v_add_co_ci_u32_e32 v7, vcc_lo, s23, v7, vcc_lo
	global_load_b32 v9, v[6:7], off
.LBB77_44:                              ;   in Loop: Header=BB77_3 Depth=1
	s_or_b32 exec_lo, exec_lo, s16
.LBB77_45:                              ;   in Loop: Header=BB77_3 Depth=1
	s_delay_alu instid0(SALU_CYCLE_1) | instskip(SKIP_2) | instid1(VALU_DEP_2)
	s_or_b32 exec_lo, exec_lo, s13
	v_ashrrev_i32_e32 v6, 31, v5
	v_add_nc_u32_e32 v10, 1, v5
	v_cmp_le_i64_e32 vcc_lo, s[4:5], v[5:6]
	s_delay_alu instid0(VALU_DEP_2) | instskip(SKIP_2) | instid1(VALU_DEP_2)
	v_ashrrev_i32_e32 v11, 31, v10
	s_waitcnt vmcnt(0)
	v_cndmask_b32_e32 v8, 0, v3, vcc_lo
	v_cmp_le_i64_e32 vcc_lo, s[4:5], v[10:11]
	v_cndmask_b32_e32 v7, 0, v9, vcc_lo
.LBB77_46:                              ;   in Loop: Header=BB77_3 Depth=1
	s_or_b32 exec_lo, exec_lo, s0
	s_delay_alu instid0(SALU_CYCLE_1)
	s_mov_b32 s0, exec_lo
	v_cmpx_gt_i32_e64 s9, v19
	s_cbranch_execz .LBB77_2
; %bb.47:                               ;   in Loop: Header=BB77_3 Depth=1
	v_ashrrev_i32_e32 v5, 31, v4
	s_mov_b32 s13, exec_lo
	s_delay_alu instid0(VALU_DEP_1) | instskip(SKIP_1) | instid1(VALU_DEP_2)
	v_lshlrev_b64 v[3:4], 2, v[4:5]
	v_add_nc_u32_e32 v5, 1, v19
	v_add_co_u32 v3, vcc_lo, s14, v3
	s_delay_alu instid0(VALU_DEP_3)
	v_add_co_ci_u32_e32 v4, vcc_lo, s15, v4, vcc_lo
	global_store_b32 v[3:4], v8, off
	v_cmpx_gt_i32_e64 s9, v5
	s_xor_b32 s13, exec_lo, s13
	s_cbranch_execz .LBB77_2
; %bb.48:                               ;   in Loop: Header=BB77_3 Depth=1
	s_lshl_b64 s[22:23], s[20:21], 2
	s_delay_alu instid0(SALU_CYCLE_1)
	v_add_co_u32 v3, vcc_lo, v3, s22
	v_add_co_ci_u32_e32 v4, vcc_lo, s23, v4, vcc_lo
	global_store_b32 v[3:4], v7, off
	s_branch .LBB77_2
.LBB77_49:
	s_nop 0
	s_sendmsg sendmsg(MSG_DEALLOC_VGPRS)
	s_endpgm
	.section	.rodata,"a",@progbits
	.p2align	6, 0x0
	.amdhsa_kernel _ZN2at6native16triu_tril_kernelIfiLb1ELi2ELb0EEEvNS_4cuda6detail10TensorInfoIT_T0_EENS4_IKS5_S6_EEllS6_
		.amdhsa_group_segment_fixed_size 0
		.amdhsa_private_segment_fixed_size 0
		.amdhsa_kernarg_size 712
		.amdhsa_user_sgpr_count 15
		.amdhsa_user_sgpr_dispatch_ptr 0
		.amdhsa_user_sgpr_queue_ptr 0
		.amdhsa_user_sgpr_kernarg_segment_ptr 1
		.amdhsa_user_sgpr_dispatch_id 0
		.amdhsa_user_sgpr_private_segment_size 0
		.amdhsa_wavefront_size32 1
		.amdhsa_uses_dynamic_stack 0
		.amdhsa_enable_private_segment 0
		.amdhsa_system_sgpr_workgroup_id_x 1
		.amdhsa_system_sgpr_workgroup_id_y 0
		.amdhsa_system_sgpr_workgroup_id_z 0
		.amdhsa_system_sgpr_workgroup_info 0
		.amdhsa_system_vgpr_workitem_id 0
		.amdhsa_next_free_vgpr 25
		.amdhsa_next_free_sgpr 54
		.amdhsa_reserve_vcc 1
		.amdhsa_float_round_mode_32 0
		.amdhsa_float_round_mode_16_64 0
		.amdhsa_float_denorm_mode_32 3
		.amdhsa_float_denorm_mode_16_64 3
		.amdhsa_dx10_clamp 1
		.amdhsa_ieee_mode 1
		.amdhsa_fp16_overflow 0
		.amdhsa_workgroup_processor_mode 1
		.amdhsa_memory_ordered 1
		.amdhsa_forward_progress 0
		.amdhsa_shared_vgpr_count 0
		.amdhsa_exception_fp_ieee_invalid_op 0
		.amdhsa_exception_fp_denorm_src 0
		.amdhsa_exception_fp_ieee_div_zero 0
		.amdhsa_exception_fp_ieee_overflow 0
		.amdhsa_exception_fp_ieee_underflow 0
		.amdhsa_exception_fp_ieee_inexact 0
		.amdhsa_exception_int_div_zero 0
	.end_amdhsa_kernel
	.section	.text._ZN2at6native16triu_tril_kernelIfiLb1ELi2ELb0EEEvNS_4cuda6detail10TensorInfoIT_T0_EENS4_IKS5_S6_EEllS6_,"axG",@progbits,_ZN2at6native16triu_tril_kernelIfiLb1ELi2ELb0EEEvNS_4cuda6detail10TensorInfoIT_T0_EENS4_IKS5_S6_EEllS6_,comdat
.Lfunc_end77:
	.size	_ZN2at6native16triu_tril_kernelIfiLb1ELi2ELb0EEEvNS_4cuda6detail10TensorInfoIT_T0_EENS4_IKS5_S6_EEllS6_, .Lfunc_end77-_ZN2at6native16triu_tril_kernelIfiLb1ELi2ELb0EEEvNS_4cuda6detail10TensorInfoIT_T0_EENS4_IKS5_S6_EEllS6_
                                        ; -- End function
	.section	.AMDGPU.csdata,"",@progbits
; Kernel info:
; codeLenInByte = 8348
; NumSgprs: 56
; NumVgprs: 25
; ScratchSize: 0
; MemoryBound: 0
; FloatMode: 240
; IeeeMode: 1
; LDSByteSize: 0 bytes/workgroup (compile time only)
; SGPRBlocks: 6
; VGPRBlocks: 3
; NumSGPRsForWavesPerEU: 56
; NumVGPRsForWavesPerEU: 25
; Occupancy: 16
; WaveLimiterHint : 0
; COMPUTE_PGM_RSRC2:SCRATCH_EN: 0
; COMPUTE_PGM_RSRC2:USER_SGPR: 15
; COMPUTE_PGM_RSRC2:TRAP_HANDLER: 0
; COMPUTE_PGM_RSRC2:TGID_X_EN: 1
; COMPUTE_PGM_RSRC2:TGID_Y_EN: 0
; COMPUTE_PGM_RSRC2:TGID_Z_EN: 0
; COMPUTE_PGM_RSRC2:TIDIG_COMP_CNT: 0
	.section	.text._ZN2at6native16triu_tril_kernelIflLb1ELi2ELb1EEEvNS_4cuda6detail10TensorInfoIT_T0_EENS4_IKS5_S6_EEllS6_,"axG",@progbits,_ZN2at6native16triu_tril_kernelIflLb1ELi2ELb1EEEvNS_4cuda6detail10TensorInfoIT_T0_EENS4_IKS5_S6_EEllS6_,comdat
	.protected	_ZN2at6native16triu_tril_kernelIflLb1ELi2ELb1EEEvNS_4cuda6detail10TensorInfoIT_T0_EENS4_IKS5_S6_EEllS6_ ; -- Begin function _ZN2at6native16triu_tril_kernelIflLb1ELi2ELb1EEEvNS_4cuda6detail10TensorInfoIT_T0_EENS4_IKS5_S6_EEllS6_
	.globl	_ZN2at6native16triu_tril_kernelIflLb1ELi2ELb1EEEvNS_4cuda6detail10TensorInfoIT_T0_EENS4_IKS5_S6_EEllS6_
	.p2align	8
	.type	_ZN2at6native16triu_tril_kernelIflLb1ELi2ELb1EEEvNS_4cuda6detail10TensorInfoIT_T0_EENS4_IKS5_S6_EEllS6_,@function
_ZN2at6native16triu_tril_kernelIflLb1ELi2ELb1EEEvNS_4cuda6detail10TensorInfoIT_T0_EENS4_IKS5_S6_EEllS6_: ; @_ZN2at6native16triu_tril_kernelIflLb1ELi2ELb1EEEvNS_4cuda6detail10TensorInfoIT_T0_EENS4_IKS5_S6_EEllS6_
; %bb.0:
	s_clause 0x1
	s_load_b32 s2, s[0:1], 0x364
	s_load_b128 s[4:7], s[0:1], 0x340
	v_mov_b32_e32 v2, 0
	s_add_u32 s8, s0, 0x358
	s_addc_u32 s9, s1, 0
	s_delay_alu instid0(VALU_DEP_1) | instskip(SKIP_3) | instid1(VALU_DEP_1)
	v_mov_b32_e32 v1, v2
	s_waitcnt lgkmcnt(0)
	s_and_b32 s10, s2, 0xffff
	s_mov_b32 s2, exec_lo
	v_mad_u64_u32 v[3:4], null, s10, s15, v[0:1]
	s_delay_alu instid0(VALU_DEP_1) | instskip(NEXT) | instid1(VALU_DEP_1)
	v_lshlrev_b64 v[0:1], 1, v[3:4]
	v_cmpx_gt_i64_e64 s[6:7], v[0:1]
	s_cbranch_execz .LBB78_21
; %bb.1:
	s_clause 0x1
	s_load_b32 s24, s[0:1], 0x338
	s_load_b64 s[2:3], s[0:1], 0x350
	s_load_b32 s11, s[8:9], 0x0
	s_load_b64 s[8:9], s[0:1], 0x0
	s_mov_b32 s45, 0
	s_waitcnt lgkmcnt(0)
	s_ashr_i32 s25, s24, 31
	s_add_u32 s20, s0, 0x1a8
	s_addc_u32 s21, s1, 0
	s_lshl_b64 s[12:13], s[24:25], 3
	v_cvt_f32_u32_e32 v3, s2
	s_add_u32 s14, s12, -16
	s_addc_u32 s15, s13, -1
	s_add_u32 s22, s20, s14
	s_addc_u32 s23, s21, s15
	v_rcp_iflag_f32_e32 v3, v3
	s_add_u32 s17, s12, -8
	s_addc_u32 s18, s13, -1
	s_add_u32 s26, s0, 0xd0
	s_addc_u32 s27, s1, 0
	s_mul_i32 s16, s11, s10
	s_add_u32 s10, s26, s17
	s_addc_u32 s11, s27, s18
	s_add_u32 s12, s26, s14
	s_addc_u32 s13, s27, s15
	s_add_i32 s0, s24, -3
	s_waitcnt_depctr 0xfff
	v_mul_f32_e32 v3, 0x4f7ffffe, v3
	s_ashr_i32 s1, s0, 31
	s_add_u32 s14, s20, s17
	s_addc_u32 s15, s21, s18
	s_lshl_b64 s[18:19], s[0:1], 3
	s_lshl_b32 s33, s16, 1
	s_add_u32 s16, s26, s18
	s_addc_u32 s17, s27, s19
	v_cvt_u32_f32_e32 v3, v3
	s_add_u32 s18, s20, s18
	s_addc_u32 s19, s21, s19
	s_add_u32 s20, s0, 1
	s_addc_u32 s21, s1, 0
	s_sub_i32 s0, 0, s2
	s_load_b64 s[22:23], s[22:23], 0x0
	v_mul_lo_u32 v4, s0, v3
	v_cmp_gt_i64_e64 s44, s[24:25], 2
	s_ashr_i32 s24, s3, 31
	s_delay_alu instid0(VALU_DEP_2) | instskip(NEXT) | instid1(VALU_DEP_1)
	v_mul_hi_u32 v4, v3, v4
	v_add_nc_u32_e32 v14, v3, v4
	s_waitcnt lgkmcnt(0)
	s_ashr_i32 s26, s23, 31
	s_branch .LBB78_3
.LBB78_2:                               ;   in Loop: Header=BB78_3 Depth=1
	s_or_b32 exec_lo, exec_lo, s25
	v_add_co_u32 v0, vcc_lo, v0, s33
	v_add_co_ci_u32_e32 v1, vcc_lo, 0, v1, vcc_lo
	s_delay_alu instid0(VALU_DEP_1) | instskip(SKIP_1) | instid1(SALU_CYCLE_1)
	v_cmp_le_i64_e32 vcc_lo, s[6:7], v[0:1]
	s_or_b32 s45, vcc_lo, s45
	s_and_not1_b32 exec_lo, exec_lo, s45
	s_cbranch_execz .LBB78_21
.LBB78_3:                               ; =>This Loop Header: Depth=1
                                        ;     Child Loop BB78_17 Depth 2
	v_or_b32_e32 v3, s3, v1
                                        ; implicit-def: $vgpr8_vgpr9
	s_mov_b32 s0, exec_lo
	s_delay_alu instid0(VALU_DEP_1)
	v_cmpx_ne_u64_e32 0, v[2:3]
	s_xor_b32 s1, exec_lo, s0
	s_cbranch_execz .LBB78_5
; %bb.4:                                ;   in Loop: Header=BB78_3 Depth=1
	s_add_u32 s28, s2, s24
	s_mov_b32 s25, s24
	s_addc_u32 s29, s3, s24
	s_delay_alu instid0(SALU_CYCLE_1) | instskip(NEXT) | instid1(SALU_CYCLE_1)
	s_xor_b64 s[28:29], s[28:29], s[24:25]
	v_cvt_f32_u32_e32 v3, s28
	v_cvt_f32_u32_e32 v4, s29
	s_sub_u32 s0, 0, s28
	s_subb_u32 s25, 0, s29
	s_delay_alu instid0(VALU_DEP_1) | instskip(NEXT) | instid1(VALU_DEP_1)
	v_fmac_f32_e32 v3, 0x4f800000, v4
	v_rcp_f32_e32 v3, v3
	s_waitcnt_depctr 0xfff
	v_mul_f32_e32 v3, 0x5f7ffffc, v3
	s_delay_alu instid0(VALU_DEP_1) | instskip(NEXT) | instid1(VALU_DEP_1)
	v_mul_f32_e32 v4, 0x2f800000, v3
	v_trunc_f32_e32 v4, v4
	s_delay_alu instid0(VALU_DEP_1) | instskip(SKIP_1) | instid1(VALU_DEP_2)
	v_fmac_f32_e32 v3, 0xcf800000, v4
	v_cvt_u32_f32_e32 v4, v4
	v_cvt_u32_f32_e32 v3, v3
	s_delay_alu instid0(VALU_DEP_2) | instskip(NEXT) | instid1(VALU_DEP_2)
	v_mul_lo_u32 v5, s0, v4
	v_mul_hi_u32 v6, s0, v3
	v_mul_lo_u32 v7, s25, v3
	s_delay_alu instid0(VALU_DEP_2) | instskip(SKIP_1) | instid1(VALU_DEP_2)
	v_add_nc_u32_e32 v5, v6, v5
	v_mul_lo_u32 v6, s0, v3
	v_add_nc_u32_e32 v5, v5, v7
	s_delay_alu instid0(VALU_DEP_2) | instskip(NEXT) | instid1(VALU_DEP_2)
	v_mul_hi_u32 v7, v3, v6
	v_mul_lo_u32 v8, v3, v5
	v_mul_hi_u32 v9, v3, v5
	v_mul_hi_u32 v10, v4, v6
	v_mul_lo_u32 v6, v4, v6
	v_mul_hi_u32 v11, v4, v5
	v_mul_lo_u32 v5, v4, v5
	v_add_co_u32 v7, vcc_lo, v7, v8
	v_add_co_ci_u32_e32 v8, vcc_lo, 0, v9, vcc_lo
	s_delay_alu instid0(VALU_DEP_2) | instskip(NEXT) | instid1(VALU_DEP_2)
	v_add_co_u32 v6, vcc_lo, v7, v6
	v_add_co_ci_u32_e32 v6, vcc_lo, v8, v10, vcc_lo
	v_add_co_ci_u32_e32 v7, vcc_lo, 0, v11, vcc_lo
	v_ashrrev_i32_e32 v10, 31, v1
	s_delay_alu instid0(VALU_DEP_3) | instskip(NEXT) | instid1(VALU_DEP_3)
	v_add_co_u32 v5, vcc_lo, v6, v5
	v_add_co_ci_u32_e32 v6, vcc_lo, 0, v7, vcc_lo
	s_delay_alu instid0(VALU_DEP_2) | instskip(NEXT) | instid1(VALU_DEP_2)
	v_add_co_u32 v3, vcc_lo, v3, v5
	v_add_co_ci_u32_e32 v4, vcc_lo, v4, v6, vcc_lo
	s_delay_alu instid0(VALU_DEP_2) | instskip(SKIP_1) | instid1(VALU_DEP_3)
	v_mul_hi_u32 v5, s0, v3
	v_mul_lo_u32 v7, s25, v3
	v_mul_lo_u32 v6, s0, v4
	s_delay_alu instid0(VALU_DEP_1) | instskip(SKIP_1) | instid1(VALU_DEP_2)
	v_add_nc_u32_e32 v5, v5, v6
	v_mul_lo_u32 v6, s0, v3
	v_add_nc_u32_e32 v5, v5, v7
	s_delay_alu instid0(VALU_DEP_2) | instskip(NEXT) | instid1(VALU_DEP_2)
	v_mul_hi_u32 v7, v3, v6
	v_mul_lo_u32 v8, v3, v5
	v_mul_hi_u32 v9, v3, v5
	v_mul_hi_u32 v11, v4, v6
	v_mul_lo_u32 v6, v4, v6
	v_mul_hi_u32 v12, v4, v5
	v_mul_lo_u32 v5, v4, v5
	v_add_co_u32 v7, vcc_lo, v7, v8
	v_add_co_ci_u32_e32 v8, vcc_lo, 0, v9, vcc_lo
	s_delay_alu instid0(VALU_DEP_2) | instskip(NEXT) | instid1(VALU_DEP_2)
	v_add_co_u32 v6, vcc_lo, v7, v6
	v_add_co_ci_u32_e32 v6, vcc_lo, v8, v11, vcc_lo
	v_add_co_ci_u32_e32 v7, vcc_lo, 0, v12, vcc_lo
	v_add_co_u32 v8, vcc_lo, v0, v10
	v_add_co_ci_u32_e32 v9, vcc_lo, v1, v10, vcc_lo
	s_delay_alu instid0(VALU_DEP_4) | instskip(NEXT) | instid1(VALU_DEP_4)
	v_add_co_u32 v5, vcc_lo, v6, v5
	v_add_co_ci_u32_e32 v6, vcc_lo, 0, v7, vcc_lo
	s_delay_alu instid0(VALU_DEP_4) | instskip(NEXT) | instid1(VALU_DEP_3)
	v_xor_b32_e32 v11, v8, v10
	v_add_co_u32 v7, vcc_lo, v3, v5
	s_delay_alu instid0(VALU_DEP_3) | instskip(SKIP_1) | instid1(VALU_DEP_3)
	v_add_co_ci_u32_e32 v12, vcc_lo, v4, v6, vcc_lo
	v_xor_b32_e32 v9, v9, v10
	v_mul_hi_u32 v13, v11, v7
	s_delay_alu instid0(VALU_DEP_3) | instskip(NEXT) | instid1(VALU_DEP_3)
	v_mad_u64_u32 v[3:4], null, v11, v12, 0
	v_mad_u64_u32 v[5:6], null, v9, v7, 0
	v_mad_u64_u32 v[7:8], null, v9, v12, 0
	s_delay_alu instid0(VALU_DEP_3) | instskip(NEXT) | instid1(VALU_DEP_4)
	v_add_co_u32 v3, vcc_lo, v13, v3
	v_add_co_ci_u32_e32 v4, vcc_lo, 0, v4, vcc_lo
	s_delay_alu instid0(VALU_DEP_2) | instskip(NEXT) | instid1(VALU_DEP_2)
	v_add_co_u32 v3, vcc_lo, v3, v5
	v_add_co_ci_u32_e32 v3, vcc_lo, v4, v6, vcc_lo
	v_add_co_ci_u32_e32 v4, vcc_lo, 0, v8, vcc_lo
	s_delay_alu instid0(VALU_DEP_2) | instskip(NEXT) | instid1(VALU_DEP_2)
	v_add_co_u32 v5, vcc_lo, v3, v7
	v_add_co_ci_u32_e32 v6, vcc_lo, 0, v4, vcc_lo
	s_delay_alu instid0(VALU_DEP_2) | instskip(SKIP_1) | instid1(VALU_DEP_3)
	v_mul_lo_u32 v7, s29, v5
	v_mad_u64_u32 v[3:4], null, s28, v5, 0
	v_mul_lo_u32 v8, s28, v6
	s_delay_alu instid0(VALU_DEP_2) | instskip(NEXT) | instid1(VALU_DEP_2)
	v_sub_co_u32 v3, vcc_lo, v11, v3
	v_add3_u32 v4, v4, v8, v7
	s_delay_alu instid0(VALU_DEP_1) | instskip(NEXT) | instid1(VALU_DEP_1)
	v_sub_nc_u32_e32 v7, v9, v4
	v_subrev_co_ci_u32_e64 v7, s0, s29, v7, vcc_lo
	v_add_co_u32 v8, s0, v5, 2
	s_delay_alu instid0(VALU_DEP_1) | instskip(SKIP_3) | instid1(VALU_DEP_3)
	v_add_co_ci_u32_e64 v11, s0, 0, v6, s0
	v_sub_co_u32 v12, s0, v3, s28
	v_sub_co_ci_u32_e32 v4, vcc_lo, v9, v4, vcc_lo
	v_subrev_co_ci_u32_e64 v7, s0, 0, v7, s0
	v_cmp_le_u32_e32 vcc_lo, s28, v12
	s_delay_alu instid0(VALU_DEP_3) | instskip(SKIP_1) | instid1(VALU_DEP_4)
	v_cmp_eq_u32_e64 s0, s29, v4
	v_cndmask_b32_e64 v9, 0, -1, vcc_lo
	v_cmp_le_u32_e32 vcc_lo, s29, v7
	v_cndmask_b32_e64 v12, 0, -1, vcc_lo
	v_cmp_le_u32_e32 vcc_lo, s28, v3
	;; [unrolled: 2-line block ×3, first 2 shown]
	v_cndmask_b32_e64 v13, 0, -1, vcc_lo
	v_cmp_eq_u32_e32 vcc_lo, s29, v7
	s_delay_alu instid0(VALU_DEP_2) | instskip(SKIP_3) | instid1(VALU_DEP_3)
	v_cndmask_b32_e64 v3, v13, v3, s0
	v_cndmask_b32_e32 v7, v12, v9, vcc_lo
	v_add_co_u32 v9, vcc_lo, v5, 1
	v_add_co_ci_u32_e32 v12, vcc_lo, 0, v6, vcc_lo
	v_cmp_ne_u32_e32 vcc_lo, 0, v7
	s_delay_alu instid0(VALU_DEP_2) | instskip(SKIP_2) | instid1(VALU_DEP_3)
	v_dual_cndmask_b32 v4, v12, v11 :: v_dual_cndmask_b32 v7, v9, v8
	v_cmp_ne_u32_e32 vcc_lo, 0, v3
	v_xor_b32_e32 v3, s24, v10
	v_dual_cndmask_b32 v5, v5, v7 :: v_dual_cndmask_b32 v4, v6, v4
	s_delay_alu instid0(VALU_DEP_1) | instskip(NEXT) | instid1(VALU_DEP_2)
	v_xor_b32_e32 v5, v5, v3
	v_xor_b32_e32 v4, v4, v3
	s_delay_alu instid0(VALU_DEP_2) | instskip(NEXT) | instid1(VALU_DEP_2)
	v_sub_co_u32 v8, vcc_lo, v5, v3
	v_sub_co_ci_u32_e32 v9, vcc_lo, v4, v3, vcc_lo
.LBB78_5:                               ;   in Loop: Header=BB78_3 Depth=1
	s_and_not1_saveexec_b32 s0, s1
; %bb.6:                                ;   in Loop: Header=BB78_3 Depth=1
	v_mul_hi_u32 v3, v0, v14
	v_mov_b32_e32 v9, v2
	s_delay_alu instid0(VALU_DEP_2) | instskip(NEXT) | instid1(VALU_DEP_1)
	v_mul_lo_u32 v4, v3, s2
	v_sub_nc_u32_e32 v4, v0, v4
	s_delay_alu instid0(VALU_DEP_1) | instskip(SKIP_1) | instid1(VALU_DEP_2)
	v_subrev_nc_u32_e32 v6, s2, v4
	v_cmp_le_u32_e32 vcc_lo, s2, v4
	v_dual_cndmask_b32 v4, v4, v6 :: v_dual_add_nc_u32 v5, 1, v3
	s_delay_alu instid0(VALU_DEP_1) | instskip(NEXT) | instid1(VALU_DEP_2)
	v_cndmask_b32_e32 v3, v3, v5, vcc_lo
	v_cmp_le_u32_e32 vcc_lo, s2, v4
	s_delay_alu instid0(VALU_DEP_2) | instskip(NEXT) | instid1(VALU_DEP_1)
	v_add_nc_u32_e32 v5, 1, v3
	v_cndmask_b32_e32 v8, v3, v5, vcc_lo
; %bb.7:                                ;   in Loop: Header=BB78_3 Depth=1
	s_or_b32 exec_lo, exec_lo, s0
	v_or_b32_e32 v3, s23, v9
                                        ; implicit-def: $vgpr6_vgpr7
	s_mov_b32 s0, exec_lo
	s_delay_alu instid0(VALU_DEP_1)
	v_cmpx_ne_u64_e32 0, v[2:3]
	s_xor_b32 s1, exec_lo, s0
	s_cbranch_execz .LBB78_9
; %bb.8:                                ;   in Loop: Header=BB78_3 Depth=1
	s_add_u32 s28, s22, s26
	s_mov_b32 s27, s26
	s_addc_u32 s29, s23, s26
	s_delay_alu instid0(SALU_CYCLE_1) | instskip(NEXT) | instid1(SALU_CYCLE_1)
	s_xor_b64 s[28:29], s[28:29], s[26:27]
	v_cvt_f32_u32_e32 v3, s28
	v_cvt_f32_u32_e32 v4, s29
	s_sub_u32 s0, 0, s28
	s_subb_u32 s25, 0, s29
	s_delay_alu instid0(VALU_DEP_1) | instskip(NEXT) | instid1(VALU_DEP_1)
	v_fmac_f32_e32 v3, 0x4f800000, v4
	v_rcp_f32_e32 v3, v3
	s_waitcnt_depctr 0xfff
	v_mul_f32_e32 v3, 0x5f7ffffc, v3
	s_delay_alu instid0(VALU_DEP_1) | instskip(NEXT) | instid1(VALU_DEP_1)
	v_mul_f32_e32 v4, 0x2f800000, v3
	v_trunc_f32_e32 v4, v4
	s_delay_alu instid0(VALU_DEP_1) | instskip(SKIP_1) | instid1(VALU_DEP_2)
	v_fmac_f32_e32 v3, 0xcf800000, v4
	v_cvt_u32_f32_e32 v4, v4
	v_cvt_u32_f32_e32 v3, v3
	s_delay_alu instid0(VALU_DEP_2) | instskip(NEXT) | instid1(VALU_DEP_2)
	v_mul_lo_u32 v5, s0, v4
	v_mul_hi_u32 v6, s0, v3
	v_mul_lo_u32 v7, s25, v3
	s_delay_alu instid0(VALU_DEP_2) | instskip(SKIP_1) | instid1(VALU_DEP_2)
	v_add_nc_u32_e32 v5, v6, v5
	v_mul_lo_u32 v6, s0, v3
	v_add_nc_u32_e32 v5, v5, v7
	s_delay_alu instid0(VALU_DEP_2) | instskip(NEXT) | instid1(VALU_DEP_2)
	v_mul_hi_u32 v7, v3, v6
	v_mul_lo_u32 v10, v3, v5
	v_mul_hi_u32 v11, v3, v5
	v_mul_hi_u32 v12, v4, v6
	v_mul_lo_u32 v6, v4, v6
	v_mul_hi_u32 v13, v4, v5
	v_mul_lo_u32 v5, v4, v5
	v_add_co_u32 v7, vcc_lo, v7, v10
	v_add_co_ci_u32_e32 v10, vcc_lo, 0, v11, vcc_lo
	s_delay_alu instid0(VALU_DEP_2) | instskip(NEXT) | instid1(VALU_DEP_2)
	v_add_co_u32 v6, vcc_lo, v7, v6
	v_add_co_ci_u32_e32 v6, vcc_lo, v10, v12, vcc_lo
	v_add_co_ci_u32_e32 v7, vcc_lo, 0, v13, vcc_lo
	v_ashrrev_i32_e32 v12, 31, v9
	s_delay_alu instid0(VALU_DEP_3) | instskip(NEXT) | instid1(VALU_DEP_3)
	v_add_co_u32 v5, vcc_lo, v6, v5
	v_add_co_ci_u32_e32 v6, vcc_lo, 0, v7, vcc_lo
	s_delay_alu instid0(VALU_DEP_2) | instskip(NEXT) | instid1(VALU_DEP_2)
	v_add_co_u32 v3, vcc_lo, v3, v5
	v_add_co_ci_u32_e32 v4, vcc_lo, v4, v6, vcc_lo
	s_delay_alu instid0(VALU_DEP_2) | instskip(SKIP_1) | instid1(VALU_DEP_3)
	v_mul_hi_u32 v5, s0, v3
	v_mul_lo_u32 v7, s25, v3
	v_mul_lo_u32 v6, s0, v4
	s_delay_alu instid0(VALU_DEP_1) | instskip(SKIP_1) | instid1(VALU_DEP_2)
	v_add_nc_u32_e32 v5, v5, v6
	v_mul_lo_u32 v6, s0, v3
	v_add_nc_u32_e32 v5, v5, v7
	s_delay_alu instid0(VALU_DEP_2) | instskip(NEXT) | instid1(VALU_DEP_2)
	v_mul_hi_u32 v7, v3, v6
	v_mul_lo_u32 v10, v3, v5
	v_mul_hi_u32 v11, v3, v5
	v_mul_hi_u32 v13, v4, v6
	v_mul_lo_u32 v6, v4, v6
	v_mul_hi_u32 v15, v4, v5
	v_mul_lo_u32 v5, v4, v5
	v_add_co_u32 v7, vcc_lo, v7, v10
	v_add_co_ci_u32_e32 v10, vcc_lo, 0, v11, vcc_lo
	s_delay_alu instid0(VALU_DEP_2) | instskip(NEXT) | instid1(VALU_DEP_2)
	v_add_co_u32 v6, vcc_lo, v7, v6
	v_add_co_ci_u32_e32 v6, vcc_lo, v10, v13, vcc_lo
	v_add_co_ci_u32_e32 v7, vcc_lo, 0, v15, vcc_lo
	v_add_co_u32 v10, vcc_lo, v8, v12
	v_add_co_ci_u32_e32 v11, vcc_lo, v9, v12, vcc_lo
	s_delay_alu instid0(VALU_DEP_4) | instskip(NEXT) | instid1(VALU_DEP_4)
	v_add_co_u32 v5, vcc_lo, v6, v5
	v_add_co_ci_u32_e32 v6, vcc_lo, 0, v7, vcc_lo
	s_delay_alu instid0(VALU_DEP_4) | instskip(NEXT) | instid1(VALU_DEP_3)
	v_xor_b32_e32 v7, v10, v12
	v_add_co_u32 v10, vcc_lo, v3, v5
	s_delay_alu instid0(VALU_DEP_3) | instskip(SKIP_1) | instid1(VALU_DEP_3)
	v_add_co_ci_u32_e32 v13, vcc_lo, v4, v6, vcc_lo
	v_xor_b32_e32 v15, v11, v12
	v_mul_hi_u32 v16, v7, v10
	s_delay_alu instid0(VALU_DEP_3) | instskip(NEXT) | instid1(VALU_DEP_3)
	v_mad_u64_u32 v[3:4], null, v7, v13, 0
	v_mad_u64_u32 v[5:6], null, v15, v10, 0
	;; [unrolled: 1-line block ×3, first 2 shown]
	s_delay_alu instid0(VALU_DEP_3) | instskip(NEXT) | instid1(VALU_DEP_4)
	v_add_co_u32 v3, vcc_lo, v16, v3
	v_add_co_ci_u32_e32 v4, vcc_lo, 0, v4, vcc_lo
	s_delay_alu instid0(VALU_DEP_2) | instskip(NEXT) | instid1(VALU_DEP_2)
	v_add_co_u32 v3, vcc_lo, v3, v5
	v_add_co_ci_u32_e32 v3, vcc_lo, v4, v6, vcc_lo
	v_add_co_ci_u32_e32 v4, vcc_lo, 0, v11, vcc_lo
	s_delay_alu instid0(VALU_DEP_2) | instskip(NEXT) | instid1(VALU_DEP_2)
	v_add_co_u32 v5, vcc_lo, v3, v10
	v_add_co_ci_u32_e32 v6, vcc_lo, 0, v4, vcc_lo
	s_delay_alu instid0(VALU_DEP_2) | instskip(SKIP_1) | instid1(VALU_DEP_3)
	v_mul_lo_u32 v10, s29, v5
	v_mad_u64_u32 v[3:4], null, s28, v5, 0
	v_mul_lo_u32 v11, s28, v6
	s_delay_alu instid0(VALU_DEP_2) | instskip(NEXT) | instid1(VALU_DEP_2)
	v_sub_co_u32 v3, vcc_lo, v7, v3
	v_add3_u32 v4, v4, v11, v10
	s_delay_alu instid0(VALU_DEP_1) | instskip(NEXT) | instid1(VALU_DEP_1)
	v_sub_nc_u32_e32 v10, v15, v4
	v_subrev_co_ci_u32_e64 v7, s0, s29, v10, vcc_lo
	v_add_co_u32 v10, s0, v5, 2
	s_delay_alu instid0(VALU_DEP_1) | instskip(SKIP_3) | instid1(VALU_DEP_3)
	v_add_co_ci_u32_e64 v11, s0, 0, v6, s0
	v_sub_co_u32 v13, s0, v3, s28
	v_sub_co_ci_u32_e32 v4, vcc_lo, v15, v4, vcc_lo
	v_subrev_co_ci_u32_e64 v7, s0, 0, v7, s0
	v_cmp_le_u32_e32 vcc_lo, s28, v13
	s_delay_alu instid0(VALU_DEP_3) | instskip(SKIP_1) | instid1(VALU_DEP_4)
	v_cmp_eq_u32_e64 s0, s29, v4
	v_cndmask_b32_e64 v13, 0, -1, vcc_lo
	v_cmp_le_u32_e32 vcc_lo, s29, v7
	v_cndmask_b32_e64 v15, 0, -1, vcc_lo
	v_cmp_le_u32_e32 vcc_lo, s28, v3
	;; [unrolled: 2-line block ×3, first 2 shown]
	v_cndmask_b32_e64 v16, 0, -1, vcc_lo
	v_cmp_eq_u32_e32 vcc_lo, s29, v7
	s_delay_alu instid0(VALU_DEP_2) | instskip(SKIP_3) | instid1(VALU_DEP_3)
	v_cndmask_b32_e64 v3, v16, v3, s0
	v_cndmask_b32_e32 v7, v15, v13, vcc_lo
	v_add_co_u32 v13, vcc_lo, v5, 1
	v_add_co_ci_u32_e32 v15, vcc_lo, 0, v6, vcc_lo
	v_cmp_ne_u32_e32 vcc_lo, 0, v7
	s_delay_alu instid0(VALU_DEP_2) | instskip(SKIP_2) | instid1(VALU_DEP_3)
	v_dual_cndmask_b32 v4, v15, v11 :: v_dual_cndmask_b32 v7, v13, v10
	v_cmp_ne_u32_e32 vcc_lo, 0, v3
	v_xor_b32_e32 v3, s26, v12
	v_dual_cndmask_b32 v5, v5, v7 :: v_dual_cndmask_b32 v4, v6, v4
	s_delay_alu instid0(VALU_DEP_1) | instskip(NEXT) | instid1(VALU_DEP_2)
	v_xor_b32_e32 v5, v5, v3
	v_xor_b32_e32 v4, v4, v3
	s_delay_alu instid0(VALU_DEP_2) | instskip(NEXT) | instid1(VALU_DEP_2)
	v_sub_co_u32 v6, vcc_lo, v5, v3
	v_sub_co_ci_u32_e32 v7, vcc_lo, v4, v3, vcc_lo
.LBB78_9:                               ;   in Loop: Header=BB78_3 Depth=1
	s_and_not1_saveexec_b32 s0, s1
	s_cbranch_execz .LBB78_11
; %bb.10:                               ;   in Loop: Header=BB78_3 Depth=1
	v_cvt_f32_u32_e32 v3, s22
	s_sub_i32 s1, 0, s22
	v_mov_b32_e32 v7, v2
	s_delay_alu instid0(VALU_DEP_2) | instskip(SKIP_2) | instid1(VALU_DEP_1)
	v_rcp_iflag_f32_e32 v3, v3
	s_waitcnt_depctr 0xfff
	v_mul_f32_e32 v3, 0x4f7ffffe, v3
	v_cvt_u32_f32_e32 v3, v3
	s_delay_alu instid0(VALU_DEP_1) | instskip(NEXT) | instid1(VALU_DEP_1)
	v_mul_lo_u32 v4, s1, v3
	v_mul_hi_u32 v4, v3, v4
	s_delay_alu instid0(VALU_DEP_1) | instskip(NEXT) | instid1(VALU_DEP_1)
	v_add_nc_u32_e32 v3, v3, v4
	v_mul_hi_u32 v3, v8, v3
	s_delay_alu instid0(VALU_DEP_1) | instskip(SKIP_1) | instid1(VALU_DEP_2)
	v_mul_lo_u32 v4, v3, s22
	v_add_nc_u32_e32 v5, 1, v3
	v_sub_nc_u32_e32 v4, v8, v4
	s_delay_alu instid0(VALU_DEP_1) | instskip(SKIP_1) | instid1(VALU_DEP_2)
	v_subrev_nc_u32_e32 v6, s22, v4
	v_cmp_le_u32_e32 vcc_lo, s22, v4
	v_dual_cndmask_b32 v4, v4, v6 :: v_dual_cndmask_b32 v3, v3, v5
	s_delay_alu instid0(VALU_DEP_1) | instskip(NEXT) | instid1(VALU_DEP_2)
	v_cmp_le_u32_e32 vcc_lo, s22, v4
	v_add_nc_u32_e32 v5, 1, v3
	s_delay_alu instid0(VALU_DEP_1)
	v_cndmask_b32_e32 v6, v3, v5, vcc_lo
.LBB78_11:                              ;   in Loop: Header=BB78_3 Depth=1
	s_or_b32 exec_lo, exec_lo, s0
	v_mul_lo_u32 v5, v9, s2
	v_mul_lo_u32 v12, v8, s3
	v_mad_u64_u32 v[3:4], null, v8, s2, 0
	v_mul_lo_u32 v13, v7, s22
	v_mul_lo_u32 v15, v6, s23
	v_mad_u64_u32 v[10:11], null, v6, s22, 0
	s_mov_b32 s25, exec_lo
	s_delay_alu instid0(VALU_DEP_4) | instskip(SKIP_1) | instid1(VALU_DEP_3)
	v_add3_u32 v5, v4, v12, v5
	v_sub_co_u32 v4, vcc_lo, v0, v3
	v_add3_u32 v11, v11, v15, v13
	s_delay_alu instid0(VALU_DEP_3) | instskip(SKIP_1) | instid1(VALU_DEP_3)
	v_sub_co_ci_u32_e32 v5, vcc_lo, v1, v5, vcc_lo
	v_sub_co_u32 v15, vcc_lo, v8, v10
	v_sub_co_ci_u32_e32 v16, vcc_lo, v9, v11, vcc_lo
	s_delay_alu instid0(VALU_DEP_2) | instskip(NEXT) | instid1(VALU_DEP_2)
	v_sub_co_u32 v8, vcc_lo, v4, v15
	v_sub_co_ci_u32_e32 v9, vcc_lo, v5, v16, vcc_lo
	s_delay_alu instid0(VALU_DEP_1)
	v_cmpx_gt_i64_e64 s[4:5], v[8:9]
	s_cbranch_execz .LBB78_2
; %bb.12:                               ;   in Loop: Header=BB78_3 Depth=1
	s_clause 0x1
	s_load_b64 s[28:29], s[10:11], 0x0
	s_load_b64 s[0:1], s[12:13], 0x0
	s_and_b32 vcc_lo, exec_lo, s44
	s_mov_b64 s[30:31], s[20:21]
	s_mov_b64 s[34:35], s[18:19]
	;; [unrolled: 1-line block ×3, first 2 shown]
	s_waitcnt lgkmcnt(0)
	v_mul_lo_u32 v3, s29, v4
	v_mul_lo_u32 v10, s28, v5
	v_mad_u64_u32 v[8:9], null, s28, v4, 0
	s_delay_alu instid0(VALU_DEP_1) | instskip(SKIP_1) | instid1(VALU_DEP_2)
	v_add3_u32 v9, v9, v10, v3
	v_mul_lo_u32 v3, s0, v16
	v_mad_u64_u32 v[12:13], null, s0, v15, v[8:9]
	v_mul_lo_u32 v8, s1, v15
	s_delay_alu instid0(VALU_DEP_1) | instskip(NEXT) | instid1(VALU_DEP_1)
	v_add3_u32 v13, v8, v13, v3
	v_dual_mov_b32 v8, v12 :: v_dual_mov_b32 v9, v13
	s_cbranch_vccnz .LBB78_17
.LBB78_13:                              ;   in Loop: Header=BB78_3 Depth=1
	s_load_b64 s[0:1], s[14:15], 0x0
	s_waitcnt lgkmcnt(0)
	v_cmp_gt_i64_e32 vcc_lo, s[0:1], v[4:5]
	s_and_b32 exec_lo, exec_lo, vcc_lo
	s_cbranch_execz .LBB78_2
; %bb.14:                               ;   in Loop: Header=BB78_3 Depth=1
	v_add_co_u32 v3, vcc_lo, v4, 1
	v_add_co_ci_u32_e32 v4, vcc_lo, 0, v5, vcc_lo
	v_lshlrev_b64 v[7:8], 2, v[12:13]
	s_delay_alu instid0(VALU_DEP_3) | instskip(NEXT) | instid1(VALU_DEP_3)
	v_sub_co_u32 v5, vcc_lo, v3, v15
	v_sub_co_ci_u32_e32 v6, vcc_lo, v4, v16, vcc_lo
	v_cmp_gt_i64_e32 vcc_lo, s[0:1], v[3:4]
	s_delay_alu instid0(VALU_DEP_4) | instskip(NEXT) | instid1(VALU_DEP_3)
	v_add_co_u32 v3, s1, s8, v7
	v_cmp_gt_i64_e64 s0, s[4:5], v[5:6]
	v_add_co_ci_u32_e64 v4, s1, s9, v8, s1
	global_store_b32 v[3:4], v2, off
	s_and_b32 s0, vcc_lo, s0
	s_delay_alu instid0(SALU_CYCLE_1)
	s_and_b32 exec_lo, exec_lo, s0
	s_cbranch_execz .LBB78_2
; %bb.15:                               ;   in Loop: Header=BB78_3 Depth=1
	s_lshl_b64 s[0:1], s[28:29], 2
	s_delay_alu instid0(SALU_CYCLE_1)
	v_add_co_u32 v3, vcc_lo, v3, s0
	v_add_co_ci_u32_e32 v4, vcc_lo, s1, v4, vcc_lo
	global_store_b32 v[3:4], v2, off
	s_branch .LBB78_2
.LBB78_16:                              ;   in Loop: Header=BB78_17 Depth=2
	s_or_b32 exec_lo, exec_lo, s0
	s_load_b64 s[0:1], s[36:37], 0x0
	s_delay_alu instid0(VALU_DEP_1)
	v_mul_lo_u32 v3, v11, s38
	v_mul_lo_u32 v17, v10, s39
	v_mad_u64_u32 v[12:13], null, v10, s38, 0
	s_add_u32 s36, s36, -8
	s_addc_u32 s37, s37, -1
	s_add_u32 s34, s34, -8
	s_addc_u32 s35, s35, -1
	;; [unrolled: 2-line block ×3, first 2 shown]
	s_delay_alu instid0(VALU_DEP_1) | instskip(SKIP_1) | instid1(VALU_DEP_2)
	v_add3_u32 v3, v13, v17, v3
	v_sub_co_u32 v6, vcc_lo, v6, v12
	v_sub_co_ci_u32_e32 v3, vcc_lo, v7, v3, vcc_lo
	s_waitcnt lgkmcnt(0)
	s_delay_alu instid0(VALU_DEP_2) | instskip(NEXT) | instid1(VALU_DEP_2)
	v_mul_lo_u32 v7, s1, v6
	v_mul_lo_u32 v3, s0, v3
	v_mad_u64_u32 v[12:13], null, s0, v6, v[8:9]
	v_cmp_lt_i64_e64 s0, s[30:31], 1
	s_delay_alu instid0(VALU_DEP_1) | instskip(NEXT) | instid1(VALU_DEP_2)
	s_and_b32 vcc_lo, exec_lo, s0
	v_add3_u32 v13, v7, v13, v3
	s_delay_alu instid0(VALU_DEP_3) | instskip(SKIP_1) | instid1(VALU_DEP_3)
	v_mov_b32_e32 v8, v12
	v_dual_mov_b32 v6, v10 :: v_dual_mov_b32 v7, v11
	v_mov_b32_e32 v9, v13
	s_cbranch_vccnz .LBB78_13
.LBB78_17:                              ;   Parent Loop BB78_3 Depth=1
                                        ; =>  This Inner Loop Header: Depth=2
	s_load_b64 s[38:39], s[34:35], 0x0
                                        ; implicit-def: $vgpr10_vgpr11
	s_mov_b32 s0, exec_lo
	s_waitcnt lgkmcnt(0)
	v_or_b32_e32 v3, s39, v7
	s_delay_alu instid0(VALU_DEP_1)
	v_cmpx_ne_u64_e32 0, v[2:3]
	s_xor_b32 s1, exec_lo, s0
	s_cbranch_execz .LBB78_19
; %bb.18:                               ;   in Loop: Header=BB78_17 Depth=2
	s_ashr_i32 s40, s39, 31
	s_delay_alu instid0(SALU_CYCLE_1) | instskip(SKIP_2) | instid1(SALU_CYCLE_1)
	s_add_u32 s42, s38, s40
	s_mov_b32 s41, s40
	s_addc_u32 s43, s39, s40
	s_xor_b64 s[42:43], s[42:43], s[40:41]
	s_delay_alu instid0(SALU_CYCLE_1) | instskip(SKIP_3) | instid1(VALU_DEP_1)
	v_cvt_f32_u32_e32 v3, s42
	v_cvt_f32_u32_e32 v10, s43
	s_sub_u32 s0, 0, s42
	s_subb_u32 s27, 0, s43
	v_fmac_f32_e32 v3, 0x4f800000, v10
	s_delay_alu instid0(VALU_DEP_1) | instskip(SKIP_2) | instid1(VALU_DEP_1)
	v_rcp_f32_e32 v3, v3
	s_waitcnt_depctr 0xfff
	v_mul_f32_e32 v3, 0x5f7ffffc, v3
	v_mul_f32_e32 v10, 0x2f800000, v3
	s_delay_alu instid0(VALU_DEP_1) | instskip(NEXT) | instid1(VALU_DEP_1)
	v_trunc_f32_e32 v10, v10
	v_fmac_f32_e32 v3, 0xcf800000, v10
	v_cvt_u32_f32_e32 v10, v10
	s_delay_alu instid0(VALU_DEP_2) | instskip(NEXT) | instid1(VALU_DEP_2)
	v_cvt_u32_f32_e32 v3, v3
	v_mul_lo_u32 v11, s0, v10
	s_delay_alu instid0(VALU_DEP_2) | instskip(SKIP_1) | instid1(VALU_DEP_2)
	v_mul_hi_u32 v12, s0, v3
	v_mul_lo_u32 v13, s27, v3
	v_add_nc_u32_e32 v11, v12, v11
	v_mul_lo_u32 v12, s0, v3
	s_delay_alu instid0(VALU_DEP_2) | instskip(NEXT) | instid1(VALU_DEP_2)
	v_add_nc_u32_e32 v11, v11, v13
	v_mul_hi_u32 v13, v3, v12
	s_delay_alu instid0(VALU_DEP_2)
	v_mul_lo_u32 v17, v3, v11
	v_mul_hi_u32 v18, v3, v11
	v_mul_hi_u32 v19, v10, v12
	v_mul_lo_u32 v12, v10, v12
	v_mul_hi_u32 v20, v10, v11
	v_mul_lo_u32 v11, v10, v11
	v_add_co_u32 v13, vcc_lo, v13, v17
	v_add_co_ci_u32_e32 v17, vcc_lo, 0, v18, vcc_lo
	s_delay_alu instid0(VALU_DEP_2) | instskip(NEXT) | instid1(VALU_DEP_2)
	v_add_co_u32 v12, vcc_lo, v13, v12
	v_add_co_ci_u32_e32 v12, vcc_lo, v17, v19, vcc_lo
	v_add_co_ci_u32_e32 v13, vcc_lo, 0, v20, vcc_lo
	v_ashrrev_i32_e32 v19, 31, v7
	s_delay_alu instid0(VALU_DEP_3) | instskip(NEXT) | instid1(VALU_DEP_3)
	v_add_co_u32 v11, vcc_lo, v12, v11
	v_add_co_ci_u32_e32 v12, vcc_lo, 0, v13, vcc_lo
	s_delay_alu instid0(VALU_DEP_2) | instskip(NEXT) | instid1(VALU_DEP_2)
	v_add_co_u32 v3, vcc_lo, v3, v11
	v_add_co_ci_u32_e32 v10, vcc_lo, v10, v12, vcc_lo
	s_delay_alu instid0(VALU_DEP_2) | instskip(SKIP_1) | instid1(VALU_DEP_3)
	v_mul_hi_u32 v11, s0, v3
	v_mul_lo_u32 v13, s27, v3
	v_mul_lo_u32 v12, s0, v10
	s_delay_alu instid0(VALU_DEP_1) | instskip(SKIP_1) | instid1(VALU_DEP_2)
	v_add_nc_u32_e32 v11, v11, v12
	v_mul_lo_u32 v12, s0, v3
	v_add_nc_u32_e32 v11, v11, v13
	s_delay_alu instid0(VALU_DEP_2) | instskip(NEXT) | instid1(VALU_DEP_2)
	v_mul_hi_u32 v13, v3, v12
	v_mul_lo_u32 v17, v3, v11
	v_mul_hi_u32 v18, v3, v11
	v_mul_hi_u32 v20, v10, v12
	v_mul_lo_u32 v12, v10, v12
	v_mul_hi_u32 v21, v10, v11
	v_mul_lo_u32 v11, v10, v11
	v_add_co_u32 v13, vcc_lo, v13, v17
	v_add_co_ci_u32_e32 v17, vcc_lo, 0, v18, vcc_lo
	s_delay_alu instid0(VALU_DEP_2) | instskip(NEXT) | instid1(VALU_DEP_2)
	v_add_co_u32 v12, vcc_lo, v13, v12
	v_add_co_ci_u32_e32 v12, vcc_lo, v17, v20, vcc_lo
	v_add_co_ci_u32_e32 v13, vcc_lo, 0, v21, vcc_lo
	v_add_co_u32 v17, vcc_lo, v6, v19
	v_add_co_ci_u32_e32 v18, vcc_lo, v7, v19, vcc_lo
	s_delay_alu instid0(VALU_DEP_4) | instskip(NEXT) | instid1(VALU_DEP_4)
	v_add_co_u32 v11, vcc_lo, v12, v11
	v_add_co_ci_u32_e32 v12, vcc_lo, 0, v13, vcc_lo
	s_delay_alu instid0(VALU_DEP_4) | instskip(NEXT) | instid1(VALU_DEP_3)
	v_xor_b32_e32 v20, v17, v19
	v_add_co_u32 v3, vcc_lo, v3, v11
	s_delay_alu instid0(VALU_DEP_3) | instskip(SKIP_1) | instid1(VALU_DEP_3)
	v_add_co_ci_u32_e32 v21, vcc_lo, v10, v12, vcc_lo
	v_xor_b32_e32 v22, v18, v19
	v_mul_hi_u32 v23, v20, v3
	s_delay_alu instid0(VALU_DEP_3) | instskip(NEXT) | instid1(VALU_DEP_3)
	v_mad_u64_u32 v[10:11], null, v20, v21, 0
	v_mad_u64_u32 v[12:13], null, v22, v3, 0
	;; [unrolled: 1-line block ×3, first 2 shown]
	s_delay_alu instid0(VALU_DEP_3) | instskip(NEXT) | instid1(VALU_DEP_4)
	v_add_co_u32 v3, vcc_lo, v23, v10
	v_add_co_ci_u32_e32 v10, vcc_lo, 0, v11, vcc_lo
	s_delay_alu instid0(VALU_DEP_2) | instskip(NEXT) | instid1(VALU_DEP_2)
	v_add_co_u32 v3, vcc_lo, v3, v12
	v_add_co_ci_u32_e32 v3, vcc_lo, v10, v13, vcc_lo
	v_add_co_ci_u32_e32 v10, vcc_lo, 0, v18, vcc_lo
	s_delay_alu instid0(VALU_DEP_2) | instskip(NEXT) | instid1(VALU_DEP_2)
	v_add_co_u32 v3, vcc_lo, v3, v17
	v_add_co_ci_u32_e32 v12, vcc_lo, 0, v10, vcc_lo
	s_delay_alu instid0(VALU_DEP_2) | instskip(SKIP_1) | instid1(VALU_DEP_3)
	v_mul_lo_u32 v13, s43, v3
	v_mad_u64_u32 v[10:11], null, s42, v3, 0
	v_mul_lo_u32 v17, s42, v12
	s_delay_alu instid0(VALU_DEP_2) | instskip(NEXT) | instid1(VALU_DEP_2)
	v_sub_co_u32 v10, vcc_lo, v20, v10
	v_add3_u32 v11, v11, v17, v13
	s_delay_alu instid0(VALU_DEP_1) | instskip(NEXT) | instid1(VALU_DEP_1)
	v_sub_nc_u32_e32 v13, v22, v11
	v_subrev_co_ci_u32_e64 v13, s0, s43, v13, vcc_lo
	v_add_co_u32 v17, s0, v3, 2
	s_delay_alu instid0(VALU_DEP_1) | instskip(SKIP_3) | instid1(VALU_DEP_3)
	v_add_co_ci_u32_e64 v18, s0, 0, v12, s0
	v_sub_co_u32 v20, s0, v10, s42
	v_sub_co_ci_u32_e32 v11, vcc_lo, v22, v11, vcc_lo
	v_subrev_co_ci_u32_e64 v13, s0, 0, v13, s0
	v_cmp_le_u32_e32 vcc_lo, s42, v20
	s_delay_alu instid0(VALU_DEP_3) | instskip(SKIP_1) | instid1(VALU_DEP_4)
	v_cmp_eq_u32_e64 s0, s43, v11
	v_cndmask_b32_e64 v20, 0, -1, vcc_lo
	v_cmp_le_u32_e32 vcc_lo, s43, v13
	v_cndmask_b32_e64 v21, 0, -1, vcc_lo
	v_cmp_le_u32_e32 vcc_lo, s42, v10
	;; [unrolled: 2-line block ×3, first 2 shown]
	v_cndmask_b32_e64 v22, 0, -1, vcc_lo
	v_cmp_eq_u32_e32 vcc_lo, s43, v13
	s_delay_alu instid0(VALU_DEP_2) | instskip(SKIP_3) | instid1(VALU_DEP_3)
	v_cndmask_b32_e64 v10, v22, v10, s0
	v_cndmask_b32_e32 v13, v21, v20, vcc_lo
	v_add_co_u32 v20, vcc_lo, v3, 1
	v_add_co_ci_u32_e32 v21, vcc_lo, 0, v12, vcc_lo
	v_cmp_ne_u32_e32 vcc_lo, 0, v13
	s_delay_alu instid0(VALU_DEP_2) | instskip(NEXT) | instid1(VALU_DEP_4)
	v_cndmask_b32_e32 v11, v21, v18, vcc_lo
	v_cndmask_b32_e32 v13, v20, v17, vcc_lo
	v_cmp_ne_u32_e32 vcc_lo, 0, v10
	v_xor_b32_e32 v17, s40, v19
	s_delay_alu instid0(VALU_DEP_3) | instskip(NEXT) | instid1(VALU_DEP_1)
	v_dual_cndmask_b32 v3, v3, v13 :: v_dual_cndmask_b32 v10, v12, v11
	v_xor_b32_e32 v3, v3, v17
	s_delay_alu instid0(VALU_DEP_2) | instskip(NEXT) | instid1(VALU_DEP_2)
	v_xor_b32_e32 v11, v10, v17
	v_sub_co_u32 v10, vcc_lo, v3, v17
	s_delay_alu instid0(VALU_DEP_2)
	v_sub_co_ci_u32_e32 v11, vcc_lo, v11, v17, vcc_lo
.LBB78_19:                              ;   in Loop: Header=BB78_17 Depth=2
	s_and_not1_saveexec_b32 s0, s1
	s_cbranch_execz .LBB78_16
; %bb.20:                               ;   in Loop: Header=BB78_17 Depth=2
	v_cvt_f32_u32_e32 v3, s38
	s_sub_i32 s1, 0, s38
	s_delay_alu instid0(VALU_DEP_1) | instskip(SKIP_2) | instid1(VALU_DEP_1)
	v_rcp_iflag_f32_e32 v3, v3
	s_waitcnt_depctr 0xfff
	v_mul_f32_e32 v3, 0x4f7ffffe, v3
	v_cvt_u32_f32_e32 v3, v3
	s_delay_alu instid0(VALU_DEP_1) | instskip(NEXT) | instid1(VALU_DEP_1)
	v_mul_lo_u32 v10, s1, v3
	v_mul_hi_u32 v10, v3, v10
	s_delay_alu instid0(VALU_DEP_1) | instskip(NEXT) | instid1(VALU_DEP_1)
	v_add_nc_u32_e32 v3, v3, v10
	v_mul_hi_u32 v3, v6, v3
	s_delay_alu instid0(VALU_DEP_1) | instskip(SKIP_1) | instid1(VALU_DEP_2)
	v_mul_lo_u32 v10, v3, s38
	v_add_nc_u32_e32 v11, 1, v3
	v_sub_nc_u32_e32 v10, v6, v10
	s_delay_alu instid0(VALU_DEP_1) | instskip(SKIP_1) | instid1(VALU_DEP_2)
	v_subrev_nc_u32_e32 v12, s38, v10
	v_cmp_le_u32_e32 vcc_lo, s38, v10
	v_dual_cndmask_b32 v10, v10, v12 :: v_dual_cndmask_b32 v3, v3, v11
	s_delay_alu instid0(VALU_DEP_1) | instskip(NEXT) | instid1(VALU_DEP_2)
	v_cmp_le_u32_e32 vcc_lo, s38, v10
	v_add_nc_u32_e32 v11, 1, v3
	s_delay_alu instid0(VALU_DEP_1)
	v_dual_cndmask_b32 v10, v3, v11 :: v_dual_mov_b32 v11, v2
	s_branch .LBB78_16
.LBB78_21:
	s_nop 0
	s_sendmsg sendmsg(MSG_DEALLOC_VGPRS)
	s_endpgm
	.section	.rodata,"a",@progbits
	.p2align	6, 0x0
	.amdhsa_kernel _ZN2at6native16triu_tril_kernelIflLb1ELi2ELb1EEEvNS_4cuda6detail10TensorInfoIT_T0_EENS4_IKS5_S6_EEllS6_
		.amdhsa_group_segment_fixed_size 0
		.amdhsa_private_segment_fixed_size 0
		.amdhsa_kernarg_size 1112
		.amdhsa_user_sgpr_count 15
		.amdhsa_user_sgpr_dispatch_ptr 0
		.amdhsa_user_sgpr_queue_ptr 0
		.amdhsa_user_sgpr_kernarg_segment_ptr 1
		.amdhsa_user_sgpr_dispatch_id 0
		.amdhsa_user_sgpr_private_segment_size 0
		.amdhsa_wavefront_size32 1
		.amdhsa_uses_dynamic_stack 0
		.amdhsa_enable_private_segment 0
		.amdhsa_system_sgpr_workgroup_id_x 1
		.amdhsa_system_sgpr_workgroup_id_y 0
		.amdhsa_system_sgpr_workgroup_id_z 0
		.amdhsa_system_sgpr_workgroup_info 0
		.amdhsa_system_vgpr_workitem_id 0
		.amdhsa_next_free_vgpr 24
		.amdhsa_next_free_sgpr 46
		.amdhsa_reserve_vcc 1
		.amdhsa_float_round_mode_32 0
		.amdhsa_float_round_mode_16_64 0
		.amdhsa_float_denorm_mode_32 3
		.amdhsa_float_denorm_mode_16_64 3
		.amdhsa_dx10_clamp 1
		.amdhsa_ieee_mode 1
		.amdhsa_fp16_overflow 0
		.amdhsa_workgroup_processor_mode 1
		.amdhsa_memory_ordered 1
		.amdhsa_forward_progress 0
		.amdhsa_shared_vgpr_count 0
		.amdhsa_exception_fp_ieee_invalid_op 0
		.amdhsa_exception_fp_denorm_src 0
		.amdhsa_exception_fp_ieee_div_zero 0
		.amdhsa_exception_fp_ieee_overflow 0
		.amdhsa_exception_fp_ieee_underflow 0
		.amdhsa_exception_fp_ieee_inexact 0
		.amdhsa_exception_int_div_zero 0
	.end_amdhsa_kernel
	.section	.text._ZN2at6native16triu_tril_kernelIflLb1ELi2ELb1EEEvNS_4cuda6detail10TensorInfoIT_T0_EENS4_IKS5_S6_EEllS6_,"axG",@progbits,_ZN2at6native16triu_tril_kernelIflLb1ELi2ELb1EEEvNS_4cuda6detail10TensorInfoIT_T0_EENS4_IKS5_S6_EEllS6_,comdat
.Lfunc_end78:
	.size	_ZN2at6native16triu_tril_kernelIflLb1ELi2ELb1EEEvNS_4cuda6detail10TensorInfoIT_T0_EENS4_IKS5_S6_EEllS6_, .Lfunc_end78-_ZN2at6native16triu_tril_kernelIflLb1ELi2ELb1EEEvNS_4cuda6detail10TensorInfoIT_T0_EENS4_IKS5_S6_EEllS6_
                                        ; -- End function
	.section	.AMDGPU.csdata,"",@progbits
; Kernel info:
; codeLenInByte = 3876
; NumSgprs: 48
; NumVgprs: 24
; ScratchSize: 0
; MemoryBound: 0
; FloatMode: 240
; IeeeMode: 1
; LDSByteSize: 0 bytes/workgroup (compile time only)
; SGPRBlocks: 5
; VGPRBlocks: 2
; NumSGPRsForWavesPerEU: 48
; NumVGPRsForWavesPerEU: 24
; Occupancy: 16
; WaveLimiterHint : 0
; COMPUTE_PGM_RSRC2:SCRATCH_EN: 0
; COMPUTE_PGM_RSRC2:USER_SGPR: 15
; COMPUTE_PGM_RSRC2:TRAP_HANDLER: 0
; COMPUTE_PGM_RSRC2:TGID_X_EN: 1
; COMPUTE_PGM_RSRC2:TGID_Y_EN: 0
; COMPUTE_PGM_RSRC2:TGID_Z_EN: 0
; COMPUTE_PGM_RSRC2:TIDIG_COMP_CNT: 0
	.section	.text._ZN2at6native16triu_tril_kernelIflLb1ELi2ELb0EEEvNS_4cuda6detail10TensorInfoIT_T0_EENS4_IKS5_S6_EEllS6_,"axG",@progbits,_ZN2at6native16triu_tril_kernelIflLb1ELi2ELb0EEEvNS_4cuda6detail10TensorInfoIT_T0_EENS4_IKS5_S6_EEllS6_,comdat
	.protected	_ZN2at6native16triu_tril_kernelIflLb1ELi2ELb0EEEvNS_4cuda6detail10TensorInfoIT_T0_EENS4_IKS5_S6_EEllS6_ ; -- Begin function _ZN2at6native16triu_tril_kernelIflLb1ELi2ELb0EEEvNS_4cuda6detail10TensorInfoIT_T0_EENS4_IKS5_S6_EEllS6_
	.globl	_ZN2at6native16triu_tril_kernelIflLb1ELi2ELb0EEEvNS_4cuda6detail10TensorInfoIT_T0_EENS4_IKS5_S6_EEllS6_
	.p2align	8
	.type	_ZN2at6native16triu_tril_kernelIflLb1ELi2ELb0EEEvNS_4cuda6detail10TensorInfoIT_T0_EENS4_IKS5_S6_EEllS6_,@function
_ZN2at6native16triu_tril_kernelIflLb1ELi2ELb0EEEvNS_4cuda6detail10TensorInfoIT_T0_EENS4_IKS5_S6_EEllS6_: ; @_ZN2at6native16triu_tril_kernelIflLb1ELi2ELb0EEEvNS_4cuda6detail10TensorInfoIT_T0_EENS4_IKS5_S6_EEllS6_
; %bb.0:
	s_clause 0x1
	s_load_b32 s2, s[0:1], 0x364
	s_load_b128 s[4:7], s[0:1], 0x340
	v_mov_b32_e32 v2, 0
	s_add_u32 s8, s0, 0x358
	s_addc_u32 s9, s1, 0
	s_delay_alu instid0(VALU_DEP_1) | instskip(SKIP_3) | instid1(VALU_DEP_1)
	v_mov_b32_e32 v1, v2
	s_waitcnt lgkmcnt(0)
	s_and_b32 s24, s2, 0xffff
	s_mov_b32 s2, exec_lo
	v_mad_u64_u32 v[3:4], null, s24, s15, v[0:1]
	s_delay_alu instid0(VALU_DEP_1) | instskip(NEXT) | instid1(VALU_DEP_1)
	v_lshlrev_b64 v[0:1], 1, v[3:4]
	v_cmpx_gt_i64_e64 s[6:7], v[0:1]
	s_cbranch_execz .LBB79_26
; %bb.1:
	s_clause 0x1
	s_load_b32 s26, s[0:1], 0x338
	s_load_b64 s[2:3], s[0:1], 0x350
	s_add_u32 s10, s0, 0x1a0
	s_addc_u32 s11, s1, 0
	s_load_b32 s25, s[8:9], 0x0
	s_clause 0x1
	s_load_b64 s[20:21], s[0:1], 0x1a0
	s_load_b64 s[22:23], s[0:1], 0x0
	s_mov_b32 s46, 0
	s_waitcnt lgkmcnt(0)
	s_ashr_i32 s27, s26, 31
	s_add_u32 s30, s0, 0x1a8
	s_addc_u32 s31, s1, 0
	s_lshl_b64 s[8:9], s[26:27], 3
	v_cvt_f32_u32_e32 v3, s2
	s_add_u32 s14, s8, -16
	s_addc_u32 s15, s9, -1
	s_add_u32 s8, s30, s14
	s_addc_u32 s9, s31, s15
	s_add_u32 s12, s10, s14
	s_addc_u32 s13, s11, s15
	;; [unrolled: 2-line block ×4, first 2 shown]
	s_clause 0x2
	s_load_b128 s[8:11], s[8:9], 0x0
	s_load_b128 s[12:15], s[12:13], 0xd0
	;; [unrolled: 1-line block ×3, first 2 shown]
	v_rcp_iflag_f32_e32 v3, v3
	s_add_i32 s28, s26, -3
	s_mul_i32 s25, s25, s24
	s_ashr_i32 s29, s28, 31
	v_cmp_gt_i64_e64 s1, s[26:27], 2
	s_lshl_b64 s[26:27], s[28:29], 3
	s_lshl_b32 s33, s25, 1
	s_add_u32 s24, s34, s26
	s_addc_u32 s25, s35, s27
	s_add_u32 s26, s30, s26
	s_waitcnt_depctr 0xfff
	v_mul_f32_e32 v3, 0x4f7ffffe, v3
	s_addc_u32 s27, s31, s27
	s_add_u32 s28, s28, 1
	s_addc_u32 s29, s29, 0
	s_ashr_i32 s30, s3, 31
	v_cvt_u32_f32_e32 v18, v3
	s_branch .LBB79_3
.LBB79_2:                               ;   in Loop: Header=BB79_3 Depth=1
	s_or_b32 exec_lo, exec_lo, s0
	v_add_co_u32 v0, vcc_lo, v0, s33
	v_add_co_ci_u32_e32 v1, vcc_lo, 0, v1, vcc_lo
	s_delay_alu instid0(VALU_DEP_1) | instskip(SKIP_1) | instid1(SALU_CYCLE_1)
	v_cmp_le_i64_e32 vcc_lo, s[6:7], v[0:1]
	s_or_b32 s46, vcc_lo, s46
	s_and_not1_b32 exec_lo, exec_lo, s46
	s_cbranch_execz .LBB79_26
.LBB79_3:                               ; =>This Loop Header: Depth=1
                                        ;     Child Loop BB79_22 Depth 2
	v_or_b32_e32 v3, s3, v1
                                        ; implicit-def: $vgpr8_vgpr9
	s_mov_b32 s0, exec_lo
	s_delay_alu instid0(VALU_DEP_1)
	v_cmpx_ne_u64_e32 0, v[2:3]
	s_xor_b32 s36, exec_lo, s0
	s_cbranch_execz .LBB79_5
; %bb.4:                                ;   in Loop: Header=BB79_3 Depth=1
	s_add_u32 s34, s2, s30
	s_mov_b32 s31, s30
	s_addc_u32 s35, s3, s30
	s_delay_alu instid0(SALU_CYCLE_1) | instskip(NEXT) | instid1(SALU_CYCLE_1)
	s_xor_b64 s[34:35], s[34:35], s[30:31]
	v_cvt_f32_u32_e32 v3, s34
	v_cvt_f32_u32_e32 v4, s35
	s_sub_u32 s0, 0, s34
	s_subb_u32 s31, 0, s35
	s_delay_alu instid0(VALU_DEP_1) | instskip(NEXT) | instid1(VALU_DEP_1)
	v_fmac_f32_e32 v3, 0x4f800000, v4
	v_rcp_f32_e32 v3, v3
	s_waitcnt_depctr 0xfff
	v_mul_f32_e32 v3, 0x5f7ffffc, v3
	s_delay_alu instid0(VALU_DEP_1) | instskip(NEXT) | instid1(VALU_DEP_1)
	v_mul_f32_e32 v4, 0x2f800000, v3
	v_trunc_f32_e32 v4, v4
	s_delay_alu instid0(VALU_DEP_1) | instskip(SKIP_1) | instid1(VALU_DEP_2)
	v_fmac_f32_e32 v3, 0xcf800000, v4
	v_cvt_u32_f32_e32 v4, v4
	v_cvt_u32_f32_e32 v3, v3
	s_delay_alu instid0(VALU_DEP_2) | instskip(NEXT) | instid1(VALU_DEP_2)
	v_mul_lo_u32 v5, s0, v4
	v_mul_hi_u32 v6, s0, v3
	v_mul_lo_u32 v7, s31, v3
	s_delay_alu instid0(VALU_DEP_2) | instskip(SKIP_1) | instid1(VALU_DEP_2)
	v_add_nc_u32_e32 v5, v6, v5
	v_mul_lo_u32 v6, s0, v3
	v_add_nc_u32_e32 v5, v5, v7
	s_delay_alu instid0(VALU_DEP_2) | instskip(NEXT) | instid1(VALU_DEP_2)
	v_mul_hi_u32 v7, v3, v6
	v_mul_lo_u32 v8, v3, v5
	v_mul_hi_u32 v9, v3, v5
	v_mul_hi_u32 v10, v4, v6
	v_mul_lo_u32 v6, v4, v6
	v_mul_hi_u32 v11, v4, v5
	v_mul_lo_u32 v5, v4, v5
	v_add_co_u32 v7, vcc_lo, v7, v8
	v_add_co_ci_u32_e32 v8, vcc_lo, 0, v9, vcc_lo
	s_delay_alu instid0(VALU_DEP_2) | instskip(NEXT) | instid1(VALU_DEP_2)
	v_add_co_u32 v6, vcc_lo, v7, v6
	v_add_co_ci_u32_e32 v6, vcc_lo, v8, v10, vcc_lo
	v_add_co_ci_u32_e32 v7, vcc_lo, 0, v11, vcc_lo
	v_ashrrev_i32_e32 v10, 31, v1
	s_delay_alu instid0(VALU_DEP_3) | instskip(NEXT) | instid1(VALU_DEP_3)
	v_add_co_u32 v5, vcc_lo, v6, v5
	v_add_co_ci_u32_e32 v6, vcc_lo, 0, v7, vcc_lo
	s_delay_alu instid0(VALU_DEP_2) | instskip(NEXT) | instid1(VALU_DEP_2)
	v_add_co_u32 v3, vcc_lo, v3, v5
	v_add_co_ci_u32_e32 v4, vcc_lo, v4, v6, vcc_lo
	s_delay_alu instid0(VALU_DEP_2) | instskip(SKIP_1) | instid1(VALU_DEP_3)
	v_mul_hi_u32 v5, s0, v3
	v_mul_lo_u32 v7, s31, v3
	v_mul_lo_u32 v6, s0, v4
	s_delay_alu instid0(VALU_DEP_1) | instskip(SKIP_1) | instid1(VALU_DEP_2)
	v_add_nc_u32_e32 v5, v5, v6
	v_mul_lo_u32 v6, s0, v3
	v_add_nc_u32_e32 v5, v5, v7
	s_delay_alu instid0(VALU_DEP_2) | instskip(NEXT) | instid1(VALU_DEP_2)
	v_mul_hi_u32 v7, v3, v6
	v_mul_lo_u32 v8, v3, v5
	v_mul_hi_u32 v9, v3, v5
	v_mul_hi_u32 v11, v4, v6
	v_mul_lo_u32 v6, v4, v6
	v_mul_hi_u32 v12, v4, v5
	v_mul_lo_u32 v5, v4, v5
	v_add_co_u32 v7, vcc_lo, v7, v8
	v_add_co_ci_u32_e32 v8, vcc_lo, 0, v9, vcc_lo
	s_delay_alu instid0(VALU_DEP_2) | instskip(NEXT) | instid1(VALU_DEP_2)
	v_add_co_u32 v6, vcc_lo, v7, v6
	v_add_co_ci_u32_e32 v6, vcc_lo, v8, v11, vcc_lo
	v_add_co_ci_u32_e32 v7, vcc_lo, 0, v12, vcc_lo
	v_add_co_u32 v8, vcc_lo, v0, v10
	v_add_co_ci_u32_e32 v9, vcc_lo, v1, v10, vcc_lo
	s_delay_alu instid0(VALU_DEP_4) | instskip(NEXT) | instid1(VALU_DEP_4)
	v_add_co_u32 v5, vcc_lo, v6, v5
	v_add_co_ci_u32_e32 v6, vcc_lo, 0, v7, vcc_lo
	s_delay_alu instid0(VALU_DEP_4) | instskip(NEXT) | instid1(VALU_DEP_3)
	v_xor_b32_e32 v11, v8, v10
	v_add_co_u32 v7, vcc_lo, v3, v5
	s_delay_alu instid0(VALU_DEP_3) | instskip(SKIP_1) | instid1(VALU_DEP_3)
	v_add_co_ci_u32_e32 v12, vcc_lo, v4, v6, vcc_lo
	v_xor_b32_e32 v9, v9, v10
	v_mul_hi_u32 v13, v11, v7
	s_delay_alu instid0(VALU_DEP_3) | instskip(NEXT) | instid1(VALU_DEP_3)
	v_mad_u64_u32 v[3:4], null, v11, v12, 0
	v_mad_u64_u32 v[5:6], null, v9, v7, 0
	v_mad_u64_u32 v[7:8], null, v9, v12, 0
	s_delay_alu instid0(VALU_DEP_3) | instskip(NEXT) | instid1(VALU_DEP_4)
	v_add_co_u32 v3, vcc_lo, v13, v3
	v_add_co_ci_u32_e32 v4, vcc_lo, 0, v4, vcc_lo
	s_delay_alu instid0(VALU_DEP_2) | instskip(NEXT) | instid1(VALU_DEP_2)
	v_add_co_u32 v3, vcc_lo, v3, v5
	v_add_co_ci_u32_e32 v3, vcc_lo, v4, v6, vcc_lo
	v_add_co_ci_u32_e32 v4, vcc_lo, 0, v8, vcc_lo
	s_delay_alu instid0(VALU_DEP_2) | instskip(NEXT) | instid1(VALU_DEP_2)
	v_add_co_u32 v5, vcc_lo, v3, v7
	v_add_co_ci_u32_e32 v6, vcc_lo, 0, v4, vcc_lo
	s_delay_alu instid0(VALU_DEP_2) | instskip(SKIP_1) | instid1(VALU_DEP_3)
	v_mul_lo_u32 v7, s35, v5
	v_mad_u64_u32 v[3:4], null, s34, v5, 0
	v_mul_lo_u32 v8, s34, v6
	s_delay_alu instid0(VALU_DEP_2) | instskip(NEXT) | instid1(VALU_DEP_2)
	v_sub_co_u32 v3, vcc_lo, v11, v3
	v_add3_u32 v4, v4, v8, v7
	s_delay_alu instid0(VALU_DEP_1) | instskip(NEXT) | instid1(VALU_DEP_1)
	v_sub_nc_u32_e32 v7, v9, v4
	v_subrev_co_ci_u32_e64 v7, s0, s35, v7, vcc_lo
	v_add_co_u32 v8, s0, v5, 2
	s_delay_alu instid0(VALU_DEP_1) | instskip(SKIP_3) | instid1(VALU_DEP_3)
	v_add_co_ci_u32_e64 v11, s0, 0, v6, s0
	v_sub_co_u32 v12, s0, v3, s34
	v_sub_co_ci_u32_e32 v4, vcc_lo, v9, v4, vcc_lo
	v_subrev_co_ci_u32_e64 v7, s0, 0, v7, s0
	v_cmp_le_u32_e32 vcc_lo, s34, v12
	s_delay_alu instid0(VALU_DEP_3) | instskip(SKIP_1) | instid1(VALU_DEP_4)
	v_cmp_eq_u32_e64 s0, s35, v4
	v_cndmask_b32_e64 v9, 0, -1, vcc_lo
	v_cmp_le_u32_e32 vcc_lo, s35, v7
	v_cndmask_b32_e64 v12, 0, -1, vcc_lo
	v_cmp_le_u32_e32 vcc_lo, s34, v3
	;; [unrolled: 2-line block ×3, first 2 shown]
	v_cndmask_b32_e64 v13, 0, -1, vcc_lo
	v_cmp_eq_u32_e32 vcc_lo, s35, v7
	s_delay_alu instid0(VALU_DEP_2) | instskip(SKIP_3) | instid1(VALU_DEP_3)
	v_cndmask_b32_e64 v3, v13, v3, s0
	v_cndmask_b32_e32 v7, v12, v9, vcc_lo
	v_add_co_u32 v9, vcc_lo, v5, 1
	v_add_co_ci_u32_e32 v12, vcc_lo, 0, v6, vcc_lo
	v_cmp_ne_u32_e32 vcc_lo, 0, v7
	s_delay_alu instid0(VALU_DEP_2) | instskip(SKIP_2) | instid1(VALU_DEP_3)
	v_dual_cndmask_b32 v4, v12, v11 :: v_dual_cndmask_b32 v7, v9, v8
	v_cmp_ne_u32_e32 vcc_lo, 0, v3
	v_xor_b32_e32 v3, s30, v10
	v_dual_cndmask_b32 v5, v5, v7 :: v_dual_cndmask_b32 v4, v6, v4
	s_delay_alu instid0(VALU_DEP_1) | instskip(NEXT) | instid1(VALU_DEP_2)
	v_xor_b32_e32 v5, v5, v3
	v_xor_b32_e32 v4, v4, v3
	s_delay_alu instid0(VALU_DEP_2) | instskip(NEXT) | instid1(VALU_DEP_2)
	v_sub_co_u32 v8, vcc_lo, v5, v3
	v_sub_co_ci_u32_e32 v9, vcc_lo, v4, v3, vcc_lo
.LBB79_5:                               ;   in Loop: Header=BB79_3 Depth=1
	s_and_not1_saveexec_b32 s0, s36
	s_cbranch_execz .LBB79_7
; %bb.6:                                ;   in Loop: Header=BB79_3 Depth=1
	s_sub_i32 s31, 0, s2
	v_mov_b32_e32 v9, v2
	v_mul_lo_u32 v3, s31, v18
	s_delay_alu instid0(VALU_DEP_1) | instskip(NEXT) | instid1(VALU_DEP_1)
	v_mul_hi_u32 v3, v18, v3
	v_add_nc_u32_e32 v3, v18, v3
	s_delay_alu instid0(VALU_DEP_1) | instskip(NEXT) | instid1(VALU_DEP_1)
	v_mul_hi_u32 v3, v0, v3
	v_mul_lo_u32 v4, v3, s2
	v_add_nc_u32_e32 v5, 1, v3
	s_delay_alu instid0(VALU_DEP_2) | instskip(NEXT) | instid1(VALU_DEP_1)
	v_sub_nc_u32_e32 v4, v0, v4
	v_subrev_nc_u32_e32 v6, s2, v4
	v_cmp_le_u32_e32 vcc_lo, s2, v4
	s_delay_alu instid0(VALU_DEP_2) | instskip(NEXT) | instid1(VALU_DEP_1)
	v_dual_cndmask_b32 v4, v4, v6 :: v_dual_cndmask_b32 v3, v3, v5
	v_cmp_le_u32_e32 vcc_lo, s2, v4
	s_delay_alu instid0(VALU_DEP_2) | instskip(NEXT) | instid1(VALU_DEP_1)
	v_add_nc_u32_e32 v5, 1, v3
	v_cndmask_b32_e32 v8, v3, v5, vcc_lo
.LBB79_7:                               ;   in Loop: Header=BB79_3 Depth=1
	s_or_b32 exec_lo, exec_lo, s0
	s_waitcnt lgkmcnt(0)
	v_or_b32_e32 v3, s9, v9
                                        ; implicit-def: $vgpr6_vgpr7
	s_mov_b32 s0, exec_lo
	s_delay_alu instid0(VALU_DEP_1)
	v_cmpx_ne_u64_e32 0, v[2:3]
	s_xor_b32 s31, exec_lo, s0
	s_cbranch_execz .LBB79_9
; %bb.8:                                ;   in Loop: Header=BB79_3 Depth=1
	s_ashr_i32 s34, s9, 31
	s_delay_alu instid0(SALU_CYCLE_1) | instskip(SKIP_2) | instid1(SALU_CYCLE_1)
	s_add_u32 s36, s8, s34
	s_mov_b32 s35, s34
	s_addc_u32 s37, s9, s34
	s_xor_b64 s[36:37], s[36:37], s[34:35]
	s_delay_alu instid0(SALU_CYCLE_1) | instskip(SKIP_3) | instid1(VALU_DEP_1)
	v_cvt_f32_u32_e32 v3, s36
	v_cvt_f32_u32_e32 v4, s37
	s_sub_u32 s0, 0, s36
	s_subb_u32 s35, 0, s37
	v_fmac_f32_e32 v3, 0x4f800000, v4
	s_delay_alu instid0(VALU_DEP_1) | instskip(SKIP_2) | instid1(VALU_DEP_1)
	v_rcp_f32_e32 v3, v3
	s_waitcnt_depctr 0xfff
	v_mul_f32_e32 v3, 0x5f7ffffc, v3
	v_mul_f32_e32 v4, 0x2f800000, v3
	s_delay_alu instid0(VALU_DEP_1) | instskip(NEXT) | instid1(VALU_DEP_1)
	v_trunc_f32_e32 v4, v4
	v_fmac_f32_e32 v3, 0xcf800000, v4
	v_cvt_u32_f32_e32 v4, v4
	s_delay_alu instid0(VALU_DEP_2) | instskip(NEXT) | instid1(VALU_DEP_2)
	v_cvt_u32_f32_e32 v3, v3
	v_mul_lo_u32 v5, s0, v4
	s_delay_alu instid0(VALU_DEP_2) | instskip(SKIP_1) | instid1(VALU_DEP_2)
	v_mul_hi_u32 v6, s0, v3
	v_mul_lo_u32 v7, s35, v3
	v_add_nc_u32_e32 v5, v6, v5
	v_mul_lo_u32 v6, s0, v3
	s_delay_alu instid0(VALU_DEP_2) | instskip(NEXT) | instid1(VALU_DEP_2)
	v_add_nc_u32_e32 v5, v5, v7
	v_mul_hi_u32 v7, v3, v6
	s_delay_alu instid0(VALU_DEP_2)
	v_mul_lo_u32 v10, v3, v5
	v_mul_hi_u32 v11, v3, v5
	v_mul_hi_u32 v12, v4, v6
	v_mul_lo_u32 v6, v4, v6
	v_mul_hi_u32 v13, v4, v5
	v_mul_lo_u32 v5, v4, v5
	v_add_co_u32 v7, vcc_lo, v7, v10
	v_add_co_ci_u32_e32 v10, vcc_lo, 0, v11, vcc_lo
	s_delay_alu instid0(VALU_DEP_2) | instskip(NEXT) | instid1(VALU_DEP_2)
	v_add_co_u32 v6, vcc_lo, v7, v6
	v_add_co_ci_u32_e32 v6, vcc_lo, v10, v12, vcc_lo
	v_add_co_ci_u32_e32 v7, vcc_lo, 0, v13, vcc_lo
	v_ashrrev_i32_e32 v12, 31, v9
	s_delay_alu instid0(VALU_DEP_3) | instskip(NEXT) | instid1(VALU_DEP_3)
	v_add_co_u32 v5, vcc_lo, v6, v5
	v_add_co_ci_u32_e32 v6, vcc_lo, 0, v7, vcc_lo
	s_delay_alu instid0(VALU_DEP_2) | instskip(NEXT) | instid1(VALU_DEP_2)
	v_add_co_u32 v3, vcc_lo, v3, v5
	v_add_co_ci_u32_e32 v4, vcc_lo, v4, v6, vcc_lo
	s_delay_alu instid0(VALU_DEP_2) | instskip(SKIP_1) | instid1(VALU_DEP_3)
	v_mul_hi_u32 v5, s0, v3
	v_mul_lo_u32 v7, s35, v3
	v_mul_lo_u32 v6, s0, v4
	s_delay_alu instid0(VALU_DEP_1) | instskip(SKIP_1) | instid1(VALU_DEP_2)
	v_add_nc_u32_e32 v5, v5, v6
	v_mul_lo_u32 v6, s0, v3
	v_add_nc_u32_e32 v5, v5, v7
	s_delay_alu instid0(VALU_DEP_2) | instskip(NEXT) | instid1(VALU_DEP_2)
	v_mul_hi_u32 v7, v3, v6
	v_mul_lo_u32 v10, v3, v5
	v_mul_hi_u32 v11, v3, v5
	v_mul_hi_u32 v13, v4, v6
	v_mul_lo_u32 v6, v4, v6
	v_mul_hi_u32 v14, v4, v5
	v_mul_lo_u32 v5, v4, v5
	v_add_co_u32 v7, vcc_lo, v7, v10
	v_add_co_ci_u32_e32 v10, vcc_lo, 0, v11, vcc_lo
	s_delay_alu instid0(VALU_DEP_2) | instskip(NEXT) | instid1(VALU_DEP_2)
	v_add_co_u32 v6, vcc_lo, v7, v6
	v_add_co_ci_u32_e32 v6, vcc_lo, v10, v13, vcc_lo
	v_add_co_ci_u32_e32 v7, vcc_lo, 0, v14, vcc_lo
	v_add_co_u32 v10, vcc_lo, v8, v12
	v_add_co_ci_u32_e32 v11, vcc_lo, v9, v12, vcc_lo
	s_delay_alu instid0(VALU_DEP_4) | instskip(NEXT) | instid1(VALU_DEP_4)
	v_add_co_u32 v5, vcc_lo, v6, v5
	v_add_co_ci_u32_e32 v6, vcc_lo, 0, v7, vcc_lo
	s_delay_alu instid0(VALU_DEP_4) | instskip(NEXT) | instid1(VALU_DEP_3)
	v_xor_b32_e32 v7, v10, v12
	v_add_co_u32 v10, vcc_lo, v3, v5
	s_delay_alu instid0(VALU_DEP_3) | instskip(SKIP_1) | instid1(VALU_DEP_3)
	v_add_co_ci_u32_e32 v13, vcc_lo, v4, v6, vcc_lo
	v_xor_b32_e32 v14, v11, v12
	v_mul_hi_u32 v15, v7, v10
	s_delay_alu instid0(VALU_DEP_3) | instskip(NEXT) | instid1(VALU_DEP_3)
	v_mad_u64_u32 v[3:4], null, v7, v13, 0
	v_mad_u64_u32 v[5:6], null, v14, v10, 0
	;; [unrolled: 1-line block ×3, first 2 shown]
	s_delay_alu instid0(VALU_DEP_3) | instskip(NEXT) | instid1(VALU_DEP_4)
	v_add_co_u32 v3, vcc_lo, v15, v3
	v_add_co_ci_u32_e32 v4, vcc_lo, 0, v4, vcc_lo
	s_delay_alu instid0(VALU_DEP_2) | instskip(NEXT) | instid1(VALU_DEP_2)
	v_add_co_u32 v3, vcc_lo, v3, v5
	v_add_co_ci_u32_e32 v3, vcc_lo, v4, v6, vcc_lo
	v_add_co_ci_u32_e32 v4, vcc_lo, 0, v11, vcc_lo
	s_delay_alu instid0(VALU_DEP_2) | instskip(NEXT) | instid1(VALU_DEP_2)
	v_add_co_u32 v5, vcc_lo, v3, v10
	v_add_co_ci_u32_e32 v6, vcc_lo, 0, v4, vcc_lo
	s_delay_alu instid0(VALU_DEP_2) | instskip(SKIP_1) | instid1(VALU_DEP_3)
	v_mul_lo_u32 v10, s37, v5
	v_mad_u64_u32 v[3:4], null, s36, v5, 0
	v_mul_lo_u32 v11, s36, v6
	s_delay_alu instid0(VALU_DEP_2) | instskip(NEXT) | instid1(VALU_DEP_2)
	v_sub_co_u32 v3, vcc_lo, v7, v3
	v_add3_u32 v4, v4, v11, v10
	s_delay_alu instid0(VALU_DEP_1) | instskip(NEXT) | instid1(VALU_DEP_1)
	v_sub_nc_u32_e32 v10, v14, v4
	v_subrev_co_ci_u32_e64 v7, s0, s37, v10, vcc_lo
	v_add_co_u32 v10, s0, v5, 2
	s_delay_alu instid0(VALU_DEP_1) | instskip(SKIP_3) | instid1(VALU_DEP_3)
	v_add_co_ci_u32_e64 v11, s0, 0, v6, s0
	v_sub_co_u32 v13, s0, v3, s36
	v_sub_co_ci_u32_e32 v4, vcc_lo, v14, v4, vcc_lo
	v_subrev_co_ci_u32_e64 v7, s0, 0, v7, s0
	v_cmp_le_u32_e32 vcc_lo, s36, v13
	s_delay_alu instid0(VALU_DEP_3) | instskip(SKIP_1) | instid1(VALU_DEP_4)
	v_cmp_eq_u32_e64 s0, s37, v4
	v_cndmask_b32_e64 v13, 0, -1, vcc_lo
	v_cmp_le_u32_e32 vcc_lo, s37, v7
	v_cndmask_b32_e64 v14, 0, -1, vcc_lo
	v_cmp_le_u32_e32 vcc_lo, s36, v3
	;; [unrolled: 2-line block ×3, first 2 shown]
	v_cndmask_b32_e64 v15, 0, -1, vcc_lo
	v_cmp_eq_u32_e32 vcc_lo, s37, v7
	s_delay_alu instid0(VALU_DEP_2) | instskip(SKIP_3) | instid1(VALU_DEP_3)
	v_cndmask_b32_e64 v3, v15, v3, s0
	v_cndmask_b32_e32 v7, v14, v13, vcc_lo
	v_add_co_u32 v13, vcc_lo, v5, 1
	v_add_co_ci_u32_e32 v14, vcc_lo, 0, v6, vcc_lo
	v_cmp_ne_u32_e32 vcc_lo, 0, v7
	s_delay_alu instid0(VALU_DEP_2) | instskip(SKIP_2) | instid1(VALU_DEP_3)
	v_dual_cndmask_b32 v4, v14, v11 :: v_dual_cndmask_b32 v7, v13, v10
	v_cmp_ne_u32_e32 vcc_lo, 0, v3
	v_xor_b32_e32 v3, s34, v12
	v_dual_cndmask_b32 v5, v5, v7 :: v_dual_cndmask_b32 v4, v6, v4
	s_delay_alu instid0(VALU_DEP_1) | instskip(NEXT) | instid1(VALU_DEP_2)
	v_xor_b32_e32 v5, v5, v3
	v_xor_b32_e32 v4, v4, v3
	s_delay_alu instid0(VALU_DEP_2) | instskip(NEXT) | instid1(VALU_DEP_2)
	v_sub_co_u32 v6, vcc_lo, v5, v3
	v_sub_co_ci_u32_e32 v7, vcc_lo, v4, v3, vcc_lo
.LBB79_9:                               ;   in Loop: Header=BB79_3 Depth=1
	s_and_not1_saveexec_b32 s0, s31
	s_cbranch_execz .LBB79_11
; %bb.10:                               ;   in Loop: Header=BB79_3 Depth=1
	v_cvt_f32_u32_e32 v3, s8
	s_sub_i32 s31, 0, s8
	v_mov_b32_e32 v7, v2
	s_delay_alu instid0(VALU_DEP_2) | instskip(SKIP_2) | instid1(VALU_DEP_1)
	v_rcp_iflag_f32_e32 v3, v3
	s_waitcnt_depctr 0xfff
	v_mul_f32_e32 v3, 0x4f7ffffe, v3
	v_cvt_u32_f32_e32 v3, v3
	s_delay_alu instid0(VALU_DEP_1) | instskip(NEXT) | instid1(VALU_DEP_1)
	v_mul_lo_u32 v4, s31, v3
	v_mul_hi_u32 v4, v3, v4
	s_delay_alu instid0(VALU_DEP_1) | instskip(NEXT) | instid1(VALU_DEP_1)
	v_add_nc_u32_e32 v3, v3, v4
	v_mul_hi_u32 v3, v8, v3
	s_delay_alu instid0(VALU_DEP_1) | instskip(SKIP_1) | instid1(VALU_DEP_2)
	v_mul_lo_u32 v4, v3, s8
	v_add_nc_u32_e32 v5, 1, v3
	v_sub_nc_u32_e32 v4, v8, v4
	s_delay_alu instid0(VALU_DEP_1) | instskip(SKIP_1) | instid1(VALU_DEP_2)
	v_subrev_nc_u32_e32 v6, s8, v4
	v_cmp_le_u32_e32 vcc_lo, s8, v4
	v_dual_cndmask_b32 v4, v4, v6 :: v_dual_cndmask_b32 v3, v3, v5
	s_delay_alu instid0(VALU_DEP_1) | instskip(NEXT) | instid1(VALU_DEP_2)
	v_cmp_le_u32_e32 vcc_lo, s8, v4
	v_add_nc_u32_e32 v5, 1, v3
	s_delay_alu instid0(VALU_DEP_1)
	v_cndmask_b32_e32 v6, v3, v5, vcc_lo
.LBB79_11:                              ;   in Loop: Header=BB79_3 Depth=1
	s_or_b32 exec_lo, exec_lo, s0
	v_mul_lo_u32 v5, v9, s2
	v_mul_lo_u32 v12, v8, s3
	v_mad_u64_u32 v[3:4], null, v8, s2, 0
	v_mul_lo_u32 v13, v7, s8
	v_mul_lo_u32 v14, v6, s9
	v_mad_u64_u32 v[10:11], null, v6, s8, 0
	s_mov_b64 s[34:35], s[28:29]
	s_mov_b64 s[36:37], s[26:27]
	s_delay_alu instid0(VALU_DEP_4) | instskip(SKIP_2) | instid1(VALU_DEP_3)
	v_add3_u32 v5, v4, v12, v5
	v_sub_co_u32 v4, vcc_lo, v0, v3
	s_mov_b64 s[38:39], s[24:25]
	v_add3_u32 v3, v11, v14, v13
	s_delay_alu instid0(VALU_DEP_3) | instskip(NEXT) | instid1(VALU_DEP_3)
	v_sub_co_ci_u32_e32 v5, vcc_lo, v1, v5, vcc_lo
	v_mul_lo_u32 v11, s15, v4
	v_mul_lo_u32 v12, s19, v4
	v_mad_u64_u32 v[14:15], null, s18, v4, 0
	s_delay_alu instid0(VALU_DEP_4)
	v_mul_lo_u32 v13, s14, v5
	v_mul_lo_u32 v16, s18, v5
	v_mad_u64_u32 v[21:22], null, s14, v4, 0
	v_sub_co_u32 v19, vcc_lo, v8, v10
	v_sub_co_ci_u32_e32 v20, vcc_lo, v9, v3, vcc_lo
	s_and_b32 vcc_lo, exec_lo, s1
	s_delay_alu instid0(VALU_DEP_4) | instskip(NEXT) | instid1(VALU_DEP_4)
	v_add3_u32 v15, v15, v16, v12
	v_add3_u32 v22, v22, v13, v11
	v_mul_lo_u32 v3, s13, v19
	v_mul_lo_u32 v8, s12, v20
	;; [unrolled: 1-line block ×3, first 2 shown]
	v_mad_u64_u32 v[12:13], null, s16, v19, v[14:15]
	v_mul_lo_u32 v10, s17, v19
	v_mad_u64_u32 v[16:17], null, s12, v19, v[21:22]
	s_delay_alu instid0(VALU_DEP_2) | instskip(NEXT) | instid1(VALU_DEP_2)
	v_add3_u32 v13, v10, v13, v9
	v_add3_u32 v17, v3, v17, v8
	v_mov_b32_e32 v8, v12
	s_delay_alu instid0(VALU_DEP_3) | instskip(NEXT) | instid1(VALU_DEP_3)
	v_dual_mov_b32 v10, v16 :: v_dual_mov_b32 v9, v13
	v_mov_b32_e32 v11, v17
	s_cbranch_vccnz .LBB79_22
.LBB79_12:                              ;   in Loop: Header=BB79_3 Depth=1
	v_sub_co_u32 v6, vcc_lo, v4, v19
	v_sub_co_ci_u32_e32 v7, vcc_lo, v5, v20, vcc_lo
	s_delay_alu instid0(VALU_DEP_2) | instskip(NEXT) | instid1(VALU_DEP_2)
	v_add_co_u32 v8, vcc_lo, v6, 2
	v_add_co_ci_u32_e32 v9, vcc_lo, 0, v7, vcc_lo
	s_delay_alu instid0(VALU_DEP_1)
	v_cmp_le_i64_e32 vcc_lo, s[4:5], v[8:9]
	v_dual_mov_b32 v8, 0 :: v_dual_mov_b32 v9, 0
	s_and_saveexec_b32 s0, vcc_lo
	s_cbranch_execz .LBB79_18
; %bb.13:                               ;   in Loop: Header=BB79_3 Depth=1
	v_dual_mov_b32 v3, 0 :: v_dual_mov_b32 v10, 0
	s_mov_b32 s31, exec_lo
	v_cmpx_gt_i64_e64 s[10:11], v[4:5]
	s_cbranch_execz .LBB79_17
; %bb.14:                               ;   in Loop: Header=BB79_3 Depth=1
	v_lshlrev_b64 v[8:9], 2, v[16:17]
	s_delay_alu instid0(VALU_DEP_1) | instskip(NEXT) | instid1(VALU_DEP_2)
	v_add_co_u32 v8, vcc_lo, s20, v8
	v_add_co_ci_u32_e32 v9, vcc_lo, s21, v9, vcc_lo
	v_add_co_u32 v10, vcc_lo, v4, 1
	v_add_co_ci_u32_e32 v11, vcc_lo, 0, v5, vcc_lo
	global_load_b32 v3, v[8:9], off
	v_cmp_gt_i64_e32 vcc_lo, s[10:11], v[10:11]
	v_mov_b32_e32 v10, 0
	s_and_saveexec_b32 s34, vcc_lo
	s_delay_alu instid0(SALU_CYCLE_1)
	s_xor_b32 s34, exec_lo, s34
	s_cbranch_execz .LBB79_16
; %bb.15:                               ;   in Loop: Header=BB79_3 Depth=1
	s_lshl_b64 s[36:37], s[14:15], 2
	s_delay_alu instid0(SALU_CYCLE_1)
	v_add_co_u32 v8, vcc_lo, v8, s36
	v_add_co_ci_u32_e32 v9, vcc_lo, s37, v9, vcc_lo
	global_load_b32 v10, v[8:9], off
.LBB79_16:                              ;   in Loop: Header=BB79_3 Depth=1
	s_or_b32 exec_lo, exec_lo, s34
.LBB79_17:                              ;   in Loop: Header=BB79_3 Depth=1
	s_delay_alu instid0(SALU_CYCLE_1)
	s_or_b32 exec_lo, exec_lo, s31
	v_add_co_u32 v14, vcc_lo, v6, 1
	v_add_co_ci_u32_e32 v15, vcc_lo, 0, v7, vcc_lo
	v_cmp_le_i64_e32 vcc_lo, s[4:5], v[6:7]
	s_waitcnt vmcnt(0)
	v_cndmask_b32_e32 v9, 0, v3, vcc_lo
	s_delay_alu instid0(VALU_DEP_3)
	v_cmp_le_i64_e32 vcc_lo, s[4:5], v[14:15]
	v_cndmask_b32_e32 v8, 0, v10, vcc_lo
.LBB79_18:                              ;   in Loop: Header=BB79_3 Depth=1
	s_or_b32 exec_lo, exec_lo, s0
	s_delay_alu instid0(SALU_CYCLE_1)
	s_mov_b32 s0, exec_lo
	v_cmpx_gt_i64_e64 s[10:11], v[4:5]
	s_cbranch_execz .LBB79_2
; %bb.19:                               ;   in Loop: Header=BB79_3 Depth=1
	v_lshlrev_b64 v[6:7], 2, v[12:13]
	v_add_co_u32 v10, vcc_lo, v4, 1
	v_add_co_ci_u32_e32 v11, vcc_lo, 0, v5, vcc_lo
	s_mov_b32 s31, exec_lo
	s_delay_alu instid0(VALU_DEP_3) | instskip(NEXT) | instid1(VALU_DEP_4)
	v_add_co_u32 v3, vcc_lo, s22, v6
	v_add_co_ci_u32_e32 v4, vcc_lo, s23, v7, vcc_lo
	global_store_b32 v[3:4], v9, off
	v_cmpx_gt_i64_e64 s[10:11], v[10:11]
	s_xor_b32 s31, exec_lo, s31
	s_cbranch_execz .LBB79_2
; %bb.20:                               ;   in Loop: Header=BB79_3 Depth=1
	s_lshl_b64 s[34:35], s[18:19], 2
	s_delay_alu instid0(SALU_CYCLE_1)
	v_add_co_u32 v3, vcc_lo, v3, s34
	v_add_co_ci_u32_e32 v4, vcc_lo, s35, v4, vcc_lo
	global_store_b32 v[3:4], v8, off
	s_branch .LBB79_2
.LBB79_21:                              ;   in Loop: Header=BB79_22 Depth=2
	s_or_b32 exec_lo, exec_lo, s0
	s_delay_alu instid0(VALU_DEP_1) | instskip(NEXT) | instid1(VALU_DEP_2)
	v_mul_lo_u32 v3, v15, s40
	v_mul_lo_u32 v16, v14, s41
	s_load_b64 s[42:43], s[36:37], 0xc8
	v_mad_u64_u32 v[12:13], null, v14, s40, 0
	s_load_b64 s[40:41], s[38:39], 0x0
	s_add_u32 s38, s38, -8
	s_addc_u32 s39, s39, -1
	s_add_u32 s36, s36, -8
	s_addc_u32 s37, s37, -1
	s_add_u32 s34, s34, -1
	s_delay_alu instid0(VALU_DEP_1) | instskip(SKIP_2) | instid1(VALU_DEP_2)
	v_add3_u32 v3, v13, v16, v3
	v_sub_co_u32 v6, vcc_lo, v6, v12
	s_addc_u32 s35, s35, -1
	v_sub_co_ci_u32_e32 v3, vcc_lo, v7, v3, vcc_lo
	v_cmp_lt_i64_e64 s0, s[34:35], 1
	s_waitcnt lgkmcnt(0)
	s_delay_alu instid0(VALU_DEP_2)
	v_mul_lo_u32 v7, s42, v3
	v_mul_lo_u32 v21, s43, v6
	v_mad_u64_u32 v[16:17], null, s42, v6, v[10:11]
	v_mul_lo_u32 v3, s40, v3
	v_mul_lo_u32 v10, s41, v6
	v_mad_u64_u32 v[12:13], null, s40, v6, v[8:9]
	s_and_b32 vcc_lo, exec_lo, s0
	s_delay_alu instid0(VALU_DEP_4) | instskip(SKIP_1) | instid1(VALU_DEP_3)
	v_add3_u32 v17, v21, v17, v7
	v_dual_mov_b32 v6, v14 :: v_dual_mov_b32 v7, v15
	v_add3_u32 v13, v10, v13, v3
	s_delay_alu instid0(VALU_DEP_4) | instskip(NEXT) | instid1(VALU_DEP_4)
	v_mov_b32_e32 v8, v12
	v_dual_mov_b32 v10, v16 :: v_dual_mov_b32 v11, v17
	s_delay_alu instid0(VALU_DEP_3)
	v_mov_b32_e32 v9, v13
	s_cbranch_vccnz .LBB79_12
.LBB79_22:                              ;   Parent Loop BB79_3 Depth=1
                                        ; =>  This Inner Loop Header: Depth=2
	s_load_b64 s[40:41], s[36:37], 0x0
                                        ; implicit-def: $vgpr14_vgpr15
	s_mov_b32 s0, exec_lo
	s_waitcnt lgkmcnt(0)
	v_or_b32_e32 v3, s41, v7
	s_delay_alu instid0(VALU_DEP_1)
	v_cmpx_ne_u64_e32 0, v[2:3]
	s_xor_b32 s31, exec_lo, s0
	s_cbranch_execz .LBB79_24
; %bb.23:                               ;   in Loop: Header=BB79_22 Depth=2
	s_ashr_i32 s42, s41, 31
	s_delay_alu instid0(SALU_CYCLE_1) | instskip(SKIP_2) | instid1(SALU_CYCLE_1)
	s_add_u32 s44, s40, s42
	s_mov_b32 s43, s42
	s_addc_u32 s45, s41, s42
	s_xor_b64 s[44:45], s[44:45], s[42:43]
	s_delay_alu instid0(SALU_CYCLE_1) | instskip(SKIP_3) | instid1(VALU_DEP_1)
	v_cvt_f32_u32_e32 v3, s44
	v_cvt_f32_u32_e32 v12, s45
	s_sub_u32 s0, 0, s44
	s_subb_u32 s43, 0, s45
	v_fmac_f32_e32 v3, 0x4f800000, v12
	s_delay_alu instid0(VALU_DEP_1) | instskip(SKIP_2) | instid1(VALU_DEP_1)
	v_rcp_f32_e32 v3, v3
	s_waitcnt_depctr 0xfff
	v_mul_f32_e32 v3, 0x5f7ffffc, v3
	v_mul_f32_e32 v12, 0x2f800000, v3
	s_delay_alu instid0(VALU_DEP_1) | instskip(NEXT) | instid1(VALU_DEP_1)
	v_trunc_f32_e32 v12, v12
	v_fmac_f32_e32 v3, 0xcf800000, v12
	v_cvt_u32_f32_e32 v12, v12
	s_delay_alu instid0(VALU_DEP_2) | instskip(NEXT) | instid1(VALU_DEP_2)
	v_cvt_u32_f32_e32 v3, v3
	v_mul_lo_u32 v13, s0, v12
	s_delay_alu instid0(VALU_DEP_2) | instskip(SKIP_1) | instid1(VALU_DEP_2)
	v_mul_hi_u32 v14, s0, v3
	v_mul_lo_u32 v15, s43, v3
	v_add_nc_u32_e32 v13, v14, v13
	v_mul_lo_u32 v14, s0, v3
	s_delay_alu instid0(VALU_DEP_2) | instskip(NEXT) | instid1(VALU_DEP_2)
	v_add_nc_u32_e32 v13, v13, v15
	v_mul_hi_u32 v15, v3, v14
	s_delay_alu instid0(VALU_DEP_2)
	v_mul_lo_u32 v16, v3, v13
	v_mul_hi_u32 v17, v3, v13
	v_mul_hi_u32 v21, v12, v14
	v_mul_lo_u32 v14, v12, v14
	v_mul_hi_u32 v22, v12, v13
	v_mul_lo_u32 v13, v12, v13
	v_add_co_u32 v15, vcc_lo, v15, v16
	v_add_co_ci_u32_e32 v16, vcc_lo, 0, v17, vcc_lo
	s_delay_alu instid0(VALU_DEP_2) | instskip(NEXT) | instid1(VALU_DEP_2)
	v_add_co_u32 v14, vcc_lo, v15, v14
	v_add_co_ci_u32_e32 v14, vcc_lo, v16, v21, vcc_lo
	v_add_co_ci_u32_e32 v15, vcc_lo, 0, v22, vcc_lo
	v_ashrrev_i32_e32 v21, 31, v7
	s_delay_alu instid0(VALU_DEP_3) | instskip(NEXT) | instid1(VALU_DEP_3)
	v_add_co_u32 v13, vcc_lo, v14, v13
	v_add_co_ci_u32_e32 v14, vcc_lo, 0, v15, vcc_lo
	s_delay_alu instid0(VALU_DEP_2) | instskip(NEXT) | instid1(VALU_DEP_2)
	v_add_co_u32 v3, vcc_lo, v3, v13
	v_add_co_ci_u32_e32 v12, vcc_lo, v12, v14, vcc_lo
	s_delay_alu instid0(VALU_DEP_2) | instskip(SKIP_1) | instid1(VALU_DEP_3)
	v_mul_hi_u32 v13, s0, v3
	v_mul_lo_u32 v15, s43, v3
	v_mul_lo_u32 v14, s0, v12
	s_delay_alu instid0(VALU_DEP_1) | instskip(SKIP_1) | instid1(VALU_DEP_2)
	v_add_nc_u32_e32 v13, v13, v14
	v_mul_lo_u32 v14, s0, v3
	v_add_nc_u32_e32 v13, v13, v15
	s_delay_alu instid0(VALU_DEP_2) | instskip(NEXT) | instid1(VALU_DEP_2)
	v_mul_hi_u32 v15, v3, v14
	v_mul_lo_u32 v16, v3, v13
	v_mul_hi_u32 v17, v3, v13
	v_mul_hi_u32 v22, v12, v14
	v_mul_lo_u32 v14, v12, v14
	v_mul_hi_u32 v23, v12, v13
	v_mul_lo_u32 v13, v12, v13
	v_add_co_u32 v15, vcc_lo, v15, v16
	v_add_co_ci_u32_e32 v16, vcc_lo, 0, v17, vcc_lo
	s_delay_alu instid0(VALU_DEP_2) | instskip(NEXT) | instid1(VALU_DEP_2)
	v_add_co_u32 v14, vcc_lo, v15, v14
	v_add_co_ci_u32_e32 v14, vcc_lo, v16, v22, vcc_lo
	v_add_co_ci_u32_e32 v15, vcc_lo, 0, v23, vcc_lo
	v_add_co_u32 v16, vcc_lo, v6, v21
	v_add_co_ci_u32_e32 v17, vcc_lo, v7, v21, vcc_lo
	s_delay_alu instid0(VALU_DEP_4) | instskip(NEXT) | instid1(VALU_DEP_4)
	v_add_co_u32 v13, vcc_lo, v14, v13
	v_add_co_ci_u32_e32 v14, vcc_lo, 0, v15, vcc_lo
	s_delay_alu instid0(VALU_DEP_4) | instskip(NEXT) | instid1(VALU_DEP_3)
	v_xor_b32_e32 v22, v16, v21
	v_add_co_u32 v3, vcc_lo, v3, v13
	s_delay_alu instid0(VALU_DEP_3) | instskip(SKIP_1) | instid1(VALU_DEP_3)
	v_add_co_ci_u32_e32 v23, vcc_lo, v12, v14, vcc_lo
	v_xor_b32_e32 v24, v17, v21
	v_mul_hi_u32 v25, v22, v3
	s_delay_alu instid0(VALU_DEP_3) | instskip(NEXT) | instid1(VALU_DEP_3)
	v_mad_u64_u32 v[12:13], null, v22, v23, 0
	v_mad_u64_u32 v[14:15], null, v24, v3, 0
	;; [unrolled: 1-line block ×3, first 2 shown]
	s_delay_alu instid0(VALU_DEP_3) | instskip(NEXT) | instid1(VALU_DEP_4)
	v_add_co_u32 v3, vcc_lo, v25, v12
	v_add_co_ci_u32_e32 v12, vcc_lo, 0, v13, vcc_lo
	s_delay_alu instid0(VALU_DEP_2) | instskip(NEXT) | instid1(VALU_DEP_2)
	v_add_co_u32 v3, vcc_lo, v3, v14
	v_add_co_ci_u32_e32 v3, vcc_lo, v12, v15, vcc_lo
	v_add_co_ci_u32_e32 v12, vcc_lo, 0, v17, vcc_lo
	s_delay_alu instid0(VALU_DEP_2) | instskip(NEXT) | instid1(VALU_DEP_2)
	v_add_co_u32 v3, vcc_lo, v3, v16
	v_add_co_ci_u32_e32 v14, vcc_lo, 0, v12, vcc_lo
	s_delay_alu instid0(VALU_DEP_2) | instskip(SKIP_1) | instid1(VALU_DEP_3)
	v_mul_lo_u32 v15, s45, v3
	v_mad_u64_u32 v[12:13], null, s44, v3, 0
	v_mul_lo_u32 v16, s44, v14
	s_delay_alu instid0(VALU_DEP_2) | instskip(NEXT) | instid1(VALU_DEP_2)
	v_sub_co_u32 v12, vcc_lo, v22, v12
	v_add3_u32 v13, v13, v16, v15
	s_delay_alu instid0(VALU_DEP_1) | instskip(NEXT) | instid1(VALU_DEP_1)
	v_sub_nc_u32_e32 v15, v24, v13
	v_subrev_co_ci_u32_e64 v15, s0, s45, v15, vcc_lo
	v_add_co_u32 v16, s0, v3, 2
	s_delay_alu instid0(VALU_DEP_1) | instskip(SKIP_3) | instid1(VALU_DEP_3)
	v_add_co_ci_u32_e64 v17, s0, 0, v14, s0
	v_sub_co_u32 v22, s0, v12, s44
	v_sub_co_ci_u32_e32 v13, vcc_lo, v24, v13, vcc_lo
	v_subrev_co_ci_u32_e64 v15, s0, 0, v15, s0
	v_cmp_le_u32_e32 vcc_lo, s44, v22
	s_delay_alu instid0(VALU_DEP_3) | instskip(SKIP_1) | instid1(VALU_DEP_4)
	v_cmp_eq_u32_e64 s0, s45, v13
	v_cndmask_b32_e64 v22, 0, -1, vcc_lo
	v_cmp_le_u32_e32 vcc_lo, s45, v15
	v_cndmask_b32_e64 v23, 0, -1, vcc_lo
	v_cmp_le_u32_e32 vcc_lo, s44, v12
	v_cndmask_b32_e64 v12, 0, -1, vcc_lo
	v_cmp_le_u32_e32 vcc_lo, s45, v13
	v_cndmask_b32_e64 v24, 0, -1, vcc_lo
	v_cmp_eq_u32_e32 vcc_lo, s45, v15
	s_delay_alu instid0(VALU_DEP_2) | instskip(SKIP_3) | instid1(VALU_DEP_3)
	v_cndmask_b32_e64 v12, v24, v12, s0
	v_cndmask_b32_e32 v15, v23, v22, vcc_lo
	v_add_co_u32 v22, vcc_lo, v3, 1
	v_add_co_ci_u32_e32 v23, vcc_lo, 0, v14, vcc_lo
	v_cmp_ne_u32_e32 vcc_lo, 0, v15
	s_delay_alu instid0(VALU_DEP_2) | instskip(NEXT) | instid1(VALU_DEP_4)
	v_cndmask_b32_e32 v13, v23, v17, vcc_lo
	v_cndmask_b32_e32 v15, v22, v16, vcc_lo
	v_cmp_ne_u32_e32 vcc_lo, 0, v12
	v_xor_b32_e32 v12, s42, v21
	s_delay_alu instid0(VALU_DEP_3) | instskip(SKIP_1) | instid1(VALU_DEP_2)
	v_cndmask_b32_e32 v3, v3, v15, vcc_lo
	v_cndmask_b32_e32 v13, v14, v13, vcc_lo
	v_xor_b32_e32 v3, v3, v12
	s_delay_alu instid0(VALU_DEP_2) | instskip(NEXT) | instid1(VALU_DEP_2)
	v_xor_b32_e32 v13, v13, v12
	v_sub_co_u32 v14, vcc_lo, v3, v12
	s_delay_alu instid0(VALU_DEP_2)
	v_sub_co_ci_u32_e32 v15, vcc_lo, v13, v12, vcc_lo
.LBB79_24:                              ;   in Loop: Header=BB79_22 Depth=2
	s_and_not1_saveexec_b32 s0, s31
	s_cbranch_execz .LBB79_21
; %bb.25:                               ;   in Loop: Header=BB79_22 Depth=2
	v_cvt_f32_u32_e32 v3, s40
	s_sub_i32 s31, 0, s40
	v_mov_b32_e32 v15, v2
	s_delay_alu instid0(VALU_DEP_2) | instskip(SKIP_2) | instid1(VALU_DEP_1)
	v_rcp_iflag_f32_e32 v3, v3
	s_waitcnt_depctr 0xfff
	v_mul_f32_e32 v3, 0x4f7ffffe, v3
	v_cvt_u32_f32_e32 v3, v3
	s_delay_alu instid0(VALU_DEP_1) | instskip(NEXT) | instid1(VALU_DEP_1)
	v_mul_lo_u32 v12, s31, v3
	v_mul_hi_u32 v12, v3, v12
	s_delay_alu instid0(VALU_DEP_1) | instskip(NEXT) | instid1(VALU_DEP_1)
	v_add_nc_u32_e32 v3, v3, v12
	v_mul_hi_u32 v3, v6, v3
	s_delay_alu instid0(VALU_DEP_1) | instskip(SKIP_1) | instid1(VALU_DEP_2)
	v_mul_lo_u32 v12, v3, s40
	v_add_nc_u32_e32 v13, 1, v3
	v_sub_nc_u32_e32 v12, v6, v12
	s_delay_alu instid0(VALU_DEP_1) | instskip(SKIP_1) | instid1(VALU_DEP_2)
	v_subrev_nc_u32_e32 v14, s40, v12
	v_cmp_le_u32_e32 vcc_lo, s40, v12
	v_dual_cndmask_b32 v12, v12, v14 :: v_dual_cndmask_b32 v3, v3, v13
	s_delay_alu instid0(VALU_DEP_1) | instskip(NEXT) | instid1(VALU_DEP_2)
	v_cmp_le_u32_e32 vcc_lo, s40, v12
	v_add_nc_u32_e32 v13, 1, v3
	s_delay_alu instid0(VALU_DEP_1)
	v_cndmask_b32_e32 v14, v3, v13, vcc_lo
	s_branch .LBB79_21
.LBB79_26:
	s_nop 0
	s_sendmsg sendmsg(MSG_DEALLOC_VGPRS)
	s_endpgm
	.section	.rodata,"a",@progbits
	.p2align	6, 0x0
	.amdhsa_kernel _ZN2at6native16triu_tril_kernelIflLb1ELi2ELb0EEEvNS_4cuda6detail10TensorInfoIT_T0_EENS4_IKS5_S6_EEllS6_
		.amdhsa_group_segment_fixed_size 0
		.amdhsa_private_segment_fixed_size 0
		.amdhsa_kernarg_size 1112
		.amdhsa_user_sgpr_count 15
		.amdhsa_user_sgpr_dispatch_ptr 0
		.amdhsa_user_sgpr_queue_ptr 0
		.amdhsa_user_sgpr_kernarg_segment_ptr 1
		.amdhsa_user_sgpr_dispatch_id 0
		.amdhsa_user_sgpr_private_segment_size 0
		.amdhsa_wavefront_size32 1
		.amdhsa_uses_dynamic_stack 0
		.amdhsa_enable_private_segment 0
		.amdhsa_system_sgpr_workgroup_id_x 1
		.amdhsa_system_sgpr_workgroup_id_y 0
		.amdhsa_system_sgpr_workgroup_id_z 0
		.amdhsa_system_sgpr_workgroup_info 0
		.amdhsa_system_vgpr_workitem_id 0
		.amdhsa_next_free_vgpr 26
		.amdhsa_next_free_sgpr 47
		.amdhsa_reserve_vcc 1
		.amdhsa_float_round_mode_32 0
		.amdhsa_float_round_mode_16_64 0
		.amdhsa_float_denorm_mode_32 3
		.amdhsa_float_denorm_mode_16_64 3
		.amdhsa_dx10_clamp 1
		.amdhsa_ieee_mode 1
		.amdhsa_fp16_overflow 0
		.amdhsa_workgroup_processor_mode 1
		.amdhsa_memory_ordered 1
		.amdhsa_forward_progress 0
		.amdhsa_shared_vgpr_count 0
		.amdhsa_exception_fp_ieee_invalid_op 0
		.amdhsa_exception_fp_denorm_src 0
		.amdhsa_exception_fp_ieee_div_zero 0
		.amdhsa_exception_fp_ieee_overflow 0
		.amdhsa_exception_fp_ieee_underflow 0
		.amdhsa_exception_fp_ieee_inexact 0
		.amdhsa_exception_int_div_zero 0
	.end_amdhsa_kernel
	.section	.text._ZN2at6native16triu_tril_kernelIflLb1ELi2ELb0EEEvNS_4cuda6detail10TensorInfoIT_T0_EENS4_IKS5_S6_EEllS6_,"axG",@progbits,_ZN2at6native16triu_tril_kernelIflLb1ELi2ELb0EEEvNS_4cuda6detail10TensorInfoIT_T0_EENS4_IKS5_S6_EEllS6_,comdat
.Lfunc_end79:
	.size	_ZN2at6native16triu_tril_kernelIflLb1ELi2ELb0EEEvNS_4cuda6detail10TensorInfoIT_T0_EENS4_IKS5_S6_EEllS6_, .Lfunc_end79-_ZN2at6native16triu_tril_kernelIflLb1ELi2ELb0EEEvNS_4cuda6detail10TensorInfoIT_T0_EENS4_IKS5_S6_EEllS6_
                                        ; -- End function
	.section	.AMDGPU.csdata,"",@progbits
; Kernel info:
; codeLenInByte = 4176
; NumSgprs: 49
; NumVgprs: 26
; ScratchSize: 0
; MemoryBound: 0
; FloatMode: 240
; IeeeMode: 1
; LDSByteSize: 0 bytes/workgroup (compile time only)
; SGPRBlocks: 6
; VGPRBlocks: 3
; NumSGPRsForWavesPerEU: 49
; NumVGPRsForWavesPerEU: 26
; Occupancy: 16
; WaveLimiterHint : 0
; COMPUTE_PGM_RSRC2:SCRATCH_EN: 0
; COMPUTE_PGM_RSRC2:USER_SGPR: 15
; COMPUTE_PGM_RSRC2:TRAP_HANDLER: 0
; COMPUTE_PGM_RSRC2:TGID_X_EN: 1
; COMPUTE_PGM_RSRC2:TGID_Y_EN: 0
; COMPUTE_PGM_RSRC2:TGID_Z_EN: 0
; COMPUTE_PGM_RSRC2:TIDIG_COMP_CNT: 0
	.section	.text._ZN2at6native16triu_tril_kernelIN3c107complexIdEEiLb1ELi1ELb1EEEvNS_4cuda6detail10TensorInfoIT_T0_EENS7_IKS8_S9_EEllS9_,"axG",@progbits,_ZN2at6native16triu_tril_kernelIN3c107complexIdEEiLb1ELi1ELb1EEEvNS_4cuda6detail10TensorInfoIT_T0_EENS7_IKS8_S9_EEllS9_,comdat
	.protected	_ZN2at6native16triu_tril_kernelIN3c107complexIdEEiLb1ELi1ELb1EEEvNS_4cuda6detail10TensorInfoIT_T0_EENS7_IKS8_S9_EEllS9_ ; -- Begin function _ZN2at6native16triu_tril_kernelIN3c107complexIdEEiLb1ELi1ELb1EEEvNS_4cuda6detail10TensorInfoIT_T0_EENS7_IKS8_S9_EEllS9_
	.globl	_ZN2at6native16triu_tril_kernelIN3c107complexIdEEiLb1ELi1ELb1EEEvNS_4cuda6detail10TensorInfoIT_T0_EENS7_IKS8_S9_EEllS9_
	.p2align	8
	.type	_ZN2at6native16triu_tril_kernelIN3c107complexIdEEiLb1ELi1ELb1EEEvNS_4cuda6detail10TensorInfoIT_T0_EENS7_IKS8_S9_EEllS9_,@function
_ZN2at6native16triu_tril_kernelIN3c107complexIdEEiLb1ELi1ELb1EEEvNS_4cuda6detail10TensorInfoIT_T0_EENS7_IKS8_S9_EEllS9_: ; @_ZN2at6native16triu_tril_kernelIN3c107complexIdEEiLb1ELi1ELb1EEEvNS_4cuda6detail10TensorInfoIT_T0_EENS7_IKS8_S9_EEllS9_
; %bb.0:
	s_clause 0x1
	s_load_b32 s2, s[0:1], 0x1d4
	s_load_b128 s[4:7], s[0:1], 0x1b0
	v_mov_b32_e32 v2, 0
	s_add_u32 s16, s0, 0x1c8
	s_addc_u32 s17, s1, 0
	s_delay_alu instid0(VALU_DEP_1) | instskip(SKIP_3) | instid1(VALU_DEP_1)
	v_mov_b32_e32 v1, v2
	s_waitcnt lgkmcnt(0)
	s_and_b32 s14, s2, 0xffff
	s_mov_b32 s2, exec_lo
	v_mad_u64_u32 v[6:7], null, s14, s15, v[0:1]
	s_delay_alu instid0(VALU_DEP_1)
	v_cmpx_gt_i64_e64 s[6:7], v[6:7]
	s_cbranch_execz .LBB80_60
; %bb.1:
	s_clause 0x2
	s_load_b32 s24, s[0:1], 0x1c0
	s_load_b32 s18, s[0:1], 0x1a8
	s_load_b64 s[2:3], s[0:1], 0x0
	s_mov_b32 s38, 0
	s_waitcnt lgkmcnt(0)
	s_ashr_i32 s25, s24, 31
	s_ashr_i32 s19, s18, 31
	s_add_u32 s26, s0, 0xe0
	s_addc_u32 s27, s1, 0
	s_lshl_b64 s[8:9], s[18:19], 2
	v_cvt_f32_u32_e32 v0, s24
	s_add_u32 s12, s8, -8
	s_addc_u32 s13, s9, -1
	s_add_u32 s10, s26, s12
	s_addc_u32 s11, s27, s13
	v_rcp_iflag_f32_e32 v0, v0
	s_load_b32 s28, s[10:11], 0x0
	v_cmp_gt_i64_e64 s36, s[18:19], 2
	s_waitcnt_depctr 0xfff
	v_mul_f32_e32 v0, 0x4f7ffffe, v0
	s_delay_alu instid0(VALU_DEP_1)
	v_cvt_u32_f32_e32 v0, v0
	s_waitcnt lgkmcnt(0)
	s_ashr_i32 s29, s28, 31
	s_add_u32 s15, s8, -4
	s_addc_u32 s20, s9, -1
	s_add_u32 s30, s0, 0x6c
	s_addc_u32 s1, s1, 0
	s_add_u32 s8, s30, s15
	s_addc_u32 s9, s1, s20
	;; [unrolled: 2-line block ×3, first 2 shown]
	s_add_i32 s31, s18, -3
	s_add_u32 s12, s26, s15
	s_addc_u32 s13, s27, s20
	s_add_i32 s0, s18, 6
	s_delay_alu instid0(SALU_CYCLE_1)
	s_and_b32 s33, s0, 7
	s_load_b32 s0, s[16:17], 0x0
	s_cmp_lg_u32 s33, 0
	s_cselect_b32 s34, -1, 0
	s_cmp_gt_u32 s31, 6
	s_cselect_b32 s35, -1, 0
	s_sub_i32 s15, 0, s24
	s_delay_alu instid0(SALU_CYCLE_1) | instskip(SKIP_1) | instid1(VALU_DEP_1)
	v_mul_lo_u32 v1, s15, v0
	s_mov_b32 s15, 0
	v_mul_hi_u32 v1, v0, v1
	s_waitcnt lgkmcnt(0)
	s_mul_i32 s37, s0, s14
	s_delay_alu instid0(VALU_DEP_1)
	v_add_nc_u32_e32 v24, v0, v1
	s_branch .LBB80_3
.LBB80_2:                               ;   in Loop: Header=BB80_3 Depth=1
	s_or_b32 exec_lo, exec_lo, s39
	v_add_co_u32 v6, vcc_lo, v6, s37
	v_add_co_ci_u32_e32 v7, vcc_lo, 0, v7, vcc_lo
	s_delay_alu instid0(VALU_DEP_1) | instskip(SKIP_1) | instid1(SALU_CYCLE_1)
	v_cmp_le_i64_e32 vcc_lo, s[6:7], v[6:7]
	s_or_b32 s38, vcc_lo, s38
	s_and_not1_b32 exec_lo, exec_lo, s38
	s_cbranch_execz .LBB80_60
.LBB80_3:                               ; =>This Loop Header: Depth=1
                                        ;     Child Loop BB80_15 Depth 2
                                        ;     Child Loop BB80_24 Depth 2
	v_or_b32_e32 v3, s25, v7
                                        ; implicit-def: $vgpr0_vgpr1
	s_mov_b32 s0, exec_lo
	s_delay_alu instid0(VALU_DEP_1)
	v_cmpx_ne_u64_e32 0, v[2:3]
	s_xor_b32 s14, exec_lo, s0
	s_cbranch_execz .LBB80_5
; %bb.4:                                ;   in Loop: Header=BB80_3 Depth=1
	s_add_u32 s18, s24, s25
	s_mov_b32 s16, s25
	s_mov_b32 s17, s25
	s_addc_u32 s19, s25, s25
	s_delay_alu instid0(SALU_CYCLE_1) | instskip(NEXT) | instid1(SALU_CYCLE_1)
	s_xor_b64 s[18:19], s[18:19], s[16:17]
	v_cvt_f32_u32_e32 v0, s18
	v_cvt_f32_u32_e32 v1, s19
	s_sub_u32 s0, 0, s18
	s_subb_u32 s20, 0, s19
	s_delay_alu instid0(VALU_DEP_1) | instskip(NEXT) | instid1(VALU_DEP_1)
	v_fmac_f32_e32 v0, 0x4f800000, v1
	v_rcp_f32_e32 v0, v0
	s_waitcnt_depctr 0xfff
	v_mul_f32_e32 v0, 0x5f7ffffc, v0
	s_delay_alu instid0(VALU_DEP_1) | instskip(NEXT) | instid1(VALU_DEP_1)
	v_mul_f32_e32 v1, 0x2f800000, v0
	v_trunc_f32_e32 v1, v1
	s_delay_alu instid0(VALU_DEP_1) | instskip(SKIP_1) | instid1(VALU_DEP_2)
	v_fmac_f32_e32 v0, 0xcf800000, v1
	v_cvt_u32_f32_e32 v1, v1
	v_cvt_u32_f32_e32 v0, v0
	s_delay_alu instid0(VALU_DEP_2) | instskip(NEXT) | instid1(VALU_DEP_2)
	v_mul_lo_u32 v3, s0, v1
	v_mul_hi_u32 v4, s0, v0
	v_mul_lo_u32 v5, s20, v0
	s_delay_alu instid0(VALU_DEP_2) | instskip(SKIP_1) | instid1(VALU_DEP_2)
	v_add_nc_u32_e32 v3, v4, v3
	v_mul_lo_u32 v4, s0, v0
	v_add_nc_u32_e32 v3, v3, v5
	s_delay_alu instid0(VALU_DEP_2) | instskip(NEXT) | instid1(VALU_DEP_2)
	v_mul_hi_u32 v5, v0, v4
	v_mul_lo_u32 v8, v0, v3
	v_mul_hi_u32 v9, v0, v3
	v_mul_hi_u32 v10, v1, v4
	v_mul_lo_u32 v4, v1, v4
	v_mul_hi_u32 v11, v1, v3
	v_mul_lo_u32 v3, v1, v3
	v_add_co_u32 v5, vcc_lo, v5, v8
	v_add_co_ci_u32_e32 v8, vcc_lo, 0, v9, vcc_lo
	s_delay_alu instid0(VALU_DEP_2) | instskip(NEXT) | instid1(VALU_DEP_2)
	v_add_co_u32 v4, vcc_lo, v5, v4
	v_add_co_ci_u32_e32 v4, vcc_lo, v8, v10, vcc_lo
	v_add_co_ci_u32_e32 v5, vcc_lo, 0, v11, vcc_lo
	v_ashrrev_i32_e32 v10, 31, v7
	s_delay_alu instid0(VALU_DEP_3) | instskip(NEXT) | instid1(VALU_DEP_3)
	v_add_co_u32 v3, vcc_lo, v4, v3
	v_add_co_ci_u32_e32 v4, vcc_lo, 0, v5, vcc_lo
	s_delay_alu instid0(VALU_DEP_2) | instskip(NEXT) | instid1(VALU_DEP_2)
	v_add_co_u32 v0, vcc_lo, v0, v3
	v_add_co_ci_u32_e32 v1, vcc_lo, v1, v4, vcc_lo
	s_delay_alu instid0(VALU_DEP_2) | instskip(SKIP_1) | instid1(VALU_DEP_3)
	v_mul_hi_u32 v3, s0, v0
	v_mul_lo_u32 v5, s20, v0
	v_mul_lo_u32 v4, s0, v1
	s_delay_alu instid0(VALU_DEP_1) | instskip(SKIP_1) | instid1(VALU_DEP_2)
	v_add_nc_u32_e32 v3, v3, v4
	v_mul_lo_u32 v4, s0, v0
	v_add_nc_u32_e32 v3, v3, v5
	s_delay_alu instid0(VALU_DEP_2) | instskip(NEXT) | instid1(VALU_DEP_2)
	v_mul_hi_u32 v5, v0, v4
	v_mul_lo_u32 v8, v0, v3
	v_mul_hi_u32 v9, v0, v3
	v_mul_hi_u32 v11, v1, v4
	v_mul_lo_u32 v4, v1, v4
	v_mul_hi_u32 v12, v1, v3
	v_mul_lo_u32 v3, v1, v3
	v_add_co_u32 v5, vcc_lo, v5, v8
	v_add_co_ci_u32_e32 v8, vcc_lo, 0, v9, vcc_lo
	s_delay_alu instid0(VALU_DEP_2) | instskip(NEXT) | instid1(VALU_DEP_2)
	v_add_co_u32 v4, vcc_lo, v5, v4
	v_add_co_ci_u32_e32 v4, vcc_lo, v8, v11, vcc_lo
	v_add_co_ci_u32_e32 v5, vcc_lo, 0, v12, vcc_lo
	v_add_co_u32 v8, vcc_lo, v6, v10
	v_add_co_ci_u32_e32 v9, vcc_lo, v7, v10, vcc_lo
	s_delay_alu instid0(VALU_DEP_4) | instskip(NEXT) | instid1(VALU_DEP_4)
	v_add_co_u32 v3, vcc_lo, v4, v3
	v_add_co_ci_u32_e32 v4, vcc_lo, 0, v5, vcc_lo
	s_delay_alu instid0(VALU_DEP_4) | instskip(NEXT) | instid1(VALU_DEP_3)
	v_xor_b32_e32 v5, v8, v10
	v_add_co_u32 v8, vcc_lo, v0, v3
	s_delay_alu instid0(VALU_DEP_3) | instskip(SKIP_1) | instid1(VALU_DEP_3)
	v_add_co_ci_u32_e32 v11, vcc_lo, v1, v4, vcc_lo
	v_xor_b32_e32 v12, v9, v10
	v_mul_hi_u32 v13, v5, v8
	s_delay_alu instid0(VALU_DEP_3) | instskip(NEXT) | instid1(VALU_DEP_3)
	v_mad_u64_u32 v[0:1], null, v5, v11, 0
	v_mad_u64_u32 v[3:4], null, v12, v8, 0
	;; [unrolled: 1-line block ×3, first 2 shown]
	s_delay_alu instid0(VALU_DEP_3) | instskip(NEXT) | instid1(VALU_DEP_4)
	v_add_co_u32 v0, vcc_lo, v13, v0
	v_add_co_ci_u32_e32 v1, vcc_lo, 0, v1, vcc_lo
	s_delay_alu instid0(VALU_DEP_2) | instskip(NEXT) | instid1(VALU_DEP_2)
	v_add_co_u32 v0, vcc_lo, v0, v3
	v_add_co_ci_u32_e32 v0, vcc_lo, v1, v4, vcc_lo
	v_add_co_ci_u32_e32 v1, vcc_lo, 0, v9, vcc_lo
	s_delay_alu instid0(VALU_DEP_2) | instskip(NEXT) | instid1(VALU_DEP_2)
	v_add_co_u32 v3, vcc_lo, v0, v8
	v_add_co_ci_u32_e32 v4, vcc_lo, 0, v1, vcc_lo
	s_delay_alu instid0(VALU_DEP_2) | instskip(SKIP_1) | instid1(VALU_DEP_3)
	v_mul_lo_u32 v8, s19, v3
	v_mad_u64_u32 v[0:1], null, s18, v3, 0
	v_mul_lo_u32 v9, s18, v4
	s_delay_alu instid0(VALU_DEP_2) | instskip(NEXT) | instid1(VALU_DEP_2)
	v_sub_co_u32 v0, vcc_lo, v5, v0
	v_add3_u32 v1, v1, v9, v8
	s_delay_alu instid0(VALU_DEP_1) | instskip(NEXT) | instid1(VALU_DEP_1)
	v_sub_nc_u32_e32 v8, v12, v1
	v_subrev_co_ci_u32_e64 v5, s0, s19, v8, vcc_lo
	v_add_co_u32 v8, s0, v3, 2
	s_delay_alu instid0(VALU_DEP_1) | instskip(SKIP_3) | instid1(VALU_DEP_3)
	v_add_co_ci_u32_e64 v9, s0, 0, v4, s0
	v_sub_co_u32 v11, s0, v0, s18
	v_sub_co_ci_u32_e32 v1, vcc_lo, v12, v1, vcc_lo
	v_subrev_co_ci_u32_e64 v5, s0, 0, v5, s0
	v_cmp_le_u32_e32 vcc_lo, s18, v11
	s_delay_alu instid0(VALU_DEP_3) | instskip(SKIP_1) | instid1(VALU_DEP_4)
	v_cmp_eq_u32_e64 s0, s19, v1
	v_cndmask_b32_e64 v11, 0, -1, vcc_lo
	v_cmp_le_u32_e32 vcc_lo, s19, v5
	v_cndmask_b32_e64 v12, 0, -1, vcc_lo
	v_cmp_le_u32_e32 vcc_lo, s18, v0
	v_cndmask_b32_e64 v0, 0, -1, vcc_lo
	v_cmp_le_u32_e32 vcc_lo, s19, v1
	v_cndmask_b32_e64 v13, 0, -1, vcc_lo
	v_cmp_eq_u32_e32 vcc_lo, s19, v5
	s_delay_alu instid0(VALU_DEP_2) | instskip(SKIP_3) | instid1(VALU_DEP_3)
	v_cndmask_b32_e64 v0, v13, v0, s0
	v_cndmask_b32_e32 v5, v12, v11, vcc_lo
	v_add_co_u32 v11, vcc_lo, v3, 1
	v_add_co_ci_u32_e32 v12, vcc_lo, 0, v4, vcc_lo
	v_cmp_ne_u32_e32 vcc_lo, 0, v5
	s_delay_alu instid0(VALU_DEP_2) | instskip(NEXT) | instid1(VALU_DEP_4)
	v_cndmask_b32_e32 v1, v12, v9, vcc_lo
	v_cndmask_b32_e32 v5, v11, v8, vcc_lo
	v_cmp_ne_u32_e32 vcc_lo, 0, v0
	v_xor_b32_e32 v0, s16, v10
	s_delay_alu instid0(VALU_DEP_3) | instskip(SKIP_2) | instid1(VALU_DEP_3)
	v_cndmask_b32_e32 v3, v3, v5, vcc_lo
	v_cndmask_b32_e32 v1, v4, v1, vcc_lo
	v_xor_b32_e32 v4, s17, v10
	v_xor_b32_e32 v3, v3, v0
	s_delay_alu instid0(VALU_DEP_2) | instskip(NEXT) | instid1(VALU_DEP_2)
	v_xor_b32_e32 v1, v1, v4
	v_sub_co_u32 v0, vcc_lo, v3, v0
	s_delay_alu instid0(VALU_DEP_2)
	v_sub_co_ci_u32_e32 v1, vcc_lo, v1, v4, vcc_lo
.LBB80_5:                               ;   in Loop: Header=BB80_3 Depth=1
	s_and_not1_saveexec_b32 s0, s14
; %bb.6:                                ;   in Loop: Header=BB80_3 Depth=1
	v_mul_hi_u32 v0, v6, v24
	s_delay_alu instid0(VALU_DEP_1) | instskip(SKIP_1) | instid1(VALU_DEP_2)
	v_mul_lo_u32 v1, v0, s24
	v_add_nc_u32_e32 v3, 1, v0
	v_sub_nc_u32_e32 v1, v6, v1
	s_delay_alu instid0(VALU_DEP_1) | instskip(SKIP_1) | instid1(VALU_DEP_2)
	v_subrev_nc_u32_e32 v4, s24, v1
	v_cmp_le_u32_e32 vcc_lo, s24, v1
	v_dual_cndmask_b32 v1, v1, v4 :: v_dual_cndmask_b32 v0, v0, v3
	s_delay_alu instid0(VALU_DEP_1) | instskip(NEXT) | instid1(VALU_DEP_2)
	v_cmp_le_u32_e32 vcc_lo, s24, v1
	v_add_nc_u32_e32 v3, 1, v0
	s_delay_alu instid0(VALU_DEP_1)
	v_dual_mov_b32 v1, v2 :: v_dual_cndmask_b32 v0, v0, v3
; %bb.7:                                ;   in Loop: Header=BB80_3 Depth=1
	s_or_b32 exec_lo, exec_lo, s0
	s_delay_alu instid0(VALU_DEP_1) | instskip(SKIP_1) | instid1(VALU_DEP_1)
	v_or_b32_e32 v3, s29, v1
                                        ; implicit-def: $vgpr4_vgpr5
	s_mov_b32 s0, exec_lo
	v_cmpx_ne_u64_e32 0, v[2:3]
	s_xor_b32 s14, exec_lo, s0
	s_cbranch_execz .LBB80_9
; %bb.8:                                ;   in Loop: Header=BB80_3 Depth=1
	s_add_u32 s18, s28, s29
	s_mov_b32 s16, s29
	s_mov_b32 s17, s29
	s_addc_u32 s19, s29, s29
	s_delay_alu instid0(SALU_CYCLE_1) | instskip(NEXT) | instid1(SALU_CYCLE_1)
	s_xor_b64 s[18:19], s[18:19], s[16:17]
	v_cvt_f32_u32_e32 v3, s18
	v_cvt_f32_u32_e32 v4, s19
	s_sub_u32 s0, 0, s18
	s_subb_u32 s20, 0, s19
	s_delay_alu instid0(VALU_DEP_1) | instskip(NEXT) | instid1(VALU_DEP_1)
	v_fmac_f32_e32 v3, 0x4f800000, v4
	v_rcp_f32_e32 v3, v3
	s_waitcnt_depctr 0xfff
	v_mul_f32_e32 v3, 0x5f7ffffc, v3
	s_delay_alu instid0(VALU_DEP_1) | instskip(NEXT) | instid1(VALU_DEP_1)
	v_mul_f32_e32 v4, 0x2f800000, v3
	v_trunc_f32_e32 v4, v4
	s_delay_alu instid0(VALU_DEP_1) | instskip(SKIP_1) | instid1(VALU_DEP_2)
	v_fmac_f32_e32 v3, 0xcf800000, v4
	v_cvt_u32_f32_e32 v4, v4
	v_cvt_u32_f32_e32 v3, v3
	s_delay_alu instid0(VALU_DEP_2) | instskip(NEXT) | instid1(VALU_DEP_2)
	v_mul_lo_u32 v5, s0, v4
	v_mul_hi_u32 v8, s0, v3
	v_mul_lo_u32 v9, s20, v3
	s_delay_alu instid0(VALU_DEP_2) | instskip(SKIP_1) | instid1(VALU_DEP_2)
	v_add_nc_u32_e32 v5, v8, v5
	v_mul_lo_u32 v8, s0, v3
	v_add_nc_u32_e32 v5, v5, v9
	s_delay_alu instid0(VALU_DEP_2) | instskip(NEXT) | instid1(VALU_DEP_2)
	v_mul_hi_u32 v9, v3, v8
	v_mul_lo_u32 v10, v3, v5
	v_mul_hi_u32 v11, v3, v5
	v_mul_hi_u32 v12, v4, v8
	v_mul_lo_u32 v8, v4, v8
	v_mul_hi_u32 v13, v4, v5
	v_mul_lo_u32 v5, v4, v5
	v_add_co_u32 v9, vcc_lo, v9, v10
	v_add_co_ci_u32_e32 v10, vcc_lo, 0, v11, vcc_lo
	s_delay_alu instid0(VALU_DEP_2) | instskip(NEXT) | instid1(VALU_DEP_2)
	v_add_co_u32 v8, vcc_lo, v9, v8
	v_add_co_ci_u32_e32 v8, vcc_lo, v10, v12, vcc_lo
	v_add_co_ci_u32_e32 v9, vcc_lo, 0, v13, vcc_lo
	v_ashrrev_i32_e32 v12, 31, v1
	s_delay_alu instid0(VALU_DEP_3) | instskip(NEXT) | instid1(VALU_DEP_3)
	v_add_co_u32 v5, vcc_lo, v8, v5
	v_add_co_ci_u32_e32 v8, vcc_lo, 0, v9, vcc_lo
	s_delay_alu instid0(VALU_DEP_2) | instskip(NEXT) | instid1(VALU_DEP_2)
	v_add_co_u32 v3, vcc_lo, v3, v5
	v_add_co_ci_u32_e32 v4, vcc_lo, v4, v8, vcc_lo
	s_delay_alu instid0(VALU_DEP_2) | instskip(SKIP_1) | instid1(VALU_DEP_3)
	v_mul_hi_u32 v5, s0, v3
	v_mul_lo_u32 v9, s20, v3
	v_mul_lo_u32 v8, s0, v4
	s_delay_alu instid0(VALU_DEP_1) | instskip(SKIP_1) | instid1(VALU_DEP_2)
	v_add_nc_u32_e32 v5, v5, v8
	v_mul_lo_u32 v8, s0, v3
	v_add_nc_u32_e32 v5, v5, v9
	s_delay_alu instid0(VALU_DEP_2) | instskip(NEXT) | instid1(VALU_DEP_2)
	v_mul_hi_u32 v9, v3, v8
	v_mul_lo_u32 v10, v3, v5
	v_mul_hi_u32 v11, v3, v5
	v_mul_hi_u32 v13, v4, v8
	v_mul_lo_u32 v8, v4, v8
	v_mul_hi_u32 v14, v4, v5
	v_mul_lo_u32 v5, v4, v5
	v_add_co_u32 v9, vcc_lo, v9, v10
	v_add_co_ci_u32_e32 v10, vcc_lo, 0, v11, vcc_lo
	s_delay_alu instid0(VALU_DEP_2) | instskip(NEXT) | instid1(VALU_DEP_2)
	v_add_co_u32 v8, vcc_lo, v9, v8
	v_add_co_ci_u32_e32 v8, vcc_lo, v10, v13, vcc_lo
	v_add_co_ci_u32_e32 v9, vcc_lo, 0, v14, vcc_lo
	v_add_co_u32 v10, vcc_lo, v0, v12
	v_add_co_ci_u32_e32 v1, vcc_lo, v1, v12, vcc_lo
	s_delay_alu instid0(VALU_DEP_4) | instskip(NEXT) | instid1(VALU_DEP_4)
	v_add_co_u32 v5, vcc_lo, v8, v5
	v_add_co_ci_u32_e32 v8, vcc_lo, 0, v9, vcc_lo
	s_delay_alu instid0(VALU_DEP_4) | instskip(NEXT) | instid1(VALU_DEP_3)
	v_xor_b32_e32 v13, v10, v12
	v_add_co_u32 v5, vcc_lo, v3, v5
	s_delay_alu instid0(VALU_DEP_3) | instskip(SKIP_1) | instid1(VALU_DEP_3)
	v_add_co_ci_u32_e32 v14, vcc_lo, v4, v8, vcc_lo
	v_xor_b32_e32 v1, v1, v12
	v_mul_hi_u32 v15, v13, v5
	s_delay_alu instid0(VALU_DEP_3) | instskip(NEXT) | instid1(VALU_DEP_3)
	v_mad_u64_u32 v[3:4], null, v13, v14, 0
	v_mad_u64_u32 v[8:9], null, v1, v5, 0
	;; [unrolled: 1-line block ×3, first 2 shown]
	s_delay_alu instid0(VALU_DEP_3) | instskip(NEXT) | instid1(VALU_DEP_4)
	v_add_co_u32 v3, vcc_lo, v15, v3
	v_add_co_ci_u32_e32 v4, vcc_lo, 0, v4, vcc_lo
	s_delay_alu instid0(VALU_DEP_2) | instskip(NEXT) | instid1(VALU_DEP_2)
	v_add_co_u32 v3, vcc_lo, v3, v8
	v_add_co_ci_u32_e32 v3, vcc_lo, v4, v9, vcc_lo
	v_add_co_ci_u32_e32 v4, vcc_lo, 0, v11, vcc_lo
	s_delay_alu instid0(VALU_DEP_2) | instskip(NEXT) | instid1(VALU_DEP_2)
	v_add_co_u32 v5, vcc_lo, v3, v10
	v_add_co_ci_u32_e32 v8, vcc_lo, 0, v4, vcc_lo
	s_delay_alu instid0(VALU_DEP_2) | instskip(SKIP_1) | instid1(VALU_DEP_3)
	v_mul_lo_u32 v9, s19, v5
	v_mad_u64_u32 v[3:4], null, s18, v5, 0
	v_mul_lo_u32 v10, s18, v8
	s_delay_alu instid0(VALU_DEP_2) | instskip(NEXT) | instid1(VALU_DEP_2)
	v_sub_co_u32 v3, vcc_lo, v13, v3
	v_add3_u32 v4, v4, v10, v9
	s_delay_alu instid0(VALU_DEP_1) | instskip(NEXT) | instid1(VALU_DEP_1)
	v_sub_nc_u32_e32 v9, v1, v4
	v_subrev_co_ci_u32_e64 v9, s0, s19, v9, vcc_lo
	v_add_co_u32 v10, s0, v5, 2
	s_delay_alu instid0(VALU_DEP_1) | instskip(SKIP_3) | instid1(VALU_DEP_3)
	v_add_co_ci_u32_e64 v11, s0, 0, v8, s0
	v_sub_co_u32 v13, s0, v3, s18
	v_sub_co_ci_u32_e32 v1, vcc_lo, v1, v4, vcc_lo
	v_subrev_co_ci_u32_e64 v9, s0, 0, v9, s0
	v_cmp_le_u32_e32 vcc_lo, s18, v13
	s_delay_alu instid0(VALU_DEP_3) | instskip(SKIP_1) | instid1(VALU_DEP_4)
	v_cmp_eq_u32_e64 s0, s19, v1
	v_cndmask_b32_e64 v4, 0, -1, vcc_lo
	v_cmp_le_u32_e32 vcc_lo, s19, v9
	v_cndmask_b32_e64 v13, 0, -1, vcc_lo
	v_cmp_le_u32_e32 vcc_lo, s18, v3
	v_cndmask_b32_e64 v3, 0, -1, vcc_lo
	v_cmp_le_u32_e32 vcc_lo, s19, v1
	v_cndmask_b32_e64 v14, 0, -1, vcc_lo
	v_cmp_eq_u32_e32 vcc_lo, s19, v9
	s_delay_alu instid0(VALU_DEP_2) | instskip(SKIP_3) | instid1(VALU_DEP_3)
	v_cndmask_b32_e64 v1, v14, v3, s0
	v_cndmask_b32_e32 v4, v13, v4, vcc_lo
	v_add_co_u32 v9, vcc_lo, v5, 1
	v_add_co_ci_u32_e32 v13, vcc_lo, 0, v8, vcc_lo
	v_cmp_ne_u32_e32 vcc_lo, 0, v4
	s_delay_alu instid0(VALU_DEP_2) | instskip(NEXT) | instid1(VALU_DEP_4)
	v_cndmask_b32_e32 v3, v13, v11, vcc_lo
	v_cndmask_b32_e32 v4, v9, v10, vcc_lo
	v_cmp_ne_u32_e32 vcc_lo, 0, v1
	v_xor_b32_e32 v1, s16, v12
	s_delay_alu instid0(VALU_DEP_3) | instskip(SKIP_1) | instid1(VALU_DEP_2)
	v_dual_cndmask_b32 v3, v8, v3 :: v_dual_cndmask_b32 v4, v5, v4
	v_xor_b32_e32 v5, s17, v12
	v_xor_b32_e32 v4, v4, v1
	s_delay_alu instid0(VALU_DEP_2) | instskip(NEXT) | instid1(VALU_DEP_2)
	v_xor_b32_e32 v3, v3, v5
	v_sub_co_u32 v4, vcc_lo, v4, v1
	s_delay_alu instid0(VALU_DEP_2)
	v_sub_co_ci_u32_e32 v5, vcc_lo, v3, v5, vcc_lo
.LBB80_9:                               ;   in Loop: Header=BB80_3 Depth=1
	s_and_not1_saveexec_b32 s0, s14
	s_cbranch_execz .LBB80_11
; %bb.10:                               ;   in Loop: Header=BB80_3 Depth=1
	v_cvt_f32_u32_e32 v1, s28
	s_sub_i32 s14, 0, s28
	s_delay_alu instid0(VALU_DEP_1) | instskip(SKIP_2) | instid1(VALU_DEP_1)
	v_rcp_iflag_f32_e32 v1, v1
	s_waitcnt_depctr 0xfff
	v_mul_f32_e32 v1, 0x4f7ffffe, v1
	v_cvt_u32_f32_e32 v1, v1
	s_delay_alu instid0(VALU_DEP_1) | instskip(NEXT) | instid1(VALU_DEP_1)
	v_mul_lo_u32 v3, s14, v1
	v_mul_hi_u32 v3, v1, v3
	s_delay_alu instid0(VALU_DEP_1) | instskip(NEXT) | instid1(VALU_DEP_1)
	v_add_nc_u32_e32 v1, v1, v3
	v_mul_hi_u32 v1, v0, v1
	s_delay_alu instid0(VALU_DEP_1) | instskip(SKIP_1) | instid1(VALU_DEP_2)
	v_mul_lo_u32 v3, v1, s28
	v_add_nc_u32_e32 v4, 1, v1
	v_sub_nc_u32_e32 v3, v0, v3
	s_delay_alu instid0(VALU_DEP_1) | instskip(SKIP_1) | instid1(VALU_DEP_2)
	v_subrev_nc_u32_e32 v5, s28, v3
	v_cmp_le_u32_e32 vcc_lo, s28, v3
	v_cndmask_b32_e32 v3, v3, v5, vcc_lo
	v_mov_b32_e32 v5, v2
	v_cndmask_b32_e32 v1, v1, v4, vcc_lo
	s_delay_alu instid0(VALU_DEP_3) | instskip(NEXT) | instid1(VALU_DEP_2)
	v_cmp_le_u32_e32 vcc_lo, s28, v3
	v_add_nc_u32_e32 v4, 1, v1
	s_delay_alu instid0(VALU_DEP_1)
	v_cndmask_b32_e32 v4, v1, v4, vcc_lo
.LBB80_11:                              ;   in Loop: Header=BB80_3 Depth=1
	s_or_b32 exec_lo, exec_lo, s0
	v_mad_u64_u32 v[8:9], null, v0, s24, 0
	s_delay_alu instid0(VALU_DEP_2) | instskip(SKIP_1) | instid1(VALU_DEP_2)
	v_mad_u64_u32 v[9:10], null, v4, s28, 0
	s_mov_b32 s39, exec_lo
	v_sub_co_u32 v25, null, v6, v8
	s_delay_alu instid0(VALU_DEP_2) | instskip(NEXT) | instid1(VALU_DEP_1)
	v_sub_co_u32 v3, null, v0, v9
	v_sub_nc_u32_e32 v0, v25, v3
	s_delay_alu instid0(VALU_DEP_1) | instskip(NEXT) | instid1(VALU_DEP_1)
	v_ashrrev_i32_e32 v1, 31, v0
	v_cmpx_gt_i64_e64 s[4:5], v[0:1]
	s_cbranch_execz .LBB80_2
; %bb.12:                               ;   in Loop: Header=BB80_3 Depth=1
	s_clause 0x1
	s_load_b32 s0, s[8:9], 0x0
	s_load_b32 s14, s[10:11], 0x0
	s_and_not1_b32 vcc_lo, exec_lo, s36
	s_waitcnt lgkmcnt(0)
	v_mul_lo_u32 v8, s0, v25
	s_delay_alu instid0(VALU_DEP_1)
	v_mad_u64_u32 v[0:1], null, s14, v3, v[8:9]
	s_cbranch_vccnz .LBB80_58
; %bb.13:                               ;   in Loop: Header=BB80_3 Depth=1
	s_and_not1_b32 vcc_lo, exec_lo, s34
	s_cbranch_vccnz .LBB80_21
; %bb.14:                               ;   in Loop: Header=BB80_3 Depth=1
	v_dual_mov_b32 v9, v5 :: v_dual_mov_b32 v8, v4
	s_mov_b32 s22, s33
	s_mov_b32 s14, s31
.LBB80_15:                              ;   Parent Loop BB80_3 Depth=1
                                        ; =>  This Inner Loop Header: Depth=2
	s_delay_alu instid0(SALU_CYCLE_1) | instskip(NEXT) | instid1(SALU_CYCLE_1)
	s_lshl_b64 s[16:17], s[14:15], 2
                                        ; implicit-def: $vgpr4_vgpr5
	s_add_u32 s18, s26, s16
	s_addc_u32 s19, s27, s17
	s_load_b32 s23, s[18:19], 0x0
	s_mov_b32 s18, exec_lo
	s_waitcnt lgkmcnt(0)
	s_ashr_i32 s0, s23, 31
	s_delay_alu instid0(SALU_CYCLE_1) | instskip(NEXT) | instid1(VALU_DEP_1)
	v_or_b32_e32 v3, s0, v9
	v_cmpx_ne_u64_e32 0, v[2:3]
	s_xor_b32 s40, exec_lo, s18
	s_cbranch_execz .LBB80_17
; %bb.16:                               ;   in Loop: Header=BB80_15 Depth=2
	s_add_u32 s20, s23, s0
	s_mov_b32 s18, s0
	s_mov_b32 s19, s0
	s_addc_u32 s21, s0, s0
	s_delay_alu instid0(SALU_CYCLE_1) | instskip(NEXT) | instid1(SALU_CYCLE_1)
	s_xor_b64 s[20:21], s[20:21], s[18:19]
	v_cvt_f32_u32_e32 v1, s20
	v_cvt_f32_u32_e32 v3, s21
	s_sub_u32 s0, 0, s20
	s_subb_u32 s41, 0, s21
	s_delay_alu instid0(VALU_DEP_1) | instskip(NEXT) | instid1(VALU_DEP_1)
	v_fmac_f32_e32 v1, 0x4f800000, v3
	v_rcp_f32_e32 v1, v1
	s_waitcnt_depctr 0xfff
	v_mul_f32_e32 v1, 0x5f7ffffc, v1
	s_delay_alu instid0(VALU_DEP_1) | instskip(NEXT) | instid1(VALU_DEP_1)
	v_mul_f32_e32 v3, 0x2f800000, v1
	v_trunc_f32_e32 v3, v3
	s_delay_alu instid0(VALU_DEP_1) | instskip(SKIP_1) | instid1(VALU_DEP_2)
	v_fmac_f32_e32 v1, 0xcf800000, v3
	v_cvt_u32_f32_e32 v3, v3
	v_cvt_u32_f32_e32 v1, v1
	s_delay_alu instid0(VALU_DEP_2) | instskip(NEXT) | instid1(VALU_DEP_2)
	v_mul_lo_u32 v4, s0, v3
	v_mul_hi_u32 v5, s0, v1
	v_mul_lo_u32 v10, s41, v1
	s_delay_alu instid0(VALU_DEP_2) | instskip(SKIP_1) | instid1(VALU_DEP_2)
	v_add_nc_u32_e32 v4, v5, v4
	v_mul_lo_u32 v5, s0, v1
	v_add_nc_u32_e32 v4, v4, v10
	s_delay_alu instid0(VALU_DEP_2) | instskip(NEXT) | instid1(VALU_DEP_2)
	v_mul_hi_u32 v10, v1, v5
	v_mul_lo_u32 v11, v1, v4
	v_mul_hi_u32 v12, v1, v4
	v_mul_hi_u32 v13, v3, v5
	v_mul_lo_u32 v5, v3, v5
	v_mul_hi_u32 v14, v3, v4
	v_mul_lo_u32 v4, v3, v4
	v_add_co_u32 v10, vcc_lo, v10, v11
	v_add_co_ci_u32_e32 v11, vcc_lo, 0, v12, vcc_lo
	s_delay_alu instid0(VALU_DEP_2) | instskip(NEXT) | instid1(VALU_DEP_2)
	v_add_co_u32 v5, vcc_lo, v10, v5
	v_add_co_ci_u32_e32 v5, vcc_lo, v11, v13, vcc_lo
	v_add_co_ci_u32_e32 v10, vcc_lo, 0, v14, vcc_lo
	v_ashrrev_i32_e32 v13, 31, v9
	s_delay_alu instid0(VALU_DEP_3) | instskip(NEXT) | instid1(VALU_DEP_3)
	v_add_co_u32 v4, vcc_lo, v5, v4
	v_add_co_ci_u32_e32 v5, vcc_lo, 0, v10, vcc_lo
	s_delay_alu instid0(VALU_DEP_2) | instskip(NEXT) | instid1(VALU_DEP_2)
	v_add_co_u32 v1, vcc_lo, v1, v4
	v_add_co_ci_u32_e32 v3, vcc_lo, v3, v5, vcc_lo
	s_delay_alu instid0(VALU_DEP_2) | instskip(SKIP_1) | instid1(VALU_DEP_3)
	v_mul_hi_u32 v4, s0, v1
	v_mul_lo_u32 v10, s41, v1
	v_mul_lo_u32 v5, s0, v3
	s_delay_alu instid0(VALU_DEP_1) | instskip(SKIP_1) | instid1(VALU_DEP_2)
	v_add_nc_u32_e32 v4, v4, v5
	v_mul_lo_u32 v5, s0, v1
	v_add_nc_u32_e32 v4, v4, v10
	s_delay_alu instid0(VALU_DEP_2) | instskip(NEXT) | instid1(VALU_DEP_2)
	v_mul_hi_u32 v10, v1, v5
	v_mul_lo_u32 v11, v1, v4
	v_mul_hi_u32 v12, v1, v4
	v_mul_hi_u32 v14, v3, v5
	v_mul_lo_u32 v5, v3, v5
	v_mul_hi_u32 v15, v3, v4
	v_mul_lo_u32 v4, v3, v4
	v_add_co_u32 v10, vcc_lo, v10, v11
	v_add_co_ci_u32_e32 v11, vcc_lo, 0, v12, vcc_lo
	s_delay_alu instid0(VALU_DEP_2) | instskip(NEXT) | instid1(VALU_DEP_2)
	v_add_co_u32 v5, vcc_lo, v10, v5
	v_add_co_ci_u32_e32 v5, vcc_lo, v11, v14, vcc_lo
	v_add_co_ci_u32_e32 v10, vcc_lo, 0, v15, vcc_lo
	v_add_co_u32 v11, vcc_lo, v8, v13
	v_add_co_ci_u32_e32 v9, vcc_lo, v9, v13, vcc_lo
	s_delay_alu instid0(VALU_DEP_4) | instskip(NEXT) | instid1(VALU_DEP_4)
	v_add_co_u32 v4, vcc_lo, v5, v4
	v_add_co_ci_u32_e32 v5, vcc_lo, 0, v10, vcc_lo
	s_delay_alu instid0(VALU_DEP_4) | instskip(NEXT) | instid1(VALU_DEP_3)
	v_xor_b32_e32 v14, v11, v13
	v_add_co_u32 v1, vcc_lo, v1, v4
	s_delay_alu instid0(VALU_DEP_3) | instskip(SKIP_1) | instid1(VALU_DEP_3)
	v_add_co_ci_u32_e32 v5, vcc_lo, v3, v5, vcc_lo
	v_xor_b32_e32 v15, v9, v13
	v_mul_hi_u32 v16, v14, v1
	s_delay_alu instid0(VALU_DEP_3) | instskip(NEXT) | instid1(VALU_DEP_3)
	v_mad_u64_u32 v[3:4], null, v14, v5, 0
	v_mad_u64_u32 v[9:10], null, v15, v1, 0
	;; [unrolled: 1-line block ×3, first 2 shown]
	s_delay_alu instid0(VALU_DEP_3) | instskip(NEXT) | instid1(VALU_DEP_4)
	v_add_co_u32 v1, vcc_lo, v16, v3
	v_add_co_ci_u32_e32 v3, vcc_lo, 0, v4, vcc_lo
	s_delay_alu instid0(VALU_DEP_2) | instskip(NEXT) | instid1(VALU_DEP_2)
	v_add_co_u32 v1, vcc_lo, v1, v9
	v_add_co_ci_u32_e32 v1, vcc_lo, v3, v10, vcc_lo
	v_add_co_ci_u32_e32 v3, vcc_lo, 0, v12, vcc_lo
	s_delay_alu instid0(VALU_DEP_2) | instskip(NEXT) | instid1(VALU_DEP_2)
	v_add_co_u32 v1, vcc_lo, v1, v11
	v_add_co_ci_u32_e32 v5, vcc_lo, 0, v3, vcc_lo
	s_delay_alu instid0(VALU_DEP_2) | instskip(SKIP_1) | instid1(VALU_DEP_3)
	v_mul_lo_u32 v9, s21, v1
	v_mad_u64_u32 v[3:4], null, s20, v1, 0
	v_mul_lo_u32 v10, s20, v5
	s_delay_alu instid0(VALU_DEP_2) | instskip(NEXT) | instid1(VALU_DEP_2)
	v_sub_co_u32 v3, vcc_lo, v14, v3
	v_add3_u32 v4, v4, v10, v9
	s_delay_alu instid0(VALU_DEP_1) | instskip(NEXT) | instid1(VALU_DEP_1)
	v_sub_nc_u32_e32 v9, v15, v4
	v_subrev_co_ci_u32_e64 v9, s0, s21, v9, vcc_lo
	v_add_co_u32 v10, s0, v1, 2
	s_delay_alu instid0(VALU_DEP_1) | instskip(SKIP_3) | instid1(VALU_DEP_3)
	v_add_co_ci_u32_e64 v11, s0, 0, v5, s0
	v_sub_co_u32 v12, s0, v3, s20
	v_sub_co_ci_u32_e32 v4, vcc_lo, v15, v4, vcc_lo
	v_subrev_co_ci_u32_e64 v9, s0, 0, v9, s0
	v_cmp_le_u32_e32 vcc_lo, s20, v12
	s_delay_alu instid0(VALU_DEP_3) | instskip(SKIP_1) | instid1(VALU_DEP_4)
	v_cmp_eq_u32_e64 s0, s21, v4
	v_cndmask_b32_e64 v12, 0, -1, vcc_lo
	v_cmp_le_u32_e32 vcc_lo, s21, v9
	v_cndmask_b32_e64 v14, 0, -1, vcc_lo
	v_cmp_le_u32_e32 vcc_lo, s20, v3
	;; [unrolled: 2-line block ×3, first 2 shown]
	v_cndmask_b32_e64 v15, 0, -1, vcc_lo
	v_cmp_eq_u32_e32 vcc_lo, s21, v9
	s_delay_alu instid0(VALU_DEP_2) | instskip(SKIP_3) | instid1(VALU_DEP_3)
	v_cndmask_b32_e64 v3, v15, v3, s0
	v_cndmask_b32_e32 v9, v14, v12, vcc_lo
	v_add_co_u32 v12, vcc_lo, v1, 1
	v_add_co_ci_u32_e32 v14, vcc_lo, 0, v5, vcc_lo
	v_cmp_ne_u32_e32 vcc_lo, 0, v9
	s_delay_alu instid0(VALU_DEP_2) | instskip(SKIP_2) | instid1(VALU_DEP_3)
	v_dual_cndmask_b32 v4, v14, v11 :: v_dual_cndmask_b32 v9, v12, v10
	v_cmp_ne_u32_e32 vcc_lo, 0, v3
	v_xor_b32_e32 v3, s18, v13
	v_cndmask_b32_e32 v1, v1, v9, vcc_lo
	s_delay_alu instid0(VALU_DEP_4) | instskip(SKIP_1) | instid1(VALU_DEP_3)
	v_cndmask_b32_e32 v4, v5, v4, vcc_lo
	v_xor_b32_e32 v5, s19, v13
	v_xor_b32_e32 v1, v1, v3
	s_delay_alu instid0(VALU_DEP_2) | instskip(NEXT) | instid1(VALU_DEP_2)
	v_xor_b32_e32 v9, v4, v5
	v_sub_co_u32 v4, vcc_lo, v1, v3
	s_delay_alu instid0(VALU_DEP_2)
	v_sub_co_ci_u32_e32 v5, vcc_lo, v9, v5, vcc_lo
.LBB80_17:                              ;   in Loop: Header=BB80_15 Depth=2
	s_and_not1_saveexec_b32 s0, s40
	s_cbranch_execz .LBB80_19
; %bb.18:                               ;   in Loop: Header=BB80_15 Depth=2
	v_cvt_f32_u32_e32 v1, s23
	s_sub_i32 s18, 0, s23
	s_delay_alu instid0(VALU_DEP_1) | instskip(SKIP_2) | instid1(VALU_DEP_1)
	v_rcp_iflag_f32_e32 v1, v1
	s_waitcnt_depctr 0xfff
	v_mul_f32_e32 v1, 0x4f7ffffe, v1
	v_cvt_u32_f32_e32 v1, v1
	s_delay_alu instid0(VALU_DEP_1) | instskip(NEXT) | instid1(VALU_DEP_1)
	v_mul_lo_u32 v3, s18, v1
	v_mul_hi_u32 v3, v1, v3
	s_delay_alu instid0(VALU_DEP_1) | instskip(NEXT) | instid1(VALU_DEP_1)
	v_add_nc_u32_e32 v1, v1, v3
	v_mul_hi_u32 v1, v8, v1
	s_delay_alu instid0(VALU_DEP_1) | instskip(SKIP_1) | instid1(VALU_DEP_2)
	v_mul_lo_u32 v3, v1, s23
	v_add_nc_u32_e32 v4, 1, v1
	v_sub_nc_u32_e32 v3, v8, v3
	s_delay_alu instid0(VALU_DEP_1) | instskip(SKIP_1) | instid1(VALU_DEP_2)
	v_subrev_nc_u32_e32 v5, s23, v3
	v_cmp_le_u32_e32 vcc_lo, s23, v3
	v_cndmask_b32_e32 v3, v3, v5, vcc_lo
	v_mov_b32_e32 v5, v2
	v_cndmask_b32_e32 v1, v1, v4, vcc_lo
	s_delay_alu instid0(VALU_DEP_3) | instskip(NEXT) | instid1(VALU_DEP_2)
	v_cmp_le_u32_e32 vcc_lo, s23, v3
	v_add_nc_u32_e32 v4, 1, v1
	s_delay_alu instid0(VALU_DEP_1)
	v_cndmask_b32_e32 v4, v1, v4, vcc_lo
.LBB80_19:                              ;   in Loop: Header=BB80_15 Depth=2
	s_or_b32 exec_lo, exec_lo, s0
	s_add_u32 s16, s30, s16
	s_addc_u32 s17, s1, s17
	s_delay_alu instid0(VALU_DEP_1) | instskip(SKIP_4) | instid1(VALU_DEP_1)
	v_mul_lo_u32 v1, v4, s23
	s_load_b32 s0, s[16:17], 0x0
	s_add_i32 s22, s22, -1
	s_add_i32 s14, s14, -1
	s_cmp_lg_u32 s22, 0
	v_sub_nc_u32_e32 v1, v8, v1
	s_waitcnt lgkmcnt(0)
	s_delay_alu instid0(VALU_DEP_1) | instskip(NEXT) | instid1(VALU_DEP_1)
	v_mad_u64_u32 v[8:9], null, s0, v1, v[0:1]
	v_mov_b32_e32 v0, v8
	s_cbranch_scc0 .LBB80_22
; %bb.20:                               ;   in Loop: Header=BB80_15 Depth=2
	v_dual_mov_b32 v9, v5 :: v_dual_mov_b32 v8, v4
	s_branch .LBB80_15
.LBB80_21:                              ;   in Loop: Header=BB80_3 Depth=1
	s_mov_b32 s14, s31
.LBB80_22:                              ;   in Loop: Header=BB80_3 Depth=1
	s_and_not1_b32 vcc_lo, exec_lo, s35
	s_cbranch_vccnz .LBB80_58
; %bb.23:                               ;   in Loop: Header=BB80_3 Depth=1
	s_add_i32 s16, s14, -7
.LBB80_24:                              ;   Parent Loop BB80_3 Depth=1
                                        ; =>  This Inner Loop Header: Depth=2
	s_delay_alu instid0(SALU_CYCLE_1) | instskip(NEXT) | instid1(SALU_CYCLE_1)
	s_add_i32 s14, s16, 7
                                        ; implicit-def: $vgpr8_vgpr9
	s_lshl_b64 s[18:19], s[14:15], 2
	s_mov_b32 s14, exec_lo
	s_add_u32 s20, s26, s18
	s_addc_u32 s21, s27, s19
	s_load_b32 s40, s[20:21], 0x0
	s_waitcnt lgkmcnt(0)
	s_ashr_i32 s0, s40, 31
	s_delay_alu instid0(SALU_CYCLE_1) | instskip(NEXT) | instid1(VALU_DEP_1)
	v_or_b32_e32 v3, s0, v5
	v_cmpx_ne_u64_e32 0, v[2:3]
	s_xor_b32 s14, exec_lo, s14
	s_cbranch_execz .LBB80_26
; %bb.25:                               ;   in Loop: Header=BB80_24 Depth=2
	s_add_u32 s22, s40, s0
	s_mov_b32 s20, s0
	s_mov_b32 s21, s0
	s_addc_u32 s23, s0, s0
	s_delay_alu instid0(SALU_CYCLE_1) | instskip(NEXT) | instid1(SALU_CYCLE_1)
	s_xor_b64 s[22:23], s[22:23], s[20:21]
	v_cvt_f32_u32_e32 v1, s22
	v_cvt_f32_u32_e32 v3, s23
	s_sub_u32 s0, 0, s22
	s_subb_u32 s17, 0, s23
	s_delay_alu instid0(VALU_DEP_1) | instskip(NEXT) | instid1(VALU_DEP_1)
	v_fmac_f32_e32 v1, 0x4f800000, v3
	v_rcp_f32_e32 v1, v1
	s_waitcnt_depctr 0xfff
	v_mul_f32_e32 v1, 0x5f7ffffc, v1
	s_delay_alu instid0(VALU_DEP_1) | instskip(NEXT) | instid1(VALU_DEP_1)
	v_mul_f32_e32 v3, 0x2f800000, v1
	v_trunc_f32_e32 v3, v3
	s_delay_alu instid0(VALU_DEP_1) | instskip(SKIP_1) | instid1(VALU_DEP_2)
	v_fmac_f32_e32 v1, 0xcf800000, v3
	v_cvt_u32_f32_e32 v3, v3
	v_cvt_u32_f32_e32 v1, v1
	s_delay_alu instid0(VALU_DEP_2) | instskip(NEXT) | instid1(VALU_DEP_2)
	v_mul_lo_u32 v8, s0, v3
	v_mul_hi_u32 v9, s0, v1
	v_mul_lo_u32 v10, s17, v1
	s_delay_alu instid0(VALU_DEP_2) | instskip(SKIP_1) | instid1(VALU_DEP_2)
	v_add_nc_u32_e32 v8, v9, v8
	v_mul_lo_u32 v9, s0, v1
	v_add_nc_u32_e32 v8, v8, v10
	s_delay_alu instid0(VALU_DEP_2) | instskip(NEXT) | instid1(VALU_DEP_2)
	v_mul_hi_u32 v10, v1, v9
	v_mul_lo_u32 v11, v1, v8
	v_mul_hi_u32 v12, v1, v8
	v_mul_hi_u32 v13, v3, v9
	v_mul_lo_u32 v9, v3, v9
	v_mul_hi_u32 v14, v3, v8
	v_mul_lo_u32 v8, v3, v8
	v_add_co_u32 v10, vcc_lo, v10, v11
	v_add_co_ci_u32_e32 v11, vcc_lo, 0, v12, vcc_lo
	s_delay_alu instid0(VALU_DEP_2) | instskip(NEXT) | instid1(VALU_DEP_2)
	v_add_co_u32 v9, vcc_lo, v10, v9
	v_add_co_ci_u32_e32 v9, vcc_lo, v11, v13, vcc_lo
	v_add_co_ci_u32_e32 v10, vcc_lo, 0, v14, vcc_lo
	v_ashrrev_i32_e32 v14, 31, v5
	s_delay_alu instid0(VALU_DEP_3) | instskip(NEXT) | instid1(VALU_DEP_3)
	v_add_co_u32 v8, vcc_lo, v9, v8
	v_add_co_ci_u32_e32 v9, vcc_lo, 0, v10, vcc_lo
	s_delay_alu instid0(VALU_DEP_2) | instskip(NEXT) | instid1(VALU_DEP_2)
	v_add_co_u32 v1, vcc_lo, v1, v8
	v_add_co_ci_u32_e32 v3, vcc_lo, v3, v9, vcc_lo
	s_delay_alu instid0(VALU_DEP_2) | instskip(SKIP_1) | instid1(VALU_DEP_3)
	v_mul_hi_u32 v8, s0, v1
	v_mul_lo_u32 v10, s17, v1
	v_mul_lo_u32 v9, s0, v3
	s_delay_alu instid0(VALU_DEP_1) | instskip(SKIP_1) | instid1(VALU_DEP_2)
	v_add_nc_u32_e32 v8, v8, v9
	v_mul_lo_u32 v9, s0, v1
	v_add_nc_u32_e32 v8, v8, v10
	s_delay_alu instid0(VALU_DEP_2) | instskip(NEXT) | instid1(VALU_DEP_2)
	v_mul_hi_u32 v10, v1, v9
	v_mul_lo_u32 v11, v1, v8
	v_mul_hi_u32 v12, v1, v8
	v_mul_hi_u32 v13, v3, v9
	v_mul_lo_u32 v9, v3, v9
	v_mul_hi_u32 v15, v3, v8
	v_mul_lo_u32 v8, v3, v8
	v_add_co_u32 v10, vcc_lo, v10, v11
	v_add_co_ci_u32_e32 v11, vcc_lo, 0, v12, vcc_lo
	s_delay_alu instid0(VALU_DEP_2) | instskip(NEXT) | instid1(VALU_DEP_2)
	v_add_co_u32 v9, vcc_lo, v10, v9
	v_add_co_ci_u32_e32 v9, vcc_lo, v11, v13, vcc_lo
	v_add_co_ci_u32_e32 v10, vcc_lo, 0, v15, vcc_lo
	v_add_co_u32 v11, vcc_lo, v4, v14
	v_add_co_ci_u32_e32 v5, vcc_lo, v5, v14, vcc_lo
	s_delay_alu instid0(VALU_DEP_4) | instskip(NEXT) | instid1(VALU_DEP_4)
	v_add_co_u32 v8, vcc_lo, v9, v8
	v_add_co_ci_u32_e32 v9, vcc_lo, 0, v10, vcc_lo
	s_delay_alu instid0(VALU_DEP_4) | instskip(NEXT) | instid1(VALU_DEP_3)
	v_xor_b32_e32 v15, v11, v14
	v_add_co_u32 v1, vcc_lo, v1, v8
	s_delay_alu instid0(VALU_DEP_3) | instskip(SKIP_1) | instid1(VALU_DEP_3)
	v_add_co_ci_u32_e32 v3, vcc_lo, v3, v9, vcc_lo
	v_xor_b32_e32 v5, v5, v14
	v_mul_hi_u32 v16, v15, v1
	s_delay_alu instid0(VALU_DEP_3) | instskip(NEXT) | instid1(VALU_DEP_3)
	v_mad_u64_u32 v[8:9], null, v15, v3, 0
	v_mad_u64_u32 v[10:11], null, v5, v1, 0
	;; [unrolled: 1-line block ×3, first 2 shown]
	s_delay_alu instid0(VALU_DEP_3) | instskip(NEXT) | instid1(VALU_DEP_4)
	v_add_co_u32 v1, vcc_lo, v16, v8
	v_add_co_ci_u32_e32 v3, vcc_lo, 0, v9, vcc_lo
	s_delay_alu instid0(VALU_DEP_2) | instskip(NEXT) | instid1(VALU_DEP_2)
	v_add_co_u32 v1, vcc_lo, v1, v10
	v_add_co_ci_u32_e32 v1, vcc_lo, v3, v11, vcc_lo
	v_add_co_ci_u32_e32 v3, vcc_lo, 0, v13, vcc_lo
	s_delay_alu instid0(VALU_DEP_2) | instskip(NEXT) | instid1(VALU_DEP_2)
	v_add_co_u32 v1, vcc_lo, v1, v12
	v_add_co_ci_u32_e32 v3, vcc_lo, 0, v3, vcc_lo
	s_delay_alu instid0(VALU_DEP_2) | instskip(SKIP_1) | instid1(VALU_DEP_3)
	v_mul_lo_u32 v10, s23, v1
	v_mad_u64_u32 v[8:9], null, s22, v1, 0
	v_mul_lo_u32 v11, s22, v3
	s_delay_alu instid0(VALU_DEP_2) | instskip(NEXT) | instid1(VALU_DEP_2)
	v_sub_co_u32 v8, vcc_lo, v15, v8
	v_add3_u32 v9, v9, v11, v10
	s_delay_alu instid0(VALU_DEP_1) | instskip(NEXT) | instid1(VALU_DEP_1)
	v_sub_nc_u32_e32 v10, v5, v9
	v_subrev_co_ci_u32_e64 v10, s0, s23, v10, vcc_lo
	v_add_co_u32 v11, s0, v1, 2
	s_delay_alu instid0(VALU_DEP_1) | instskip(SKIP_3) | instid1(VALU_DEP_3)
	v_add_co_ci_u32_e64 v12, s0, 0, v3, s0
	v_sub_co_u32 v13, s0, v8, s22
	v_sub_co_ci_u32_e32 v5, vcc_lo, v5, v9, vcc_lo
	v_subrev_co_ci_u32_e64 v10, s0, 0, v10, s0
	v_cmp_le_u32_e32 vcc_lo, s22, v13
	s_delay_alu instid0(VALU_DEP_3) | instskip(SKIP_1) | instid1(VALU_DEP_4)
	v_cmp_eq_u32_e64 s0, s23, v5
	v_cndmask_b32_e64 v9, 0, -1, vcc_lo
	v_cmp_le_u32_e32 vcc_lo, s23, v10
	v_cndmask_b32_e64 v13, 0, -1, vcc_lo
	v_cmp_le_u32_e32 vcc_lo, s22, v8
	;; [unrolled: 2-line block ×3, first 2 shown]
	v_cndmask_b32_e64 v15, 0, -1, vcc_lo
	v_cmp_eq_u32_e32 vcc_lo, s23, v10
	s_delay_alu instid0(VALU_DEP_2) | instskip(SKIP_3) | instid1(VALU_DEP_3)
	v_cndmask_b32_e64 v5, v15, v8, s0
	v_cndmask_b32_e32 v9, v13, v9, vcc_lo
	v_add_co_u32 v10, vcc_lo, v1, 1
	v_add_co_ci_u32_e32 v13, vcc_lo, 0, v3, vcc_lo
	v_cmp_ne_u32_e32 vcc_lo, 0, v9
	s_delay_alu instid0(VALU_DEP_2) | instskip(SKIP_2) | instid1(VALU_DEP_3)
	v_dual_cndmask_b32 v8, v13, v12 :: v_dual_cndmask_b32 v9, v10, v11
	v_cmp_ne_u32_e32 vcc_lo, 0, v5
	v_xor_b32_e32 v5, s20, v14
	v_cndmask_b32_e32 v1, v1, v9, vcc_lo
	s_delay_alu instid0(VALU_DEP_4) | instskip(SKIP_1) | instid1(VALU_DEP_3)
	v_cndmask_b32_e32 v3, v3, v8, vcc_lo
	v_xor_b32_e32 v9, s21, v14
	v_xor_b32_e32 v1, v1, v5
	s_delay_alu instid0(VALU_DEP_2) | instskip(NEXT) | instid1(VALU_DEP_2)
	v_xor_b32_e32 v3, v3, v9
	v_sub_co_u32 v8, vcc_lo, v1, v5
	s_delay_alu instid0(VALU_DEP_2)
	v_sub_co_ci_u32_e32 v9, vcc_lo, v3, v9, vcc_lo
.LBB80_26:                              ;   in Loop: Header=BB80_24 Depth=2
	s_and_not1_saveexec_b32 s0, s14
	s_cbranch_execz .LBB80_28
; %bb.27:                               ;   in Loop: Header=BB80_24 Depth=2
	v_cvt_f32_u32_e32 v1, s40
	s_sub_i32 s14, 0, s40
	v_mov_b32_e32 v9, v2
	s_delay_alu instid0(VALU_DEP_2) | instskip(SKIP_2) | instid1(VALU_DEP_1)
	v_rcp_iflag_f32_e32 v1, v1
	s_waitcnt_depctr 0xfff
	v_mul_f32_e32 v1, 0x4f7ffffe, v1
	v_cvt_u32_f32_e32 v1, v1
	s_delay_alu instid0(VALU_DEP_1) | instskip(NEXT) | instid1(VALU_DEP_1)
	v_mul_lo_u32 v3, s14, v1
	v_mul_hi_u32 v3, v1, v3
	s_delay_alu instid0(VALU_DEP_1) | instskip(NEXT) | instid1(VALU_DEP_1)
	v_add_nc_u32_e32 v1, v1, v3
	v_mul_hi_u32 v1, v4, v1
	s_delay_alu instid0(VALU_DEP_1) | instskip(SKIP_1) | instid1(VALU_DEP_2)
	v_mul_lo_u32 v3, v1, s40
	v_add_nc_u32_e32 v5, 1, v1
	v_sub_nc_u32_e32 v3, v4, v3
	s_delay_alu instid0(VALU_DEP_1) | instskip(SKIP_1) | instid1(VALU_DEP_4)
	v_cmp_le_u32_e32 vcc_lo, s40, v3
	v_subrev_nc_u32_e32 v8, s40, v3
	v_cndmask_b32_e32 v1, v1, v5, vcc_lo
	s_delay_alu instid0(VALU_DEP_1) | instskip(NEXT) | instid1(VALU_DEP_3)
	v_add_nc_u32_e32 v5, 1, v1
	v_cndmask_b32_e32 v3, v3, v8, vcc_lo
	s_delay_alu instid0(VALU_DEP_1) | instskip(NEXT) | instid1(VALU_DEP_3)
	v_cmp_le_u32_e32 vcc_lo, s40, v3
	v_cndmask_b32_e32 v8, v1, v5, vcc_lo
.LBB80_28:                              ;   in Loop: Header=BB80_24 Depth=2
	s_or_b32 exec_lo, exec_lo, s0
	s_add_u32 s20, s30, s18
	s_addc_u32 s21, s1, s19
	s_add_i32 s14, s16, 6
                                        ; implicit-def: $vgpr10_vgpr11
	s_delay_alu instid0(SALU_CYCLE_1)
	s_lshl_b64 s[18:19], s[14:15], 2
	s_mov_b32 s14, exec_lo
	s_add_u32 s22, s26, s18
	s_addc_u32 s23, s27, s19
	s_clause 0x1
	s_load_b32 s42, s[22:23], 0x0
	s_load_b32 s41, s[20:21], 0x0
	s_waitcnt lgkmcnt(0)
	s_ashr_i32 s0, s42, 31
	s_delay_alu instid0(SALU_CYCLE_1) | instskip(NEXT) | instid1(VALU_DEP_1)
	v_or_b32_e32 v3, s0, v9
	v_cmpx_ne_u64_e32 0, v[2:3]
	s_xor_b32 s14, exec_lo, s14
	s_cbranch_execz .LBB80_30
; %bb.29:                               ;   in Loop: Header=BB80_24 Depth=2
	s_add_u32 s22, s42, s0
	s_mov_b32 s20, s0
	s_mov_b32 s21, s0
	s_addc_u32 s23, s0, s0
	s_delay_alu instid0(SALU_CYCLE_1) | instskip(NEXT) | instid1(SALU_CYCLE_1)
	s_xor_b64 s[22:23], s[22:23], s[20:21]
	v_cvt_f32_u32_e32 v1, s22
	v_cvt_f32_u32_e32 v3, s23
	s_sub_u32 s0, 0, s22
	s_subb_u32 s17, 0, s23
	s_delay_alu instid0(VALU_DEP_1) | instskip(NEXT) | instid1(VALU_DEP_1)
	v_fmac_f32_e32 v1, 0x4f800000, v3
	v_rcp_f32_e32 v1, v1
	s_waitcnt_depctr 0xfff
	v_mul_f32_e32 v1, 0x5f7ffffc, v1
	s_delay_alu instid0(VALU_DEP_1) | instskip(NEXT) | instid1(VALU_DEP_1)
	v_mul_f32_e32 v3, 0x2f800000, v1
	v_trunc_f32_e32 v3, v3
	s_delay_alu instid0(VALU_DEP_1) | instskip(SKIP_1) | instid1(VALU_DEP_2)
	v_fmac_f32_e32 v1, 0xcf800000, v3
	v_cvt_u32_f32_e32 v3, v3
	v_cvt_u32_f32_e32 v1, v1
	s_delay_alu instid0(VALU_DEP_2) | instskip(NEXT) | instid1(VALU_DEP_2)
	v_mul_lo_u32 v5, s0, v3
	v_mul_hi_u32 v10, s0, v1
	v_mul_lo_u32 v11, s17, v1
	s_delay_alu instid0(VALU_DEP_2) | instskip(SKIP_1) | instid1(VALU_DEP_2)
	v_add_nc_u32_e32 v5, v10, v5
	v_mul_lo_u32 v10, s0, v1
	v_add_nc_u32_e32 v5, v5, v11
	s_delay_alu instid0(VALU_DEP_2) | instskip(NEXT) | instid1(VALU_DEP_2)
	v_mul_hi_u32 v11, v1, v10
	v_mul_lo_u32 v12, v1, v5
	v_mul_hi_u32 v13, v1, v5
	v_mul_hi_u32 v14, v3, v10
	v_mul_lo_u32 v10, v3, v10
	v_mul_hi_u32 v15, v3, v5
	v_mul_lo_u32 v5, v3, v5
	v_add_co_u32 v11, vcc_lo, v11, v12
	v_add_co_ci_u32_e32 v12, vcc_lo, 0, v13, vcc_lo
	s_delay_alu instid0(VALU_DEP_2) | instskip(NEXT) | instid1(VALU_DEP_2)
	v_add_co_u32 v10, vcc_lo, v11, v10
	v_add_co_ci_u32_e32 v10, vcc_lo, v12, v14, vcc_lo
	v_add_co_ci_u32_e32 v11, vcc_lo, 0, v15, vcc_lo
	v_ashrrev_i32_e32 v15, 31, v9
	s_delay_alu instid0(VALU_DEP_3) | instskip(NEXT) | instid1(VALU_DEP_3)
	v_add_co_u32 v5, vcc_lo, v10, v5
	v_add_co_ci_u32_e32 v10, vcc_lo, 0, v11, vcc_lo
	s_delay_alu instid0(VALU_DEP_2) | instskip(NEXT) | instid1(VALU_DEP_2)
	v_add_co_u32 v1, vcc_lo, v1, v5
	v_add_co_ci_u32_e32 v3, vcc_lo, v3, v10, vcc_lo
	s_delay_alu instid0(VALU_DEP_2) | instskip(SKIP_1) | instid1(VALU_DEP_3)
	v_mul_hi_u32 v5, s0, v1
	v_mul_lo_u32 v11, s17, v1
	v_mul_lo_u32 v10, s0, v3
	s_delay_alu instid0(VALU_DEP_1) | instskip(SKIP_1) | instid1(VALU_DEP_2)
	v_add_nc_u32_e32 v5, v5, v10
	v_mul_lo_u32 v10, s0, v1
	v_add_nc_u32_e32 v5, v5, v11
	s_delay_alu instid0(VALU_DEP_2) | instskip(NEXT) | instid1(VALU_DEP_2)
	v_mul_hi_u32 v11, v1, v10
	v_mul_lo_u32 v12, v1, v5
	v_mul_hi_u32 v13, v1, v5
	v_mul_hi_u32 v14, v3, v10
	v_mul_lo_u32 v10, v3, v10
	v_mul_hi_u32 v16, v3, v5
	v_mul_lo_u32 v5, v3, v5
	v_add_co_u32 v11, vcc_lo, v11, v12
	v_add_co_ci_u32_e32 v12, vcc_lo, 0, v13, vcc_lo
	s_delay_alu instid0(VALU_DEP_2) | instskip(NEXT) | instid1(VALU_DEP_2)
	v_add_co_u32 v10, vcc_lo, v11, v10
	v_add_co_ci_u32_e32 v10, vcc_lo, v12, v14, vcc_lo
	v_add_co_ci_u32_e32 v11, vcc_lo, 0, v16, vcc_lo
	v_add_co_u32 v12, vcc_lo, v8, v15
	v_add_co_ci_u32_e32 v9, vcc_lo, v9, v15, vcc_lo
	s_delay_alu instid0(VALU_DEP_4) | instskip(NEXT) | instid1(VALU_DEP_4)
	v_add_co_u32 v5, vcc_lo, v10, v5
	v_add_co_ci_u32_e32 v10, vcc_lo, 0, v11, vcc_lo
	s_delay_alu instid0(VALU_DEP_4) | instskip(NEXT) | instid1(VALU_DEP_3)
	v_xor_b32_e32 v16, v12, v15
	v_add_co_u32 v1, vcc_lo, v1, v5
	s_delay_alu instid0(VALU_DEP_3) | instskip(SKIP_1) | instid1(VALU_DEP_3)
	v_add_co_ci_u32_e32 v3, vcc_lo, v3, v10, vcc_lo
	v_xor_b32_e32 v5, v9, v15
	v_mul_hi_u32 v17, v16, v1
	s_delay_alu instid0(VALU_DEP_3) | instskip(NEXT) | instid1(VALU_DEP_3)
	v_mad_u64_u32 v[9:10], null, v16, v3, 0
	v_mad_u64_u32 v[11:12], null, v5, v1, 0
	;; [unrolled: 1-line block ×3, first 2 shown]
	s_delay_alu instid0(VALU_DEP_3) | instskip(NEXT) | instid1(VALU_DEP_4)
	v_add_co_u32 v1, vcc_lo, v17, v9
	v_add_co_ci_u32_e32 v3, vcc_lo, 0, v10, vcc_lo
	s_delay_alu instid0(VALU_DEP_2) | instskip(NEXT) | instid1(VALU_DEP_2)
	v_add_co_u32 v1, vcc_lo, v1, v11
	v_add_co_ci_u32_e32 v1, vcc_lo, v3, v12, vcc_lo
	v_add_co_ci_u32_e32 v3, vcc_lo, 0, v14, vcc_lo
	s_delay_alu instid0(VALU_DEP_2) | instskip(NEXT) | instid1(VALU_DEP_2)
	v_add_co_u32 v1, vcc_lo, v1, v13
	v_add_co_ci_u32_e32 v3, vcc_lo, 0, v3, vcc_lo
	s_delay_alu instid0(VALU_DEP_2) | instskip(SKIP_1) | instid1(VALU_DEP_3)
	v_mul_lo_u32 v11, s23, v1
	v_mad_u64_u32 v[9:10], null, s22, v1, 0
	v_mul_lo_u32 v12, s22, v3
	s_delay_alu instid0(VALU_DEP_2) | instskip(NEXT) | instid1(VALU_DEP_2)
	v_sub_co_u32 v9, vcc_lo, v16, v9
	v_add3_u32 v10, v10, v12, v11
	s_delay_alu instid0(VALU_DEP_1) | instskip(NEXT) | instid1(VALU_DEP_1)
	v_sub_nc_u32_e32 v11, v5, v10
	v_subrev_co_ci_u32_e64 v11, s0, s23, v11, vcc_lo
	v_add_co_u32 v12, s0, v1, 2
	s_delay_alu instid0(VALU_DEP_1) | instskip(SKIP_3) | instid1(VALU_DEP_3)
	v_add_co_ci_u32_e64 v13, s0, 0, v3, s0
	v_sub_co_u32 v14, s0, v9, s22
	v_sub_co_ci_u32_e32 v5, vcc_lo, v5, v10, vcc_lo
	v_subrev_co_ci_u32_e64 v11, s0, 0, v11, s0
	v_cmp_le_u32_e32 vcc_lo, s22, v14
	s_delay_alu instid0(VALU_DEP_3) | instskip(SKIP_1) | instid1(VALU_DEP_4)
	v_cmp_eq_u32_e64 s0, s23, v5
	v_cndmask_b32_e64 v10, 0, -1, vcc_lo
	v_cmp_le_u32_e32 vcc_lo, s23, v11
	v_cndmask_b32_e64 v14, 0, -1, vcc_lo
	v_cmp_le_u32_e32 vcc_lo, s22, v9
	;; [unrolled: 2-line block ×3, first 2 shown]
	v_cndmask_b32_e64 v16, 0, -1, vcc_lo
	v_cmp_eq_u32_e32 vcc_lo, s23, v11
	s_delay_alu instid0(VALU_DEP_2) | instskip(SKIP_3) | instid1(VALU_DEP_3)
	v_cndmask_b32_e64 v5, v16, v9, s0
	v_cndmask_b32_e32 v10, v14, v10, vcc_lo
	v_add_co_u32 v11, vcc_lo, v1, 1
	v_add_co_ci_u32_e32 v14, vcc_lo, 0, v3, vcc_lo
	v_cmp_ne_u32_e32 vcc_lo, 0, v10
	s_delay_alu instid0(VALU_DEP_2) | instskip(SKIP_2) | instid1(VALU_DEP_3)
	v_dual_cndmask_b32 v10, v11, v12 :: v_dual_cndmask_b32 v9, v14, v13
	v_cmp_ne_u32_e32 vcc_lo, 0, v5
	v_xor_b32_e32 v5, s20, v15
	v_cndmask_b32_e32 v1, v1, v10, vcc_lo
	s_delay_alu instid0(VALU_DEP_4) | instskip(SKIP_1) | instid1(VALU_DEP_3)
	v_cndmask_b32_e32 v3, v3, v9, vcc_lo
	v_xor_b32_e32 v9, s21, v15
	v_xor_b32_e32 v1, v1, v5
	s_delay_alu instid0(VALU_DEP_2) | instskip(NEXT) | instid1(VALU_DEP_2)
	v_xor_b32_e32 v3, v3, v9
	v_sub_co_u32 v10, vcc_lo, v1, v5
	s_delay_alu instid0(VALU_DEP_2)
	v_sub_co_ci_u32_e32 v11, vcc_lo, v3, v9, vcc_lo
.LBB80_30:                              ;   in Loop: Header=BB80_24 Depth=2
	s_and_not1_saveexec_b32 s0, s14
	s_cbranch_execz .LBB80_32
; %bb.31:                               ;   in Loop: Header=BB80_24 Depth=2
	v_cvt_f32_u32_e32 v1, s42
	s_sub_i32 s14, 0, s42
	v_mov_b32_e32 v11, v2
	s_delay_alu instid0(VALU_DEP_2) | instskip(SKIP_2) | instid1(VALU_DEP_1)
	v_rcp_iflag_f32_e32 v1, v1
	s_waitcnt_depctr 0xfff
	v_mul_f32_e32 v1, 0x4f7ffffe, v1
	v_cvt_u32_f32_e32 v1, v1
	s_delay_alu instid0(VALU_DEP_1) | instskip(NEXT) | instid1(VALU_DEP_1)
	v_mul_lo_u32 v3, s14, v1
	v_mul_hi_u32 v3, v1, v3
	s_delay_alu instid0(VALU_DEP_1) | instskip(NEXT) | instid1(VALU_DEP_1)
	v_add_nc_u32_e32 v1, v1, v3
	v_mul_hi_u32 v1, v8, v1
	s_delay_alu instid0(VALU_DEP_1) | instskip(SKIP_1) | instid1(VALU_DEP_2)
	v_mul_lo_u32 v3, v1, s42
	v_add_nc_u32_e32 v5, 1, v1
	v_sub_nc_u32_e32 v3, v8, v3
	s_delay_alu instid0(VALU_DEP_1) | instskip(SKIP_1) | instid1(VALU_DEP_2)
	v_subrev_nc_u32_e32 v9, s42, v3
	v_cmp_le_u32_e32 vcc_lo, s42, v3
	v_cndmask_b32_e32 v3, v3, v9, vcc_lo
	v_cndmask_b32_e32 v1, v1, v5, vcc_lo
	s_delay_alu instid0(VALU_DEP_2) | instskip(NEXT) | instid1(VALU_DEP_2)
	v_cmp_le_u32_e32 vcc_lo, s42, v3
	v_add_nc_u32_e32 v5, 1, v1
	s_delay_alu instid0(VALU_DEP_1)
	v_cndmask_b32_e32 v10, v1, v5, vcc_lo
.LBB80_32:                              ;   in Loop: Header=BB80_24 Depth=2
	s_or_b32 exec_lo, exec_lo, s0
	s_add_u32 s20, s30, s18
	s_addc_u32 s21, s1, s19
	s_add_i32 s14, s16, 5
                                        ; implicit-def: $vgpr12_vgpr13
	s_delay_alu instid0(SALU_CYCLE_1)
	s_lshl_b64 s[18:19], s[14:15], 2
	s_mov_b32 s14, exec_lo
	s_add_u32 s22, s26, s18
	s_addc_u32 s23, s27, s19
	s_clause 0x1
	s_load_b32 s44, s[22:23], 0x0
	s_load_b32 s43, s[20:21], 0x0
	s_waitcnt lgkmcnt(0)
	s_ashr_i32 s0, s44, 31
	s_delay_alu instid0(SALU_CYCLE_1) | instskip(NEXT) | instid1(VALU_DEP_1)
	v_or_b32_e32 v3, s0, v11
	v_cmpx_ne_u64_e32 0, v[2:3]
	s_xor_b32 s14, exec_lo, s14
	s_cbranch_execz .LBB80_34
; %bb.33:                               ;   in Loop: Header=BB80_24 Depth=2
	s_add_u32 s22, s44, s0
	s_mov_b32 s20, s0
	s_mov_b32 s21, s0
	s_addc_u32 s23, s0, s0
	v_ashrrev_i32_e32 v17, 31, v11
	s_xor_b64 s[22:23], s[22:23], s[20:21]
	s_delay_alu instid0(SALU_CYCLE_1) | instskip(SKIP_3) | instid1(VALU_DEP_1)
	v_cvt_f32_u32_e32 v1, s22
	v_cvt_f32_u32_e32 v3, s23
	s_sub_u32 s0, 0, s22
	s_subb_u32 s17, 0, s23
	v_fmac_f32_e32 v1, 0x4f800000, v3
	s_delay_alu instid0(VALU_DEP_1) | instskip(SKIP_2) | instid1(VALU_DEP_1)
	v_rcp_f32_e32 v1, v1
	s_waitcnt_depctr 0xfff
	v_mul_f32_e32 v1, 0x5f7ffffc, v1
	v_mul_f32_e32 v3, 0x2f800000, v1
	s_delay_alu instid0(VALU_DEP_1) | instskip(NEXT) | instid1(VALU_DEP_1)
	v_trunc_f32_e32 v3, v3
	v_fmac_f32_e32 v1, 0xcf800000, v3
	v_cvt_u32_f32_e32 v3, v3
	s_delay_alu instid0(VALU_DEP_2) | instskip(NEXT) | instid1(VALU_DEP_2)
	v_cvt_u32_f32_e32 v1, v1
	v_mul_lo_u32 v5, s0, v3
	s_delay_alu instid0(VALU_DEP_2) | instskip(SKIP_1) | instid1(VALU_DEP_2)
	v_mul_hi_u32 v9, s0, v1
	v_mul_lo_u32 v12, s17, v1
	v_add_nc_u32_e32 v5, v9, v5
	v_mul_lo_u32 v9, s0, v1
	s_delay_alu instid0(VALU_DEP_2) | instskip(NEXT) | instid1(VALU_DEP_2)
	v_add_nc_u32_e32 v5, v5, v12
	v_mul_hi_u32 v12, v1, v9
	s_delay_alu instid0(VALU_DEP_2)
	v_mul_lo_u32 v13, v1, v5
	v_mul_hi_u32 v14, v1, v5
	v_mul_hi_u32 v15, v3, v9
	v_mul_lo_u32 v9, v3, v9
	v_mul_hi_u32 v16, v3, v5
	v_mul_lo_u32 v5, v3, v5
	v_add_co_u32 v12, vcc_lo, v12, v13
	v_add_co_ci_u32_e32 v13, vcc_lo, 0, v14, vcc_lo
	s_delay_alu instid0(VALU_DEP_2) | instskip(NEXT) | instid1(VALU_DEP_2)
	v_add_co_u32 v9, vcc_lo, v12, v9
	v_add_co_ci_u32_e32 v9, vcc_lo, v13, v15, vcc_lo
	v_add_co_ci_u32_e32 v12, vcc_lo, 0, v16, vcc_lo
	s_delay_alu instid0(VALU_DEP_2) | instskip(NEXT) | instid1(VALU_DEP_2)
	v_add_co_u32 v5, vcc_lo, v9, v5
	v_add_co_ci_u32_e32 v9, vcc_lo, 0, v12, vcc_lo
	s_delay_alu instid0(VALU_DEP_2) | instskip(NEXT) | instid1(VALU_DEP_2)
	v_add_co_u32 v1, vcc_lo, v1, v5
	v_add_co_ci_u32_e32 v3, vcc_lo, v3, v9, vcc_lo
	s_delay_alu instid0(VALU_DEP_2) | instskip(SKIP_1) | instid1(VALU_DEP_3)
	v_mul_hi_u32 v5, s0, v1
	v_mul_lo_u32 v12, s17, v1
	v_mul_lo_u32 v9, s0, v3
	s_delay_alu instid0(VALU_DEP_1) | instskip(SKIP_1) | instid1(VALU_DEP_2)
	v_add_nc_u32_e32 v5, v5, v9
	v_mul_lo_u32 v9, s0, v1
	v_add_nc_u32_e32 v5, v5, v12
	s_delay_alu instid0(VALU_DEP_2) | instskip(NEXT) | instid1(VALU_DEP_2)
	v_mul_hi_u32 v12, v1, v9
	v_mul_lo_u32 v13, v1, v5
	v_mul_hi_u32 v14, v1, v5
	v_mul_hi_u32 v15, v3, v9
	v_mul_lo_u32 v9, v3, v9
	v_mul_hi_u32 v16, v3, v5
	v_mul_lo_u32 v5, v3, v5
	v_add_co_u32 v12, vcc_lo, v12, v13
	v_add_co_ci_u32_e32 v13, vcc_lo, 0, v14, vcc_lo
	s_delay_alu instid0(VALU_DEP_2) | instskip(NEXT) | instid1(VALU_DEP_2)
	v_add_co_u32 v9, vcc_lo, v12, v9
	v_add_co_ci_u32_e32 v9, vcc_lo, v13, v15, vcc_lo
	v_add_co_ci_u32_e32 v12, vcc_lo, 0, v16, vcc_lo
	v_add_co_u32 v13, vcc_lo, v10, v17
	v_add_co_ci_u32_e32 v11, vcc_lo, v11, v17, vcc_lo
	s_delay_alu instid0(VALU_DEP_4) | instskip(NEXT) | instid1(VALU_DEP_4)
	v_add_co_u32 v5, vcc_lo, v9, v5
	v_add_co_ci_u32_e32 v9, vcc_lo, 0, v12, vcc_lo
	s_delay_alu instid0(VALU_DEP_4) | instskip(NEXT) | instid1(VALU_DEP_3)
	v_xor_b32_e32 v18, v13, v17
	v_add_co_u32 v1, vcc_lo, v1, v5
	s_delay_alu instid0(VALU_DEP_3) | instskip(SKIP_1) | instid1(VALU_DEP_3)
	v_add_co_ci_u32_e32 v3, vcc_lo, v3, v9, vcc_lo
	v_xor_b32_e32 v5, v11, v17
	v_mul_hi_u32 v9, v18, v1
	s_delay_alu instid0(VALU_DEP_3) | instskip(NEXT) | instid1(VALU_DEP_3)
	v_mad_u64_u32 v[11:12], null, v18, v3, 0
	v_mad_u64_u32 v[13:14], null, v5, v1, 0
	;; [unrolled: 1-line block ×3, first 2 shown]
	s_delay_alu instid0(VALU_DEP_3) | instskip(NEXT) | instid1(VALU_DEP_4)
	v_add_co_u32 v1, vcc_lo, v9, v11
	v_add_co_ci_u32_e32 v3, vcc_lo, 0, v12, vcc_lo
	s_delay_alu instid0(VALU_DEP_2) | instskip(NEXT) | instid1(VALU_DEP_2)
	v_add_co_u32 v1, vcc_lo, v1, v13
	v_add_co_ci_u32_e32 v1, vcc_lo, v3, v14, vcc_lo
	v_add_co_ci_u32_e32 v3, vcc_lo, 0, v16, vcc_lo
	s_delay_alu instid0(VALU_DEP_2) | instskip(NEXT) | instid1(VALU_DEP_2)
	v_add_co_u32 v1, vcc_lo, v1, v15
	v_add_co_ci_u32_e32 v3, vcc_lo, 0, v3, vcc_lo
	s_delay_alu instid0(VALU_DEP_2) | instskip(SKIP_1) | instid1(VALU_DEP_3)
	v_mul_lo_u32 v9, s23, v1
	v_mad_u64_u32 v[11:12], null, s22, v1, 0
	v_mul_lo_u32 v13, s22, v3
	s_delay_alu instid0(VALU_DEP_2) | instskip(NEXT) | instid1(VALU_DEP_2)
	v_sub_co_u32 v11, vcc_lo, v18, v11
	v_add3_u32 v9, v12, v13, v9
	s_delay_alu instid0(VALU_DEP_1) | instskip(NEXT) | instid1(VALU_DEP_1)
	v_sub_nc_u32_e32 v12, v5, v9
	v_subrev_co_ci_u32_e64 v12, s0, s23, v12, vcc_lo
	v_add_co_u32 v13, s0, v1, 2
	s_delay_alu instid0(VALU_DEP_1) | instskip(SKIP_3) | instid1(VALU_DEP_3)
	v_add_co_ci_u32_e64 v14, s0, 0, v3, s0
	v_sub_co_u32 v15, s0, v11, s22
	v_sub_co_ci_u32_e32 v5, vcc_lo, v5, v9, vcc_lo
	v_subrev_co_ci_u32_e64 v12, s0, 0, v12, s0
	v_cmp_le_u32_e32 vcc_lo, s22, v15
	s_delay_alu instid0(VALU_DEP_3) | instskip(SKIP_1) | instid1(VALU_DEP_4)
	v_cmp_eq_u32_e64 s0, s23, v5
	v_cndmask_b32_e64 v9, 0, -1, vcc_lo
	v_cmp_le_u32_e32 vcc_lo, s23, v12
	v_cndmask_b32_e64 v15, 0, -1, vcc_lo
	v_cmp_le_u32_e32 vcc_lo, s22, v11
	;; [unrolled: 2-line block ×3, first 2 shown]
	v_cndmask_b32_e64 v16, 0, -1, vcc_lo
	v_cmp_eq_u32_e32 vcc_lo, s23, v12
	s_delay_alu instid0(VALU_DEP_2) | instskip(SKIP_3) | instid1(VALU_DEP_3)
	v_cndmask_b32_e64 v5, v16, v11, s0
	v_cndmask_b32_e32 v9, v15, v9, vcc_lo
	v_add_co_u32 v12, vcc_lo, v1, 1
	v_add_co_ci_u32_e32 v15, vcc_lo, 0, v3, vcc_lo
	v_cmp_ne_u32_e32 vcc_lo, 0, v9
	s_delay_alu instid0(VALU_DEP_2) | instskip(NEXT) | instid1(VALU_DEP_4)
	v_cndmask_b32_e32 v9, v15, v14, vcc_lo
	v_cndmask_b32_e32 v11, v12, v13, vcc_lo
	v_cmp_ne_u32_e32 vcc_lo, 0, v5
	v_xor_b32_e32 v5, s20, v17
	s_delay_alu instid0(VALU_DEP_3) | instskip(SKIP_2) | instid1(VALU_DEP_3)
	v_cndmask_b32_e32 v1, v1, v11, vcc_lo
	v_cndmask_b32_e32 v3, v3, v9, vcc_lo
	v_xor_b32_e32 v9, s21, v17
	v_xor_b32_e32 v1, v1, v5
	s_delay_alu instid0(VALU_DEP_2) | instskip(NEXT) | instid1(VALU_DEP_2)
	v_xor_b32_e32 v3, v3, v9
	v_sub_co_u32 v12, vcc_lo, v1, v5
	s_delay_alu instid0(VALU_DEP_2)
	v_sub_co_ci_u32_e32 v13, vcc_lo, v3, v9, vcc_lo
.LBB80_34:                              ;   in Loop: Header=BB80_24 Depth=2
	s_and_not1_saveexec_b32 s0, s14
	s_cbranch_execz .LBB80_36
; %bb.35:                               ;   in Loop: Header=BB80_24 Depth=2
	v_cvt_f32_u32_e32 v1, s44
	s_sub_i32 s14, 0, s44
	v_mov_b32_e32 v13, v2
	s_delay_alu instid0(VALU_DEP_2) | instskip(SKIP_2) | instid1(VALU_DEP_1)
	v_rcp_iflag_f32_e32 v1, v1
	s_waitcnt_depctr 0xfff
	v_mul_f32_e32 v1, 0x4f7ffffe, v1
	v_cvt_u32_f32_e32 v1, v1
	s_delay_alu instid0(VALU_DEP_1) | instskip(NEXT) | instid1(VALU_DEP_1)
	v_mul_lo_u32 v3, s14, v1
	v_mul_hi_u32 v3, v1, v3
	s_delay_alu instid0(VALU_DEP_1) | instskip(NEXT) | instid1(VALU_DEP_1)
	v_add_nc_u32_e32 v1, v1, v3
	v_mul_hi_u32 v1, v10, v1
	s_delay_alu instid0(VALU_DEP_1) | instskip(SKIP_1) | instid1(VALU_DEP_2)
	v_mul_lo_u32 v3, v1, s44
	v_add_nc_u32_e32 v5, 1, v1
	v_sub_nc_u32_e32 v3, v10, v3
	s_delay_alu instid0(VALU_DEP_1) | instskip(SKIP_1) | instid1(VALU_DEP_2)
	v_subrev_nc_u32_e32 v9, s44, v3
	v_cmp_le_u32_e32 vcc_lo, s44, v3
	v_cndmask_b32_e32 v3, v3, v9, vcc_lo
	v_cndmask_b32_e32 v1, v1, v5, vcc_lo
	s_delay_alu instid0(VALU_DEP_2) | instskip(NEXT) | instid1(VALU_DEP_2)
	v_cmp_le_u32_e32 vcc_lo, s44, v3
	v_add_nc_u32_e32 v5, 1, v1
	s_delay_alu instid0(VALU_DEP_1)
	v_cndmask_b32_e32 v12, v1, v5, vcc_lo
.LBB80_36:                              ;   in Loop: Header=BB80_24 Depth=2
	s_or_b32 exec_lo, exec_lo, s0
	s_add_u32 s20, s30, s18
	s_addc_u32 s21, s1, s19
	s_add_i32 s14, s16, 4
                                        ; implicit-def: $vgpr14_vgpr15
	s_delay_alu instid0(SALU_CYCLE_1)
	s_lshl_b64 s[18:19], s[14:15], 2
	s_mov_b32 s14, exec_lo
	s_add_u32 s22, s26, s18
	s_addc_u32 s23, s27, s19
	s_clause 0x1
	s_load_b32 s46, s[22:23], 0x0
	s_load_b32 s45, s[20:21], 0x0
	s_waitcnt lgkmcnt(0)
	s_ashr_i32 s0, s46, 31
	s_delay_alu instid0(SALU_CYCLE_1) | instskip(NEXT) | instid1(VALU_DEP_1)
	v_or_b32_e32 v3, s0, v13
	v_cmpx_ne_u64_e32 0, v[2:3]
	s_xor_b32 s14, exec_lo, s14
	s_cbranch_execz .LBB80_38
; %bb.37:                               ;   in Loop: Header=BB80_24 Depth=2
	s_add_u32 s22, s46, s0
	s_mov_b32 s20, s0
	s_mov_b32 s21, s0
	s_addc_u32 s23, s0, s0
	v_ashrrev_i32_e32 v19, 31, v13
	s_xor_b64 s[22:23], s[22:23], s[20:21]
	s_delay_alu instid0(SALU_CYCLE_1) | instskip(SKIP_3) | instid1(VALU_DEP_1)
	v_cvt_f32_u32_e32 v1, s22
	v_cvt_f32_u32_e32 v3, s23
	s_sub_u32 s0, 0, s22
	s_subb_u32 s17, 0, s23
	v_fmac_f32_e32 v1, 0x4f800000, v3
	s_delay_alu instid0(VALU_DEP_1) | instskip(SKIP_2) | instid1(VALU_DEP_1)
	v_rcp_f32_e32 v1, v1
	s_waitcnt_depctr 0xfff
	v_mul_f32_e32 v1, 0x5f7ffffc, v1
	v_mul_f32_e32 v3, 0x2f800000, v1
	s_delay_alu instid0(VALU_DEP_1) | instskip(NEXT) | instid1(VALU_DEP_1)
	v_trunc_f32_e32 v3, v3
	v_fmac_f32_e32 v1, 0xcf800000, v3
	v_cvt_u32_f32_e32 v3, v3
	s_delay_alu instid0(VALU_DEP_2) | instskip(NEXT) | instid1(VALU_DEP_2)
	v_cvt_u32_f32_e32 v1, v1
	v_mul_lo_u32 v5, s0, v3
	s_delay_alu instid0(VALU_DEP_2) | instskip(SKIP_1) | instid1(VALU_DEP_2)
	v_mul_hi_u32 v9, s0, v1
	v_mul_lo_u32 v11, s17, v1
	v_add_nc_u32_e32 v5, v9, v5
	v_mul_lo_u32 v9, s0, v1
	s_delay_alu instid0(VALU_DEP_2) | instskip(NEXT) | instid1(VALU_DEP_2)
	v_add_nc_u32_e32 v5, v5, v11
	v_mul_hi_u32 v11, v1, v9
	s_delay_alu instid0(VALU_DEP_2)
	v_mul_lo_u32 v14, v1, v5
	v_mul_hi_u32 v15, v1, v5
	v_mul_hi_u32 v16, v3, v9
	v_mul_lo_u32 v9, v3, v9
	v_mul_hi_u32 v17, v3, v5
	v_mul_lo_u32 v5, v3, v5
	v_add_co_u32 v11, vcc_lo, v11, v14
	v_add_co_ci_u32_e32 v14, vcc_lo, 0, v15, vcc_lo
	s_delay_alu instid0(VALU_DEP_2) | instskip(NEXT) | instid1(VALU_DEP_2)
	v_add_co_u32 v9, vcc_lo, v11, v9
	v_add_co_ci_u32_e32 v9, vcc_lo, v14, v16, vcc_lo
	v_add_co_ci_u32_e32 v11, vcc_lo, 0, v17, vcc_lo
	s_delay_alu instid0(VALU_DEP_2) | instskip(NEXT) | instid1(VALU_DEP_2)
	v_add_co_u32 v5, vcc_lo, v9, v5
	v_add_co_ci_u32_e32 v9, vcc_lo, 0, v11, vcc_lo
	s_delay_alu instid0(VALU_DEP_2) | instskip(NEXT) | instid1(VALU_DEP_2)
	v_add_co_u32 v1, vcc_lo, v1, v5
	v_add_co_ci_u32_e32 v3, vcc_lo, v3, v9, vcc_lo
	s_delay_alu instid0(VALU_DEP_2) | instskip(SKIP_1) | instid1(VALU_DEP_3)
	v_mul_hi_u32 v5, s0, v1
	v_mul_lo_u32 v11, s17, v1
	v_mul_lo_u32 v9, s0, v3
	s_delay_alu instid0(VALU_DEP_1) | instskip(SKIP_1) | instid1(VALU_DEP_2)
	v_add_nc_u32_e32 v5, v5, v9
	v_mul_lo_u32 v9, s0, v1
	v_add_nc_u32_e32 v5, v5, v11
	s_delay_alu instid0(VALU_DEP_2) | instskip(NEXT) | instid1(VALU_DEP_2)
	v_mul_hi_u32 v11, v1, v9
	v_mul_lo_u32 v14, v1, v5
	v_mul_hi_u32 v15, v1, v5
	v_mul_hi_u32 v16, v3, v9
	v_mul_lo_u32 v9, v3, v9
	v_mul_hi_u32 v17, v3, v5
	v_mul_lo_u32 v5, v3, v5
	v_add_co_u32 v11, vcc_lo, v11, v14
	v_add_co_ci_u32_e32 v14, vcc_lo, 0, v15, vcc_lo
	s_delay_alu instid0(VALU_DEP_2) | instskip(NEXT) | instid1(VALU_DEP_2)
	v_add_co_u32 v9, vcc_lo, v11, v9
	v_add_co_ci_u32_e32 v9, vcc_lo, v14, v16, vcc_lo
	v_add_co_ci_u32_e32 v11, vcc_lo, 0, v17, vcc_lo
	v_add_co_u32 v14, vcc_lo, v12, v19
	v_add_co_ci_u32_e32 v13, vcc_lo, v13, v19, vcc_lo
	s_delay_alu instid0(VALU_DEP_4) | instskip(NEXT) | instid1(VALU_DEP_4)
	v_add_co_u32 v5, vcc_lo, v9, v5
	v_add_co_ci_u32_e32 v9, vcc_lo, 0, v11, vcc_lo
	s_delay_alu instid0(VALU_DEP_4) | instskip(NEXT) | instid1(VALU_DEP_3)
	v_xor_b32_e32 v11, v14, v19
	v_add_co_u32 v1, vcc_lo, v1, v5
	s_delay_alu instid0(VALU_DEP_3) | instskip(SKIP_1) | instid1(VALU_DEP_3)
	v_add_co_ci_u32_e32 v3, vcc_lo, v3, v9, vcc_lo
	v_xor_b32_e32 v5, v13, v19
	v_mul_hi_u32 v9, v11, v1
	s_delay_alu instid0(VALU_DEP_3) | instskip(NEXT) | instid1(VALU_DEP_3)
	v_mad_u64_u32 v[13:14], null, v11, v3, 0
	v_mad_u64_u32 v[15:16], null, v5, v1, 0
	;; [unrolled: 1-line block ×3, first 2 shown]
	s_delay_alu instid0(VALU_DEP_3) | instskip(NEXT) | instid1(VALU_DEP_4)
	v_add_co_u32 v1, vcc_lo, v9, v13
	v_add_co_ci_u32_e32 v3, vcc_lo, 0, v14, vcc_lo
	s_delay_alu instid0(VALU_DEP_2) | instskip(NEXT) | instid1(VALU_DEP_2)
	v_add_co_u32 v1, vcc_lo, v1, v15
	v_add_co_ci_u32_e32 v1, vcc_lo, v3, v16, vcc_lo
	v_add_co_ci_u32_e32 v3, vcc_lo, 0, v18, vcc_lo
	s_delay_alu instid0(VALU_DEP_2) | instskip(NEXT) | instid1(VALU_DEP_2)
	v_add_co_u32 v1, vcc_lo, v1, v17
	v_add_co_ci_u32_e32 v3, vcc_lo, 0, v3, vcc_lo
	s_delay_alu instid0(VALU_DEP_2) | instskip(SKIP_1) | instid1(VALU_DEP_3)
	v_mul_lo_u32 v9, s23, v1
	v_mad_u64_u32 v[13:14], null, s22, v1, 0
	v_mul_lo_u32 v15, s22, v3
	s_delay_alu instid0(VALU_DEP_2) | instskip(NEXT) | instid1(VALU_DEP_2)
	v_sub_co_u32 v11, vcc_lo, v11, v13
	v_add3_u32 v9, v14, v15, v9
	s_delay_alu instid0(VALU_DEP_1) | instskip(NEXT) | instid1(VALU_DEP_1)
	v_sub_nc_u32_e32 v14, v5, v9
	v_subrev_co_ci_u32_e64 v13, s0, s23, v14, vcc_lo
	v_add_co_u32 v14, s0, v1, 2
	s_delay_alu instid0(VALU_DEP_1) | instskip(SKIP_3) | instid1(VALU_DEP_3)
	v_add_co_ci_u32_e64 v15, s0, 0, v3, s0
	v_sub_co_u32 v16, s0, v11, s22
	v_sub_co_ci_u32_e32 v5, vcc_lo, v5, v9, vcc_lo
	v_subrev_co_ci_u32_e64 v13, s0, 0, v13, s0
	v_cmp_le_u32_e32 vcc_lo, s22, v16
	s_delay_alu instid0(VALU_DEP_3) | instskip(SKIP_1) | instid1(VALU_DEP_4)
	v_cmp_eq_u32_e64 s0, s23, v5
	v_cndmask_b32_e64 v9, 0, -1, vcc_lo
	v_cmp_le_u32_e32 vcc_lo, s23, v13
	v_cndmask_b32_e64 v16, 0, -1, vcc_lo
	v_cmp_le_u32_e32 vcc_lo, s22, v11
	v_cndmask_b32_e64 v11, 0, -1, vcc_lo
	v_cmp_le_u32_e32 vcc_lo, s23, v5
	v_cndmask_b32_e64 v17, 0, -1, vcc_lo
	v_cmp_eq_u32_e32 vcc_lo, s23, v13
	s_delay_alu instid0(VALU_DEP_2) | instskip(SKIP_3) | instid1(VALU_DEP_3)
	v_cndmask_b32_e64 v5, v17, v11, s0
	v_cndmask_b32_e32 v9, v16, v9, vcc_lo
	v_add_co_u32 v13, vcc_lo, v1, 1
	v_add_co_ci_u32_e32 v16, vcc_lo, 0, v3, vcc_lo
	v_cmp_ne_u32_e32 vcc_lo, 0, v9
	s_delay_alu instid0(VALU_DEP_2) | instskip(NEXT) | instid1(VALU_DEP_4)
	v_cndmask_b32_e32 v9, v16, v15, vcc_lo
	v_cndmask_b32_e32 v11, v13, v14, vcc_lo
	v_cmp_ne_u32_e32 vcc_lo, 0, v5
	v_xor_b32_e32 v5, s20, v19
	s_delay_alu instid0(VALU_DEP_3) | instskip(SKIP_2) | instid1(VALU_DEP_3)
	v_cndmask_b32_e32 v1, v1, v11, vcc_lo
	v_cndmask_b32_e32 v3, v3, v9, vcc_lo
	v_xor_b32_e32 v9, s21, v19
	v_xor_b32_e32 v1, v1, v5
	s_delay_alu instid0(VALU_DEP_2) | instskip(NEXT) | instid1(VALU_DEP_2)
	v_xor_b32_e32 v3, v3, v9
	v_sub_co_u32 v14, vcc_lo, v1, v5
	s_delay_alu instid0(VALU_DEP_2)
	v_sub_co_ci_u32_e32 v15, vcc_lo, v3, v9, vcc_lo
.LBB80_38:                              ;   in Loop: Header=BB80_24 Depth=2
	s_and_not1_saveexec_b32 s0, s14
	s_cbranch_execz .LBB80_40
; %bb.39:                               ;   in Loop: Header=BB80_24 Depth=2
	v_cvt_f32_u32_e32 v1, s46
	s_sub_i32 s14, 0, s46
	v_mov_b32_e32 v15, v2
	s_delay_alu instid0(VALU_DEP_2) | instskip(SKIP_2) | instid1(VALU_DEP_1)
	v_rcp_iflag_f32_e32 v1, v1
	s_waitcnt_depctr 0xfff
	v_mul_f32_e32 v1, 0x4f7ffffe, v1
	v_cvt_u32_f32_e32 v1, v1
	s_delay_alu instid0(VALU_DEP_1) | instskip(NEXT) | instid1(VALU_DEP_1)
	v_mul_lo_u32 v3, s14, v1
	v_mul_hi_u32 v3, v1, v3
	s_delay_alu instid0(VALU_DEP_1) | instskip(NEXT) | instid1(VALU_DEP_1)
	v_add_nc_u32_e32 v1, v1, v3
	v_mul_hi_u32 v1, v12, v1
	s_delay_alu instid0(VALU_DEP_1) | instskip(SKIP_1) | instid1(VALU_DEP_2)
	v_mul_lo_u32 v3, v1, s46
	v_add_nc_u32_e32 v5, 1, v1
	v_sub_nc_u32_e32 v3, v12, v3
	s_delay_alu instid0(VALU_DEP_1) | instskip(SKIP_1) | instid1(VALU_DEP_2)
	v_subrev_nc_u32_e32 v9, s46, v3
	v_cmp_le_u32_e32 vcc_lo, s46, v3
	v_cndmask_b32_e32 v3, v3, v9, vcc_lo
	v_cndmask_b32_e32 v1, v1, v5, vcc_lo
	s_delay_alu instid0(VALU_DEP_2) | instskip(NEXT) | instid1(VALU_DEP_2)
	v_cmp_le_u32_e32 vcc_lo, s46, v3
	v_add_nc_u32_e32 v5, 1, v1
	s_delay_alu instid0(VALU_DEP_1)
	v_cndmask_b32_e32 v14, v1, v5, vcc_lo
.LBB80_40:                              ;   in Loop: Header=BB80_24 Depth=2
	s_or_b32 exec_lo, exec_lo, s0
	s_add_u32 s20, s30, s18
	s_addc_u32 s21, s1, s19
	s_add_i32 s14, s16, 3
                                        ; implicit-def: $vgpr16_vgpr17
	s_delay_alu instid0(SALU_CYCLE_1)
	s_lshl_b64 s[18:19], s[14:15], 2
	s_mov_b32 s14, exec_lo
	s_add_u32 s22, s26, s18
	s_addc_u32 s23, s27, s19
	s_clause 0x1
	s_load_b32 s48, s[22:23], 0x0
	s_load_b32 s47, s[20:21], 0x0
	s_waitcnt lgkmcnt(0)
	s_ashr_i32 s0, s48, 31
	s_delay_alu instid0(SALU_CYCLE_1) | instskip(NEXT) | instid1(VALU_DEP_1)
	v_or_b32_e32 v3, s0, v15
	v_cmpx_ne_u64_e32 0, v[2:3]
	s_xor_b32 s14, exec_lo, s14
	s_cbranch_execz .LBB80_42
; %bb.41:                               ;   in Loop: Header=BB80_24 Depth=2
	s_add_u32 s22, s48, s0
	s_mov_b32 s20, s0
	s_mov_b32 s21, s0
	s_addc_u32 s23, s0, s0
	v_ashrrev_i32_e32 v21, 31, v15
	s_xor_b64 s[22:23], s[22:23], s[20:21]
	s_delay_alu instid0(SALU_CYCLE_1) | instskip(SKIP_3) | instid1(VALU_DEP_1)
	v_cvt_f32_u32_e32 v1, s22
	v_cvt_f32_u32_e32 v3, s23
	s_sub_u32 s0, 0, s22
	s_subb_u32 s17, 0, s23
	v_fmac_f32_e32 v1, 0x4f800000, v3
	s_delay_alu instid0(VALU_DEP_1) | instskip(SKIP_2) | instid1(VALU_DEP_1)
	v_rcp_f32_e32 v1, v1
	s_waitcnt_depctr 0xfff
	v_mul_f32_e32 v1, 0x5f7ffffc, v1
	v_mul_f32_e32 v3, 0x2f800000, v1
	s_delay_alu instid0(VALU_DEP_1) | instskip(NEXT) | instid1(VALU_DEP_1)
	v_trunc_f32_e32 v3, v3
	v_fmac_f32_e32 v1, 0xcf800000, v3
	v_cvt_u32_f32_e32 v3, v3
	s_delay_alu instid0(VALU_DEP_2) | instskip(NEXT) | instid1(VALU_DEP_2)
	v_cvt_u32_f32_e32 v1, v1
	v_mul_lo_u32 v5, s0, v3
	s_delay_alu instid0(VALU_DEP_2) | instskip(SKIP_1) | instid1(VALU_DEP_2)
	v_mul_hi_u32 v9, s0, v1
	v_mul_lo_u32 v11, s17, v1
	v_add_nc_u32_e32 v5, v9, v5
	v_mul_lo_u32 v9, s0, v1
	s_delay_alu instid0(VALU_DEP_2) | instskip(NEXT) | instid1(VALU_DEP_2)
	v_add_nc_u32_e32 v5, v5, v11
	v_mul_hi_u32 v11, v1, v9
	s_delay_alu instid0(VALU_DEP_2)
	v_mul_lo_u32 v13, v1, v5
	v_mul_hi_u32 v16, v1, v5
	v_mul_hi_u32 v17, v3, v9
	v_mul_lo_u32 v9, v3, v9
	v_mul_hi_u32 v18, v3, v5
	v_mul_lo_u32 v5, v3, v5
	v_add_co_u32 v11, vcc_lo, v11, v13
	v_add_co_ci_u32_e32 v13, vcc_lo, 0, v16, vcc_lo
	s_delay_alu instid0(VALU_DEP_2) | instskip(NEXT) | instid1(VALU_DEP_2)
	v_add_co_u32 v9, vcc_lo, v11, v9
	v_add_co_ci_u32_e32 v9, vcc_lo, v13, v17, vcc_lo
	v_add_co_ci_u32_e32 v11, vcc_lo, 0, v18, vcc_lo
	s_delay_alu instid0(VALU_DEP_2) | instskip(NEXT) | instid1(VALU_DEP_2)
	v_add_co_u32 v5, vcc_lo, v9, v5
	v_add_co_ci_u32_e32 v9, vcc_lo, 0, v11, vcc_lo
	s_delay_alu instid0(VALU_DEP_2) | instskip(NEXT) | instid1(VALU_DEP_2)
	v_add_co_u32 v1, vcc_lo, v1, v5
	v_add_co_ci_u32_e32 v3, vcc_lo, v3, v9, vcc_lo
	s_delay_alu instid0(VALU_DEP_2) | instskip(SKIP_1) | instid1(VALU_DEP_3)
	v_mul_hi_u32 v5, s0, v1
	v_mul_lo_u32 v11, s17, v1
	v_mul_lo_u32 v9, s0, v3
	s_delay_alu instid0(VALU_DEP_1) | instskip(SKIP_1) | instid1(VALU_DEP_2)
	v_add_nc_u32_e32 v5, v5, v9
	v_mul_lo_u32 v9, s0, v1
	v_add_nc_u32_e32 v5, v5, v11
	s_delay_alu instid0(VALU_DEP_2) | instskip(NEXT) | instid1(VALU_DEP_2)
	v_mul_hi_u32 v11, v1, v9
	v_mul_lo_u32 v13, v1, v5
	v_mul_hi_u32 v16, v1, v5
	v_mul_hi_u32 v17, v3, v9
	v_mul_lo_u32 v9, v3, v9
	v_mul_hi_u32 v18, v3, v5
	v_mul_lo_u32 v5, v3, v5
	v_add_co_u32 v11, vcc_lo, v11, v13
	v_add_co_ci_u32_e32 v13, vcc_lo, 0, v16, vcc_lo
	s_delay_alu instid0(VALU_DEP_2) | instskip(NEXT) | instid1(VALU_DEP_2)
	v_add_co_u32 v9, vcc_lo, v11, v9
	v_add_co_ci_u32_e32 v9, vcc_lo, v13, v17, vcc_lo
	v_add_co_ci_u32_e32 v11, vcc_lo, 0, v18, vcc_lo
	v_add_co_u32 v13, vcc_lo, v14, v21
	v_add_co_ci_u32_e32 v15, vcc_lo, v15, v21, vcc_lo
	s_delay_alu instid0(VALU_DEP_4) | instskip(NEXT) | instid1(VALU_DEP_4)
	v_add_co_u32 v5, vcc_lo, v9, v5
	v_add_co_ci_u32_e32 v9, vcc_lo, 0, v11, vcc_lo
	s_delay_alu instid0(VALU_DEP_4) | instskip(NEXT) | instid1(VALU_DEP_3)
	v_xor_b32_e32 v11, v13, v21
	v_add_co_u32 v1, vcc_lo, v1, v5
	s_delay_alu instid0(VALU_DEP_3) | instskip(SKIP_1) | instid1(VALU_DEP_3)
	v_add_co_ci_u32_e32 v3, vcc_lo, v3, v9, vcc_lo
	v_xor_b32_e32 v5, v15, v21
	v_mul_hi_u32 v9, v11, v1
	s_delay_alu instid0(VALU_DEP_3) | instskip(NEXT) | instid1(VALU_DEP_3)
	v_mad_u64_u32 v[15:16], null, v11, v3, 0
	v_mad_u64_u32 v[17:18], null, v5, v1, 0
	;; [unrolled: 1-line block ×3, first 2 shown]
	s_delay_alu instid0(VALU_DEP_3) | instskip(NEXT) | instid1(VALU_DEP_4)
	v_add_co_u32 v1, vcc_lo, v9, v15
	v_add_co_ci_u32_e32 v3, vcc_lo, 0, v16, vcc_lo
	s_delay_alu instid0(VALU_DEP_2) | instskip(NEXT) | instid1(VALU_DEP_2)
	v_add_co_u32 v1, vcc_lo, v1, v17
	v_add_co_ci_u32_e32 v1, vcc_lo, v3, v18, vcc_lo
	v_add_co_ci_u32_e32 v3, vcc_lo, 0, v20, vcc_lo
	s_delay_alu instid0(VALU_DEP_2) | instskip(NEXT) | instid1(VALU_DEP_2)
	v_add_co_u32 v1, vcc_lo, v1, v19
	v_add_co_ci_u32_e32 v3, vcc_lo, 0, v3, vcc_lo
	s_delay_alu instid0(VALU_DEP_2) | instskip(SKIP_1) | instid1(VALU_DEP_3)
	v_mul_lo_u32 v9, s23, v1
	v_mad_u64_u32 v[15:16], null, s22, v1, 0
	v_mul_lo_u32 v13, s22, v3
	s_delay_alu instid0(VALU_DEP_2) | instskip(NEXT) | instid1(VALU_DEP_2)
	v_sub_co_u32 v11, vcc_lo, v11, v15
	v_add3_u32 v9, v16, v13, v9
	s_delay_alu instid0(VALU_DEP_1) | instskip(NEXT) | instid1(VALU_DEP_1)
	v_sub_nc_u32_e32 v13, v5, v9
	v_subrev_co_ci_u32_e64 v13, s0, s23, v13, vcc_lo
	v_add_co_u32 v15, s0, v1, 2
	s_delay_alu instid0(VALU_DEP_1) | instskip(SKIP_3) | instid1(VALU_DEP_3)
	v_add_co_ci_u32_e64 v16, s0, 0, v3, s0
	v_sub_co_u32 v17, s0, v11, s22
	v_sub_co_ci_u32_e32 v5, vcc_lo, v5, v9, vcc_lo
	v_subrev_co_ci_u32_e64 v13, s0, 0, v13, s0
	v_cmp_le_u32_e32 vcc_lo, s22, v17
	s_delay_alu instid0(VALU_DEP_3) | instskip(SKIP_1) | instid1(VALU_DEP_4)
	v_cmp_eq_u32_e64 s0, s23, v5
	v_cndmask_b32_e64 v9, 0, -1, vcc_lo
	v_cmp_le_u32_e32 vcc_lo, s23, v13
	v_cndmask_b32_e64 v17, 0, -1, vcc_lo
	v_cmp_le_u32_e32 vcc_lo, s22, v11
	;; [unrolled: 2-line block ×3, first 2 shown]
	v_cndmask_b32_e64 v18, 0, -1, vcc_lo
	v_cmp_eq_u32_e32 vcc_lo, s23, v13
	s_delay_alu instid0(VALU_DEP_2) | instskip(SKIP_3) | instid1(VALU_DEP_3)
	v_cndmask_b32_e64 v5, v18, v11, s0
	v_cndmask_b32_e32 v9, v17, v9, vcc_lo
	v_add_co_u32 v13, vcc_lo, v1, 1
	v_add_co_ci_u32_e32 v17, vcc_lo, 0, v3, vcc_lo
	v_cmp_ne_u32_e32 vcc_lo, 0, v9
	s_delay_alu instid0(VALU_DEP_2) | instskip(NEXT) | instid1(VALU_DEP_4)
	v_cndmask_b32_e32 v9, v17, v16, vcc_lo
	v_cndmask_b32_e32 v11, v13, v15, vcc_lo
	v_cmp_ne_u32_e32 vcc_lo, 0, v5
	v_xor_b32_e32 v5, s20, v21
	s_delay_alu instid0(VALU_DEP_3) | instskip(SKIP_2) | instid1(VALU_DEP_3)
	v_cndmask_b32_e32 v1, v1, v11, vcc_lo
	v_cndmask_b32_e32 v3, v3, v9, vcc_lo
	v_xor_b32_e32 v9, s21, v21
	v_xor_b32_e32 v1, v1, v5
	s_delay_alu instid0(VALU_DEP_2) | instskip(NEXT) | instid1(VALU_DEP_2)
	v_xor_b32_e32 v3, v3, v9
	v_sub_co_u32 v16, vcc_lo, v1, v5
	s_delay_alu instid0(VALU_DEP_2)
	v_sub_co_ci_u32_e32 v17, vcc_lo, v3, v9, vcc_lo
.LBB80_42:                              ;   in Loop: Header=BB80_24 Depth=2
	s_and_not1_saveexec_b32 s0, s14
	s_cbranch_execz .LBB80_44
; %bb.43:                               ;   in Loop: Header=BB80_24 Depth=2
	v_cvt_f32_u32_e32 v1, s48
	s_sub_i32 s14, 0, s48
	v_mov_b32_e32 v17, v2
	s_delay_alu instid0(VALU_DEP_2) | instskip(SKIP_2) | instid1(VALU_DEP_1)
	v_rcp_iflag_f32_e32 v1, v1
	s_waitcnt_depctr 0xfff
	v_mul_f32_e32 v1, 0x4f7ffffe, v1
	v_cvt_u32_f32_e32 v1, v1
	s_delay_alu instid0(VALU_DEP_1) | instskip(NEXT) | instid1(VALU_DEP_1)
	v_mul_lo_u32 v3, s14, v1
	v_mul_hi_u32 v3, v1, v3
	s_delay_alu instid0(VALU_DEP_1) | instskip(NEXT) | instid1(VALU_DEP_1)
	v_add_nc_u32_e32 v1, v1, v3
	v_mul_hi_u32 v1, v14, v1
	s_delay_alu instid0(VALU_DEP_1) | instskip(SKIP_1) | instid1(VALU_DEP_2)
	v_mul_lo_u32 v3, v1, s48
	v_add_nc_u32_e32 v5, 1, v1
	v_sub_nc_u32_e32 v3, v14, v3
	s_delay_alu instid0(VALU_DEP_1) | instskip(SKIP_1) | instid1(VALU_DEP_2)
	v_subrev_nc_u32_e32 v9, s48, v3
	v_cmp_le_u32_e32 vcc_lo, s48, v3
	v_cndmask_b32_e32 v3, v3, v9, vcc_lo
	v_cndmask_b32_e32 v1, v1, v5, vcc_lo
	s_delay_alu instid0(VALU_DEP_2) | instskip(NEXT) | instid1(VALU_DEP_2)
	v_cmp_le_u32_e32 vcc_lo, s48, v3
	v_add_nc_u32_e32 v5, 1, v1
	s_delay_alu instid0(VALU_DEP_1)
	v_cndmask_b32_e32 v16, v1, v5, vcc_lo
.LBB80_44:                              ;   in Loop: Header=BB80_24 Depth=2
	s_or_b32 exec_lo, exec_lo, s0
	s_add_u32 s20, s30, s18
	s_addc_u32 s21, s1, s19
	s_add_i32 s14, s16, 2
                                        ; implicit-def: $vgpr18_vgpr19
	s_delay_alu instid0(SALU_CYCLE_1)
	s_lshl_b64 s[18:19], s[14:15], 2
	s_mov_b32 s14, exec_lo
	s_add_u32 s22, s26, s18
	s_addc_u32 s23, s27, s19
	s_clause 0x1
	s_load_b32 s50, s[22:23], 0x0
	s_load_b32 s49, s[20:21], 0x0
	s_waitcnt lgkmcnt(0)
	s_ashr_i32 s0, s50, 31
	s_delay_alu instid0(SALU_CYCLE_1) | instskip(NEXT) | instid1(VALU_DEP_1)
	v_or_b32_e32 v3, s0, v17
	v_cmpx_ne_u64_e32 0, v[2:3]
	s_xor_b32 s14, exec_lo, s14
	s_cbranch_execz .LBB80_46
; %bb.45:                               ;   in Loop: Header=BB80_24 Depth=2
	s_add_u32 s22, s50, s0
	s_mov_b32 s20, s0
	s_mov_b32 s21, s0
	s_addc_u32 s23, s0, s0
	v_ashrrev_i32_e32 v23, 31, v17
	s_xor_b64 s[22:23], s[22:23], s[20:21]
	s_delay_alu instid0(SALU_CYCLE_1) | instskip(SKIP_3) | instid1(VALU_DEP_1)
	v_cvt_f32_u32_e32 v1, s22
	v_cvt_f32_u32_e32 v3, s23
	s_sub_u32 s0, 0, s22
	s_subb_u32 s17, 0, s23
	v_fmac_f32_e32 v1, 0x4f800000, v3
	s_delay_alu instid0(VALU_DEP_1) | instskip(SKIP_2) | instid1(VALU_DEP_1)
	v_rcp_f32_e32 v1, v1
	s_waitcnt_depctr 0xfff
	v_mul_f32_e32 v1, 0x5f7ffffc, v1
	v_mul_f32_e32 v3, 0x2f800000, v1
	s_delay_alu instid0(VALU_DEP_1) | instskip(NEXT) | instid1(VALU_DEP_1)
	v_trunc_f32_e32 v3, v3
	v_fmac_f32_e32 v1, 0xcf800000, v3
	v_cvt_u32_f32_e32 v3, v3
	s_delay_alu instid0(VALU_DEP_2) | instskip(NEXT) | instid1(VALU_DEP_2)
	v_cvt_u32_f32_e32 v1, v1
	v_mul_lo_u32 v5, s0, v3
	s_delay_alu instid0(VALU_DEP_2) | instskip(SKIP_1) | instid1(VALU_DEP_2)
	v_mul_hi_u32 v9, s0, v1
	v_mul_lo_u32 v11, s17, v1
	v_add_nc_u32_e32 v5, v9, v5
	v_mul_lo_u32 v9, s0, v1
	s_delay_alu instid0(VALU_DEP_2) | instskip(NEXT) | instid1(VALU_DEP_2)
	v_add_nc_u32_e32 v5, v5, v11
	v_mul_hi_u32 v11, v1, v9
	s_delay_alu instid0(VALU_DEP_2)
	v_mul_lo_u32 v13, v1, v5
	v_mul_hi_u32 v15, v1, v5
	v_mul_hi_u32 v18, v3, v9
	v_mul_lo_u32 v9, v3, v9
	v_mul_hi_u32 v19, v3, v5
	v_mul_lo_u32 v5, v3, v5
	v_add_co_u32 v11, vcc_lo, v11, v13
	v_add_co_ci_u32_e32 v13, vcc_lo, 0, v15, vcc_lo
	s_delay_alu instid0(VALU_DEP_2) | instskip(NEXT) | instid1(VALU_DEP_2)
	v_add_co_u32 v9, vcc_lo, v11, v9
	v_add_co_ci_u32_e32 v9, vcc_lo, v13, v18, vcc_lo
	v_add_co_ci_u32_e32 v11, vcc_lo, 0, v19, vcc_lo
	s_delay_alu instid0(VALU_DEP_2) | instskip(NEXT) | instid1(VALU_DEP_2)
	v_add_co_u32 v5, vcc_lo, v9, v5
	v_add_co_ci_u32_e32 v9, vcc_lo, 0, v11, vcc_lo
	s_delay_alu instid0(VALU_DEP_2) | instskip(NEXT) | instid1(VALU_DEP_2)
	v_add_co_u32 v1, vcc_lo, v1, v5
	v_add_co_ci_u32_e32 v3, vcc_lo, v3, v9, vcc_lo
	s_delay_alu instid0(VALU_DEP_2) | instskip(SKIP_1) | instid1(VALU_DEP_3)
	v_mul_hi_u32 v5, s0, v1
	v_mul_lo_u32 v11, s17, v1
	v_mul_lo_u32 v9, s0, v3
	s_delay_alu instid0(VALU_DEP_1) | instskip(SKIP_1) | instid1(VALU_DEP_2)
	v_add_nc_u32_e32 v5, v5, v9
	v_mul_lo_u32 v9, s0, v1
	v_add_nc_u32_e32 v5, v5, v11
	s_delay_alu instid0(VALU_DEP_2) | instskip(NEXT) | instid1(VALU_DEP_2)
	v_mul_hi_u32 v11, v1, v9
	v_mul_lo_u32 v13, v1, v5
	v_mul_hi_u32 v15, v1, v5
	v_mul_hi_u32 v18, v3, v9
	v_mul_lo_u32 v9, v3, v9
	v_mul_hi_u32 v19, v3, v5
	v_mul_lo_u32 v5, v3, v5
	v_add_co_u32 v11, vcc_lo, v11, v13
	v_add_co_ci_u32_e32 v13, vcc_lo, 0, v15, vcc_lo
	s_delay_alu instid0(VALU_DEP_2) | instskip(NEXT) | instid1(VALU_DEP_2)
	v_add_co_u32 v9, vcc_lo, v11, v9
	v_add_co_ci_u32_e32 v9, vcc_lo, v13, v18, vcc_lo
	v_add_co_ci_u32_e32 v11, vcc_lo, 0, v19, vcc_lo
	v_add_co_u32 v13, vcc_lo, v16, v23
	v_add_co_ci_u32_e32 v15, vcc_lo, v17, v23, vcc_lo
	s_delay_alu instid0(VALU_DEP_4) | instskip(NEXT) | instid1(VALU_DEP_4)
	v_add_co_u32 v5, vcc_lo, v9, v5
	v_add_co_ci_u32_e32 v9, vcc_lo, 0, v11, vcc_lo
	s_delay_alu instid0(VALU_DEP_4) | instskip(NEXT) | instid1(VALU_DEP_3)
	v_xor_b32_e32 v11, v13, v23
	v_add_co_u32 v1, vcc_lo, v1, v5
	s_delay_alu instid0(VALU_DEP_3) | instskip(SKIP_1) | instid1(VALU_DEP_3)
	v_add_co_ci_u32_e32 v3, vcc_lo, v3, v9, vcc_lo
	v_xor_b32_e32 v5, v15, v23
	v_mul_hi_u32 v9, v11, v1
	s_delay_alu instid0(VALU_DEP_3) | instskip(NEXT) | instid1(VALU_DEP_3)
	v_mad_u64_u32 v[17:18], null, v11, v3, 0
	v_mad_u64_u32 v[19:20], null, v5, v1, 0
	;; [unrolled: 1-line block ×3, first 2 shown]
	s_delay_alu instid0(VALU_DEP_3) | instskip(NEXT) | instid1(VALU_DEP_4)
	v_add_co_u32 v1, vcc_lo, v9, v17
	v_add_co_ci_u32_e32 v3, vcc_lo, 0, v18, vcc_lo
	s_delay_alu instid0(VALU_DEP_2) | instskip(NEXT) | instid1(VALU_DEP_2)
	v_add_co_u32 v1, vcc_lo, v1, v19
	v_add_co_ci_u32_e32 v1, vcc_lo, v3, v20, vcc_lo
	v_add_co_ci_u32_e32 v3, vcc_lo, 0, v22, vcc_lo
	s_delay_alu instid0(VALU_DEP_2) | instskip(NEXT) | instid1(VALU_DEP_2)
	v_add_co_u32 v1, vcc_lo, v1, v21
	v_add_co_ci_u32_e32 v3, vcc_lo, 0, v3, vcc_lo
	s_delay_alu instid0(VALU_DEP_2) | instskip(SKIP_1) | instid1(VALU_DEP_3)
	v_mul_lo_u32 v9, s23, v1
	v_mad_u64_u32 v[17:18], null, s22, v1, 0
	v_mul_lo_u32 v13, s22, v3
	s_delay_alu instid0(VALU_DEP_2) | instskip(NEXT) | instid1(VALU_DEP_2)
	v_sub_co_u32 v11, vcc_lo, v11, v17
	v_add3_u32 v9, v18, v13, v9
	s_delay_alu instid0(VALU_DEP_1) | instskip(NEXT) | instid1(VALU_DEP_1)
	v_sub_nc_u32_e32 v13, v5, v9
	v_subrev_co_ci_u32_e64 v13, s0, s23, v13, vcc_lo
	v_add_co_u32 v15, s0, v1, 2
	s_delay_alu instid0(VALU_DEP_1) | instskip(SKIP_3) | instid1(VALU_DEP_3)
	v_add_co_ci_u32_e64 v17, s0, 0, v3, s0
	v_sub_co_u32 v18, s0, v11, s22
	v_sub_co_ci_u32_e32 v5, vcc_lo, v5, v9, vcc_lo
	v_subrev_co_ci_u32_e64 v13, s0, 0, v13, s0
	v_cmp_le_u32_e32 vcc_lo, s22, v18
	s_delay_alu instid0(VALU_DEP_3) | instskip(SKIP_1) | instid1(VALU_DEP_4)
	v_cmp_eq_u32_e64 s0, s23, v5
	v_cndmask_b32_e64 v9, 0, -1, vcc_lo
	v_cmp_le_u32_e32 vcc_lo, s23, v13
	v_cndmask_b32_e64 v18, 0, -1, vcc_lo
	v_cmp_le_u32_e32 vcc_lo, s22, v11
	;; [unrolled: 2-line block ×3, first 2 shown]
	v_cndmask_b32_e64 v19, 0, -1, vcc_lo
	v_cmp_eq_u32_e32 vcc_lo, s23, v13
	s_delay_alu instid0(VALU_DEP_2) | instskip(SKIP_3) | instid1(VALU_DEP_3)
	v_cndmask_b32_e64 v5, v19, v11, s0
	v_cndmask_b32_e32 v9, v18, v9, vcc_lo
	v_add_co_u32 v13, vcc_lo, v1, 1
	v_add_co_ci_u32_e32 v18, vcc_lo, 0, v3, vcc_lo
	v_cmp_ne_u32_e32 vcc_lo, 0, v9
	s_delay_alu instid0(VALU_DEP_2) | instskip(NEXT) | instid1(VALU_DEP_4)
	v_cndmask_b32_e32 v9, v18, v17, vcc_lo
	v_cndmask_b32_e32 v11, v13, v15, vcc_lo
	v_cmp_ne_u32_e32 vcc_lo, 0, v5
	v_xor_b32_e32 v5, s20, v23
	s_delay_alu instid0(VALU_DEP_3) | instskip(SKIP_2) | instid1(VALU_DEP_3)
	v_cndmask_b32_e32 v1, v1, v11, vcc_lo
	v_cndmask_b32_e32 v3, v3, v9, vcc_lo
	v_xor_b32_e32 v9, s21, v23
	v_xor_b32_e32 v1, v1, v5
	s_delay_alu instid0(VALU_DEP_2) | instskip(NEXT) | instid1(VALU_DEP_2)
	v_xor_b32_e32 v3, v3, v9
	v_sub_co_u32 v18, vcc_lo, v1, v5
	s_delay_alu instid0(VALU_DEP_2)
	v_sub_co_ci_u32_e32 v19, vcc_lo, v3, v9, vcc_lo
.LBB80_46:                              ;   in Loop: Header=BB80_24 Depth=2
	s_and_not1_saveexec_b32 s0, s14
	s_cbranch_execz .LBB80_48
; %bb.47:                               ;   in Loop: Header=BB80_24 Depth=2
	v_cvt_f32_u32_e32 v1, s50
	s_sub_i32 s14, 0, s50
	v_mov_b32_e32 v19, v2
	s_delay_alu instid0(VALU_DEP_2) | instskip(SKIP_2) | instid1(VALU_DEP_1)
	v_rcp_iflag_f32_e32 v1, v1
	s_waitcnt_depctr 0xfff
	v_mul_f32_e32 v1, 0x4f7ffffe, v1
	v_cvt_u32_f32_e32 v1, v1
	s_delay_alu instid0(VALU_DEP_1) | instskip(NEXT) | instid1(VALU_DEP_1)
	v_mul_lo_u32 v3, s14, v1
	v_mul_hi_u32 v3, v1, v3
	s_delay_alu instid0(VALU_DEP_1) | instskip(NEXT) | instid1(VALU_DEP_1)
	v_add_nc_u32_e32 v1, v1, v3
	v_mul_hi_u32 v1, v16, v1
	s_delay_alu instid0(VALU_DEP_1) | instskip(SKIP_1) | instid1(VALU_DEP_2)
	v_mul_lo_u32 v3, v1, s50
	v_add_nc_u32_e32 v5, 1, v1
	v_sub_nc_u32_e32 v3, v16, v3
	s_delay_alu instid0(VALU_DEP_1) | instskip(SKIP_1) | instid1(VALU_DEP_2)
	v_subrev_nc_u32_e32 v9, s50, v3
	v_cmp_le_u32_e32 vcc_lo, s50, v3
	v_cndmask_b32_e32 v3, v3, v9, vcc_lo
	v_cndmask_b32_e32 v1, v1, v5, vcc_lo
	s_delay_alu instid0(VALU_DEP_2) | instskip(NEXT) | instid1(VALU_DEP_2)
	v_cmp_le_u32_e32 vcc_lo, s50, v3
	v_add_nc_u32_e32 v5, 1, v1
	s_delay_alu instid0(VALU_DEP_1)
	v_cndmask_b32_e32 v18, v1, v5, vcc_lo
.LBB80_48:                              ;   in Loop: Header=BB80_24 Depth=2
	s_or_b32 exec_lo, exec_lo, s0
	s_add_u32 s20, s30, s18
	s_addc_u32 s21, s1, s19
	s_add_i32 s14, s16, 1
	s_mov_b32 s17, exec_lo
	s_lshl_b64 s[18:19], s[14:15], 2
                                        ; implicit-def: $vgpr20_vgpr21
	s_delay_alu instid0(SALU_CYCLE_1)
	s_add_u32 s22, s26, s18
	s_addc_u32 s23, s27, s19
	s_clause 0x1
	s_load_b32 s51, s[22:23], 0x0
	s_load_b32 s14, s[20:21], 0x0
	s_waitcnt lgkmcnt(0)
	s_ashr_i32 s0, s51, 31
	s_delay_alu instid0(SALU_CYCLE_1) | instskip(NEXT) | instid1(VALU_DEP_1)
	v_or_b32_e32 v3, s0, v19
	v_cmpx_ne_u64_e32 0, v[2:3]
	s_xor_b32 s17, exec_lo, s17
	s_cbranch_execz .LBB80_50
; %bb.49:                               ;   in Loop: Header=BB80_24 Depth=2
	s_add_u32 s22, s51, s0
	s_mov_b32 s20, s0
	s_mov_b32 s21, s0
	s_addc_u32 s23, s0, s0
	s_delay_alu instid0(SALU_CYCLE_1) | instskip(NEXT) | instid1(SALU_CYCLE_1)
	s_xor_b64 s[22:23], s[22:23], s[20:21]
	v_cvt_f32_u32_e32 v1, s22
	v_cvt_f32_u32_e32 v3, s23
	s_sub_u32 s0, 0, s22
	s_subb_u32 s52, 0, s23
	s_delay_alu instid0(VALU_DEP_1) | instskip(NEXT) | instid1(VALU_DEP_1)
	v_fmac_f32_e32 v1, 0x4f800000, v3
	v_rcp_f32_e32 v1, v1
	s_waitcnt_depctr 0xfff
	v_mul_f32_e32 v1, 0x5f7ffffc, v1
	s_delay_alu instid0(VALU_DEP_1) | instskip(NEXT) | instid1(VALU_DEP_1)
	v_mul_f32_e32 v3, 0x2f800000, v1
	v_trunc_f32_e32 v3, v3
	s_delay_alu instid0(VALU_DEP_1) | instskip(SKIP_1) | instid1(VALU_DEP_2)
	v_fmac_f32_e32 v1, 0xcf800000, v3
	v_cvt_u32_f32_e32 v3, v3
	v_cvt_u32_f32_e32 v1, v1
	s_delay_alu instid0(VALU_DEP_2) | instskip(NEXT) | instid1(VALU_DEP_2)
	v_mul_lo_u32 v5, s0, v3
	v_mul_hi_u32 v9, s0, v1
	v_mul_lo_u32 v11, s52, v1
	s_delay_alu instid0(VALU_DEP_2) | instskip(SKIP_1) | instid1(VALU_DEP_2)
	v_add_nc_u32_e32 v5, v9, v5
	v_mul_lo_u32 v9, s0, v1
	v_add_nc_u32_e32 v5, v5, v11
	s_delay_alu instid0(VALU_DEP_2) | instskip(NEXT) | instid1(VALU_DEP_2)
	v_mul_hi_u32 v11, v1, v9
	v_mul_lo_u32 v13, v1, v5
	v_mul_hi_u32 v15, v1, v5
	v_mul_hi_u32 v17, v3, v9
	v_mul_lo_u32 v9, v3, v9
	v_mul_hi_u32 v20, v3, v5
	v_mul_lo_u32 v5, v3, v5
	v_add_co_u32 v11, vcc_lo, v11, v13
	v_add_co_ci_u32_e32 v13, vcc_lo, 0, v15, vcc_lo
	s_delay_alu instid0(VALU_DEP_2) | instskip(NEXT) | instid1(VALU_DEP_2)
	v_add_co_u32 v9, vcc_lo, v11, v9
	v_add_co_ci_u32_e32 v9, vcc_lo, v13, v17, vcc_lo
	v_add_co_ci_u32_e32 v11, vcc_lo, 0, v20, vcc_lo
	v_ashrrev_i32_e32 v17, 31, v19
	s_delay_alu instid0(VALU_DEP_3) | instskip(NEXT) | instid1(VALU_DEP_3)
	v_add_co_u32 v5, vcc_lo, v9, v5
	v_add_co_ci_u32_e32 v9, vcc_lo, 0, v11, vcc_lo
	s_delay_alu instid0(VALU_DEP_2) | instskip(NEXT) | instid1(VALU_DEP_2)
	v_add_co_u32 v1, vcc_lo, v1, v5
	v_add_co_ci_u32_e32 v3, vcc_lo, v3, v9, vcc_lo
	s_delay_alu instid0(VALU_DEP_2) | instskip(SKIP_1) | instid1(VALU_DEP_3)
	v_mul_hi_u32 v5, s0, v1
	v_mul_lo_u32 v11, s52, v1
	v_mul_lo_u32 v9, s0, v3
	s_delay_alu instid0(VALU_DEP_1) | instskip(SKIP_1) | instid1(VALU_DEP_2)
	v_add_nc_u32_e32 v5, v5, v9
	v_mul_lo_u32 v9, s0, v1
	v_add_nc_u32_e32 v5, v5, v11
	s_delay_alu instid0(VALU_DEP_2) | instskip(NEXT) | instid1(VALU_DEP_2)
	v_mul_hi_u32 v11, v1, v9
	v_mul_lo_u32 v13, v1, v5
	v_mul_hi_u32 v15, v1, v5
	v_mul_hi_u32 v20, v3, v9
	v_mul_lo_u32 v9, v3, v9
	v_mul_hi_u32 v21, v3, v5
	v_mul_lo_u32 v5, v3, v5
	v_add_co_u32 v11, vcc_lo, v11, v13
	v_add_co_ci_u32_e32 v13, vcc_lo, 0, v15, vcc_lo
	s_delay_alu instid0(VALU_DEP_2) | instskip(NEXT) | instid1(VALU_DEP_2)
	v_add_co_u32 v9, vcc_lo, v11, v9
	v_add_co_ci_u32_e32 v9, vcc_lo, v13, v20, vcc_lo
	v_add_co_ci_u32_e32 v11, vcc_lo, 0, v21, vcc_lo
	v_add_co_u32 v13, vcc_lo, v18, v17
	v_add_co_ci_u32_e32 v15, vcc_lo, v19, v17, vcc_lo
	s_delay_alu instid0(VALU_DEP_4) | instskip(NEXT) | instid1(VALU_DEP_4)
	v_add_co_u32 v5, vcc_lo, v9, v5
	v_add_co_ci_u32_e32 v9, vcc_lo, 0, v11, vcc_lo
	s_delay_alu instid0(VALU_DEP_4) | instskip(NEXT) | instid1(VALU_DEP_3)
	v_xor_b32_e32 v11, v13, v17
	v_add_co_u32 v1, vcc_lo, v1, v5
	s_delay_alu instid0(VALU_DEP_3) | instskip(SKIP_1) | instid1(VALU_DEP_3)
	v_add_co_ci_u32_e32 v3, vcc_lo, v3, v9, vcc_lo
	v_xor_b32_e32 v5, v15, v17
	v_mul_hi_u32 v9, v11, v1
	s_delay_alu instid0(VALU_DEP_3) | instskip(NEXT) | instid1(VALU_DEP_3)
	v_mad_u64_u32 v[19:20], null, v11, v3, 0
	v_mad_u64_u32 v[21:22], null, v5, v1, 0
	v_mad_u64_u32 v[26:27], null, v5, v3, 0
	s_delay_alu instid0(VALU_DEP_3) | instskip(NEXT) | instid1(VALU_DEP_4)
	v_add_co_u32 v1, vcc_lo, v9, v19
	v_add_co_ci_u32_e32 v3, vcc_lo, 0, v20, vcc_lo
	s_delay_alu instid0(VALU_DEP_2) | instskip(NEXT) | instid1(VALU_DEP_2)
	v_add_co_u32 v1, vcc_lo, v1, v21
	v_add_co_ci_u32_e32 v1, vcc_lo, v3, v22, vcc_lo
	v_add_co_ci_u32_e32 v3, vcc_lo, 0, v27, vcc_lo
	s_delay_alu instid0(VALU_DEP_2) | instskip(NEXT) | instid1(VALU_DEP_2)
	v_add_co_u32 v1, vcc_lo, v1, v26
	v_add_co_ci_u32_e32 v3, vcc_lo, 0, v3, vcc_lo
	s_delay_alu instid0(VALU_DEP_2) | instskip(SKIP_1) | instid1(VALU_DEP_3)
	v_mul_lo_u32 v9, s23, v1
	v_mad_u64_u32 v[19:20], null, s22, v1, 0
	v_mul_lo_u32 v13, s22, v3
	s_delay_alu instid0(VALU_DEP_2) | instskip(NEXT) | instid1(VALU_DEP_2)
	v_sub_co_u32 v11, vcc_lo, v11, v19
	v_add3_u32 v9, v20, v13, v9
	s_delay_alu instid0(VALU_DEP_1) | instskip(NEXT) | instid1(VALU_DEP_1)
	v_sub_nc_u32_e32 v13, v5, v9
	v_subrev_co_ci_u32_e64 v13, s0, s23, v13, vcc_lo
	v_add_co_u32 v15, s0, v1, 2
	s_delay_alu instid0(VALU_DEP_1) | instskip(SKIP_3) | instid1(VALU_DEP_3)
	v_add_co_ci_u32_e64 v19, s0, 0, v3, s0
	v_sub_co_u32 v20, s0, v11, s22
	v_sub_co_ci_u32_e32 v5, vcc_lo, v5, v9, vcc_lo
	v_subrev_co_ci_u32_e64 v13, s0, 0, v13, s0
	v_cmp_le_u32_e32 vcc_lo, s22, v20
	s_delay_alu instid0(VALU_DEP_3) | instskip(SKIP_1) | instid1(VALU_DEP_4)
	v_cmp_eq_u32_e64 s0, s23, v5
	v_cndmask_b32_e64 v9, 0, -1, vcc_lo
	v_cmp_le_u32_e32 vcc_lo, s23, v13
	v_cndmask_b32_e64 v20, 0, -1, vcc_lo
	v_cmp_le_u32_e32 vcc_lo, s22, v11
	;; [unrolled: 2-line block ×3, first 2 shown]
	v_cndmask_b32_e64 v21, 0, -1, vcc_lo
	v_cmp_eq_u32_e32 vcc_lo, s23, v13
	s_delay_alu instid0(VALU_DEP_2) | instskip(SKIP_3) | instid1(VALU_DEP_3)
	v_cndmask_b32_e64 v5, v21, v11, s0
	v_cndmask_b32_e32 v9, v20, v9, vcc_lo
	v_add_co_u32 v13, vcc_lo, v1, 1
	v_add_co_ci_u32_e32 v20, vcc_lo, 0, v3, vcc_lo
	v_cmp_ne_u32_e32 vcc_lo, 0, v9
	s_delay_alu instid0(VALU_DEP_2) | instskip(NEXT) | instid1(VALU_DEP_4)
	v_cndmask_b32_e32 v9, v20, v19, vcc_lo
	v_cndmask_b32_e32 v11, v13, v15, vcc_lo
	v_cmp_ne_u32_e32 vcc_lo, 0, v5
	v_xor_b32_e32 v5, s20, v17
	s_delay_alu instid0(VALU_DEP_3) | instskip(SKIP_2) | instid1(VALU_DEP_3)
	v_cndmask_b32_e32 v1, v1, v11, vcc_lo
	v_cndmask_b32_e32 v3, v3, v9, vcc_lo
	v_xor_b32_e32 v9, s21, v17
	v_xor_b32_e32 v1, v1, v5
	s_delay_alu instid0(VALU_DEP_2) | instskip(NEXT) | instid1(VALU_DEP_2)
	v_xor_b32_e32 v3, v3, v9
	v_sub_co_u32 v20, vcc_lo, v1, v5
	s_delay_alu instid0(VALU_DEP_2)
	v_sub_co_ci_u32_e32 v21, vcc_lo, v3, v9, vcc_lo
.LBB80_50:                              ;   in Loop: Header=BB80_24 Depth=2
	s_and_not1_saveexec_b32 s0, s17
	s_cbranch_execz .LBB80_52
; %bb.51:                               ;   in Loop: Header=BB80_24 Depth=2
	v_cvt_f32_u32_e32 v1, s51
	s_sub_i32 s17, 0, s51
	v_mov_b32_e32 v21, v2
	s_delay_alu instid0(VALU_DEP_2) | instskip(SKIP_2) | instid1(VALU_DEP_1)
	v_rcp_iflag_f32_e32 v1, v1
	s_waitcnt_depctr 0xfff
	v_mul_f32_e32 v1, 0x4f7ffffe, v1
	v_cvt_u32_f32_e32 v1, v1
	s_delay_alu instid0(VALU_DEP_1) | instskip(NEXT) | instid1(VALU_DEP_1)
	v_mul_lo_u32 v3, s17, v1
	v_mul_hi_u32 v3, v1, v3
	s_delay_alu instid0(VALU_DEP_1) | instskip(NEXT) | instid1(VALU_DEP_1)
	v_add_nc_u32_e32 v1, v1, v3
	v_mul_hi_u32 v1, v18, v1
	s_delay_alu instid0(VALU_DEP_1) | instskip(SKIP_1) | instid1(VALU_DEP_2)
	v_mul_lo_u32 v3, v1, s51
	v_add_nc_u32_e32 v5, 1, v1
	v_sub_nc_u32_e32 v3, v18, v3
	s_delay_alu instid0(VALU_DEP_1) | instskip(SKIP_1) | instid1(VALU_DEP_2)
	v_subrev_nc_u32_e32 v9, s51, v3
	v_cmp_le_u32_e32 vcc_lo, s51, v3
	v_cndmask_b32_e32 v3, v3, v9, vcc_lo
	v_cndmask_b32_e32 v1, v1, v5, vcc_lo
	s_delay_alu instid0(VALU_DEP_2) | instskip(NEXT) | instid1(VALU_DEP_2)
	v_cmp_le_u32_e32 vcc_lo, s51, v3
	v_add_nc_u32_e32 v5, 1, v1
	s_delay_alu instid0(VALU_DEP_1)
	v_cndmask_b32_e32 v20, v1, v5, vcc_lo
.LBB80_52:                              ;   in Loop: Header=BB80_24 Depth=2
	s_or_b32 exec_lo, exec_lo, s0
	s_mov_b32 s17, s15
	s_add_u32 s20, s30, s18
	s_addc_u32 s21, s1, s19
	s_lshl_b64 s[18:19], s[16:17], 2
                                        ; implicit-def: $vgpr22_vgpr23
	s_delay_alu instid0(SALU_CYCLE_1)
	s_add_u32 s22, s26, s18
	s_addc_u32 s23, s27, s19
	s_clause 0x1
	s_load_b32 s52, s[22:23], 0x0
	s_load_b32 s17, s[20:21], 0x0
	s_mov_b32 s20, exec_lo
	s_waitcnt lgkmcnt(0)
	s_ashr_i32 s0, s52, 31
	s_delay_alu instid0(SALU_CYCLE_1) | instskip(NEXT) | instid1(VALU_DEP_1)
	v_or_b32_e32 v3, s0, v21
	v_cmpx_ne_u64_e32 0, v[2:3]
	s_xor_b32 s53, exec_lo, s20
	s_cbranch_execz .LBB80_54
; %bb.53:                               ;   in Loop: Header=BB80_24 Depth=2
	s_add_u32 s22, s52, s0
	s_mov_b32 s20, s0
	s_mov_b32 s21, s0
	s_addc_u32 s23, s0, s0
	s_delay_alu instid0(SALU_CYCLE_1) | instskip(NEXT) | instid1(SALU_CYCLE_1)
	s_xor_b64 s[22:23], s[22:23], s[20:21]
	v_cvt_f32_u32_e32 v1, s22
	v_cvt_f32_u32_e32 v3, s23
	s_sub_u32 s0, 0, s22
	s_subb_u32 s54, 0, s23
	s_delay_alu instid0(VALU_DEP_1) | instskip(NEXT) | instid1(VALU_DEP_1)
	v_fmac_f32_e32 v1, 0x4f800000, v3
	v_rcp_f32_e32 v1, v1
	s_waitcnt_depctr 0xfff
	v_mul_f32_e32 v1, 0x5f7ffffc, v1
	s_delay_alu instid0(VALU_DEP_1) | instskip(NEXT) | instid1(VALU_DEP_1)
	v_mul_f32_e32 v3, 0x2f800000, v1
	v_trunc_f32_e32 v3, v3
	s_delay_alu instid0(VALU_DEP_1) | instskip(SKIP_1) | instid1(VALU_DEP_2)
	v_fmac_f32_e32 v1, 0xcf800000, v3
	v_cvt_u32_f32_e32 v3, v3
	v_cvt_u32_f32_e32 v1, v1
	s_delay_alu instid0(VALU_DEP_2) | instskip(NEXT) | instid1(VALU_DEP_2)
	v_mul_lo_u32 v5, s0, v3
	v_mul_hi_u32 v9, s0, v1
	v_mul_lo_u32 v11, s54, v1
	s_delay_alu instid0(VALU_DEP_2) | instskip(SKIP_1) | instid1(VALU_DEP_2)
	v_add_nc_u32_e32 v5, v9, v5
	v_mul_lo_u32 v9, s0, v1
	v_add_nc_u32_e32 v5, v5, v11
	s_delay_alu instid0(VALU_DEP_2) | instskip(NEXT) | instid1(VALU_DEP_2)
	v_mul_hi_u32 v11, v1, v9
	v_mul_lo_u32 v13, v1, v5
	v_mul_hi_u32 v15, v1, v5
	v_mul_hi_u32 v17, v3, v9
	v_mul_lo_u32 v9, v3, v9
	v_mul_hi_u32 v19, v3, v5
	v_mul_lo_u32 v5, v3, v5
	v_add_co_u32 v11, vcc_lo, v11, v13
	v_add_co_ci_u32_e32 v13, vcc_lo, 0, v15, vcc_lo
	s_delay_alu instid0(VALU_DEP_2) | instskip(NEXT) | instid1(VALU_DEP_2)
	v_add_co_u32 v9, vcc_lo, v11, v9
	v_add_co_ci_u32_e32 v9, vcc_lo, v13, v17, vcc_lo
	v_add_co_ci_u32_e32 v11, vcc_lo, 0, v19, vcc_lo
	v_ashrrev_i32_e32 v17, 31, v21
	s_delay_alu instid0(VALU_DEP_3) | instskip(NEXT) | instid1(VALU_DEP_3)
	v_add_co_u32 v5, vcc_lo, v9, v5
	v_add_co_ci_u32_e32 v9, vcc_lo, 0, v11, vcc_lo
	s_delay_alu instid0(VALU_DEP_2) | instskip(NEXT) | instid1(VALU_DEP_2)
	v_add_co_u32 v1, vcc_lo, v1, v5
	v_add_co_ci_u32_e32 v3, vcc_lo, v3, v9, vcc_lo
	s_delay_alu instid0(VALU_DEP_2) | instskip(SKIP_1) | instid1(VALU_DEP_3)
	v_mul_hi_u32 v5, s0, v1
	v_mul_lo_u32 v11, s54, v1
	v_mul_lo_u32 v9, s0, v3
	s_delay_alu instid0(VALU_DEP_1) | instskip(SKIP_1) | instid1(VALU_DEP_2)
	v_add_nc_u32_e32 v5, v5, v9
	v_mul_lo_u32 v9, s0, v1
	v_add_nc_u32_e32 v5, v5, v11
	s_delay_alu instid0(VALU_DEP_2) | instskip(NEXT) | instid1(VALU_DEP_2)
	v_mul_hi_u32 v11, v1, v9
	v_mul_lo_u32 v13, v1, v5
	v_mul_hi_u32 v15, v1, v5
	v_mul_hi_u32 v19, v3, v9
	v_mul_lo_u32 v9, v3, v9
	v_mul_hi_u32 v22, v3, v5
	v_mul_lo_u32 v5, v3, v5
	v_add_co_u32 v11, vcc_lo, v11, v13
	v_add_co_ci_u32_e32 v13, vcc_lo, 0, v15, vcc_lo
	s_delay_alu instid0(VALU_DEP_2) | instskip(NEXT) | instid1(VALU_DEP_2)
	v_add_co_u32 v9, vcc_lo, v11, v9
	v_add_co_ci_u32_e32 v9, vcc_lo, v13, v19, vcc_lo
	v_add_co_ci_u32_e32 v11, vcc_lo, 0, v22, vcc_lo
	v_add_co_u32 v13, vcc_lo, v20, v17
	v_add_co_ci_u32_e32 v15, vcc_lo, v21, v17, vcc_lo
	s_delay_alu instid0(VALU_DEP_4) | instskip(NEXT) | instid1(VALU_DEP_4)
	v_add_co_u32 v5, vcc_lo, v9, v5
	v_add_co_ci_u32_e32 v9, vcc_lo, 0, v11, vcc_lo
	s_delay_alu instid0(VALU_DEP_4) | instskip(NEXT) | instid1(VALU_DEP_3)
	v_xor_b32_e32 v11, v13, v17
	v_add_co_u32 v1, vcc_lo, v1, v5
	s_delay_alu instid0(VALU_DEP_3) | instskip(SKIP_1) | instid1(VALU_DEP_3)
	v_add_co_ci_u32_e32 v3, vcc_lo, v3, v9, vcc_lo
	v_xor_b32_e32 v5, v15, v17
	v_mul_hi_u32 v9, v11, v1
	s_delay_alu instid0(VALU_DEP_3) | instskip(NEXT) | instid1(VALU_DEP_3)
	v_mad_u64_u32 v[21:22], null, v11, v3, 0
	v_mad_u64_u32 v[26:27], null, v5, v1, 0
	;; [unrolled: 1-line block ×3, first 2 shown]
	s_delay_alu instid0(VALU_DEP_3) | instskip(NEXT) | instid1(VALU_DEP_4)
	v_add_co_u32 v1, vcc_lo, v9, v21
	v_add_co_ci_u32_e32 v3, vcc_lo, 0, v22, vcc_lo
	s_delay_alu instid0(VALU_DEP_2) | instskip(NEXT) | instid1(VALU_DEP_2)
	v_add_co_u32 v1, vcc_lo, v1, v26
	v_add_co_ci_u32_e32 v1, vcc_lo, v3, v27, vcc_lo
	v_add_co_ci_u32_e32 v3, vcc_lo, 0, v29, vcc_lo
	s_delay_alu instid0(VALU_DEP_2) | instskip(NEXT) | instid1(VALU_DEP_2)
	v_add_co_u32 v1, vcc_lo, v1, v28
	v_add_co_ci_u32_e32 v3, vcc_lo, 0, v3, vcc_lo
	s_delay_alu instid0(VALU_DEP_2) | instskip(SKIP_1) | instid1(VALU_DEP_3)
	v_mul_lo_u32 v9, s23, v1
	v_mad_u64_u32 v[21:22], null, s22, v1, 0
	v_mul_lo_u32 v13, s22, v3
	s_delay_alu instid0(VALU_DEP_2) | instskip(NEXT) | instid1(VALU_DEP_2)
	v_sub_co_u32 v11, vcc_lo, v11, v21
	v_add3_u32 v9, v22, v13, v9
	s_delay_alu instid0(VALU_DEP_1) | instskip(NEXT) | instid1(VALU_DEP_1)
	v_sub_nc_u32_e32 v13, v5, v9
	v_subrev_co_ci_u32_e64 v13, s0, s23, v13, vcc_lo
	v_add_co_u32 v15, s0, v1, 2
	s_delay_alu instid0(VALU_DEP_1) | instskip(SKIP_3) | instid1(VALU_DEP_3)
	v_add_co_ci_u32_e64 v19, s0, 0, v3, s0
	v_sub_co_u32 v21, s0, v11, s22
	v_sub_co_ci_u32_e32 v5, vcc_lo, v5, v9, vcc_lo
	v_subrev_co_ci_u32_e64 v13, s0, 0, v13, s0
	v_cmp_le_u32_e32 vcc_lo, s22, v21
	s_delay_alu instid0(VALU_DEP_3) | instskip(SKIP_1) | instid1(VALU_DEP_4)
	v_cmp_eq_u32_e64 s0, s23, v5
	v_cndmask_b32_e64 v9, 0, -1, vcc_lo
	v_cmp_le_u32_e32 vcc_lo, s23, v13
	v_cndmask_b32_e64 v21, 0, -1, vcc_lo
	v_cmp_le_u32_e32 vcc_lo, s22, v11
	;; [unrolled: 2-line block ×3, first 2 shown]
	v_cndmask_b32_e64 v22, 0, -1, vcc_lo
	v_cmp_eq_u32_e32 vcc_lo, s23, v13
	s_delay_alu instid0(VALU_DEP_2) | instskip(SKIP_3) | instid1(VALU_DEP_3)
	v_cndmask_b32_e64 v5, v22, v11, s0
	v_cndmask_b32_e32 v9, v21, v9, vcc_lo
	v_add_co_u32 v13, vcc_lo, v1, 1
	v_add_co_ci_u32_e32 v21, vcc_lo, 0, v3, vcc_lo
	v_cmp_ne_u32_e32 vcc_lo, 0, v9
	s_delay_alu instid0(VALU_DEP_2) | instskip(NEXT) | instid1(VALU_DEP_4)
	v_cndmask_b32_e32 v9, v21, v19, vcc_lo
	v_cndmask_b32_e32 v11, v13, v15, vcc_lo
	v_cmp_ne_u32_e32 vcc_lo, 0, v5
	v_xor_b32_e32 v5, s20, v17
	s_delay_alu instid0(VALU_DEP_3) | instskip(SKIP_2) | instid1(VALU_DEP_3)
	v_cndmask_b32_e32 v1, v1, v11, vcc_lo
	v_cndmask_b32_e32 v3, v3, v9, vcc_lo
	v_xor_b32_e32 v9, s21, v17
	v_xor_b32_e32 v1, v1, v5
	s_delay_alu instid0(VALU_DEP_2) | instskip(NEXT) | instid1(VALU_DEP_2)
	v_xor_b32_e32 v3, v3, v9
	v_sub_co_u32 v22, vcc_lo, v1, v5
	s_delay_alu instid0(VALU_DEP_2)
	v_sub_co_ci_u32_e32 v23, vcc_lo, v3, v9, vcc_lo
.LBB80_54:                              ;   in Loop: Header=BB80_24 Depth=2
	s_and_not1_saveexec_b32 s0, s53
	s_cbranch_execz .LBB80_56
; %bb.55:                               ;   in Loop: Header=BB80_24 Depth=2
	v_cvt_f32_u32_e32 v1, s52
	s_sub_i32 s20, 0, s52
	v_mov_b32_e32 v23, v2
	s_delay_alu instid0(VALU_DEP_2) | instskip(SKIP_2) | instid1(VALU_DEP_1)
	v_rcp_iflag_f32_e32 v1, v1
	s_waitcnt_depctr 0xfff
	v_mul_f32_e32 v1, 0x4f7ffffe, v1
	v_cvt_u32_f32_e32 v1, v1
	s_delay_alu instid0(VALU_DEP_1) | instskip(NEXT) | instid1(VALU_DEP_1)
	v_mul_lo_u32 v3, s20, v1
	v_mul_hi_u32 v3, v1, v3
	s_delay_alu instid0(VALU_DEP_1) | instskip(NEXT) | instid1(VALU_DEP_1)
	v_add_nc_u32_e32 v1, v1, v3
	v_mul_hi_u32 v1, v20, v1
	s_delay_alu instid0(VALU_DEP_1) | instskip(SKIP_1) | instid1(VALU_DEP_2)
	v_mul_lo_u32 v3, v1, s52
	v_add_nc_u32_e32 v5, 1, v1
	v_sub_nc_u32_e32 v3, v20, v3
	s_delay_alu instid0(VALU_DEP_1) | instskip(SKIP_1) | instid1(VALU_DEP_2)
	v_subrev_nc_u32_e32 v9, s52, v3
	v_cmp_le_u32_e32 vcc_lo, s52, v3
	v_cndmask_b32_e32 v3, v3, v9, vcc_lo
	v_cndmask_b32_e32 v1, v1, v5, vcc_lo
	s_delay_alu instid0(VALU_DEP_2) | instskip(NEXT) | instid1(VALU_DEP_2)
	v_cmp_le_u32_e32 vcc_lo, s52, v3
	v_add_nc_u32_e32 v5, 1, v1
	s_delay_alu instid0(VALU_DEP_1)
	v_cndmask_b32_e32 v22, v1, v5, vcc_lo
.LBB80_56:                              ;   in Loop: Header=BB80_24 Depth=2
	s_or_b32 exec_lo, exec_lo, s0
	v_mul_lo_u32 v1, v8, s40
	v_mul_lo_u32 v3, v10, s42
	;; [unrolled: 1-line block ×4, first 2 shown]
	s_add_u32 s18, s30, s18
	s_addc_u32 s19, s1, s19
	v_mul_lo_u32 v11, v16, s48
	s_load_b32 s0, s[18:19], 0x0
	v_sub_nc_u32_e32 v1, v4, v1
	v_sub_nc_u32_e32 v3, v8, v3
	v_mul_lo_u32 v4, v18, s50
	v_sub_nc_u32_e32 v5, v10, v5
	v_sub_nc_u32_e32 v9, v12, v9
	v_mul_lo_u32 v1, s41, v1
	v_mul_lo_u32 v3, s43, v3
	;; [unrolled: 1-line block ×4, first 2 shown]
	v_sub_nc_u32_e32 v11, v14, v11
	v_sub_nc_u32_e32 v4, v16, v4
	v_mul_lo_u32 v5, s45, v5
	v_mul_lo_u32 v9, s47, v9
	s_add_i32 s16, s16, -8
	v_add3_u32 v0, v1, v0, v3
	v_mul_lo_u32 v1, s49, v11
	v_sub_nc_u32_e32 v3, v18, v8
	v_sub_nc_u32_e32 v8, v20, v10
	v_mul_lo_u32 v4, s14, v4
	s_cmp_lg_u32 s16, -8
	v_add3_u32 v0, v5, v0, v9
	v_mul_lo_u32 v3, s17, v3
	s_waitcnt lgkmcnt(0)
	v_mul_lo_u32 v5, s0, v8
	s_delay_alu instid0(VALU_DEP_3) | instskip(NEXT) | instid1(VALU_DEP_1)
	v_add3_u32 v0, v1, v0, v4
	v_add3_u32 v0, v3, v0, v5
	s_cbranch_scc0 .LBB80_58
; %bb.57:                               ;   in Loop: Header=BB80_24 Depth=2
	v_dual_mov_b32 v4, v22 :: v_dual_mov_b32 v5, v23
	s_branch .LBB80_24
.LBB80_58:                              ;   in Loop: Header=BB80_3 Depth=1
	s_load_b32 s0, s[12:13], 0x0
	s_waitcnt lgkmcnt(0)
	v_cmp_gt_i32_e32 vcc_lo, s0, v25
	s_and_b32 exec_lo, exec_lo, vcc_lo
	s_cbranch_execz .LBB80_2
; %bb.59:                               ;   in Loop: Header=BB80_3 Depth=1
	s_delay_alu instid0(VALU_DEP_2) | instskip(SKIP_3) | instid1(VALU_DEP_4)
	v_ashrrev_i32_e32 v1, 31, v0
	v_mov_b32_e32 v3, v2
	v_mov_b32_e32 v4, v2
	;; [unrolled: 1-line block ×3, first 2 shown]
	v_lshlrev_b64 v[0:1], 4, v[0:1]
	s_delay_alu instid0(VALU_DEP_1) | instskip(NEXT) | instid1(VALU_DEP_2)
	v_add_co_u32 v0, vcc_lo, s2, v0
	v_add_co_ci_u32_e32 v1, vcc_lo, s3, v1, vcc_lo
	global_store_b128 v[0:1], v[2:5], off
	s_branch .LBB80_2
.LBB80_60:
	s_nop 0
	s_sendmsg sendmsg(MSG_DEALLOC_VGPRS)
	s_endpgm
	.section	.rodata,"a",@progbits
	.p2align	6, 0x0
	.amdhsa_kernel _ZN2at6native16triu_tril_kernelIN3c107complexIdEEiLb1ELi1ELb1EEEvNS_4cuda6detail10TensorInfoIT_T0_EENS7_IKS8_S9_EEllS9_
		.amdhsa_group_segment_fixed_size 0
		.amdhsa_private_segment_fixed_size 0
		.amdhsa_kernarg_size 712
		.amdhsa_user_sgpr_count 15
		.amdhsa_user_sgpr_dispatch_ptr 0
		.amdhsa_user_sgpr_queue_ptr 0
		.amdhsa_user_sgpr_kernarg_segment_ptr 1
		.amdhsa_user_sgpr_dispatch_id 0
		.amdhsa_user_sgpr_private_segment_size 0
		.amdhsa_wavefront_size32 1
		.amdhsa_uses_dynamic_stack 0
		.amdhsa_enable_private_segment 0
		.amdhsa_system_sgpr_workgroup_id_x 1
		.amdhsa_system_sgpr_workgroup_id_y 0
		.amdhsa_system_sgpr_workgroup_id_z 0
		.amdhsa_system_sgpr_workgroup_info 0
		.amdhsa_system_vgpr_workitem_id 0
		.amdhsa_next_free_vgpr 30
		.amdhsa_next_free_sgpr 55
		.amdhsa_reserve_vcc 1
		.amdhsa_float_round_mode_32 0
		.amdhsa_float_round_mode_16_64 0
		.amdhsa_float_denorm_mode_32 3
		.amdhsa_float_denorm_mode_16_64 3
		.amdhsa_dx10_clamp 1
		.amdhsa_ieee_mode 1
		.amdhsa_fp16_overflow 0
		.amdhsa_workgroup_processor_mode 1
		.amdhsa_memory_ordered 1
		.amdhsa_forward_progress 0
		.amdhsa_shared_vgpr_count 0
		.amdhsa_exception_fp_ieee_invalid_op 0
		.amdhsa_exception_fp_denorm_src 0
		.amdhsa_exception_fp_ieee_div_zero 0
		.amdhsa_exception_fp_ieee_overflow 0
		.amdhsa_exception_fp_ieee_underflow 0
		.amdhsa_exception_fp_ieee_inexact 0
		.amdhsa_exception_int_div_zero 0
	.end_amdhsa_kernel
	.section	.text._ZN2at6native16triu_tril_kernelIN3c107complexIdEEiLb1ELi1ELb1EEEvNS_4cuda6detail10TensorInfoIT_T0_EENS7_IKS8_S9_EEllS9_,"axG",@progbits,_ZN2at6native16triu_tril_kernelIN3c107complexIdEEiLb1ELi1ELb1EEEvNS_4cuda6detail10TensorInfoIT_T0_EENS7_IKS8_S9_EEllS9_,comdat
.Lfunc_end80:
	.size	_ZN2at6native16triu_tril_kernelIN3c107complexIdEEiLb1ELi1ELb1EEEvNS_4cuda6detail10TensorInfoIT_T0_EENS7_IKS8_S9_EEllS9_, .Lfunc_end80-_ZN2at6native16triu_tril_kernelIN3c107complexIdEEiLb1ELi1ELb1EEEvNS_4cuda6detail10TensorInfoIT_T0_EENS7_IKS8_S9_EEllS9_
                                        ; -- End function
	.section	.AMDGPU.csdata,"",@progbits
; Kernel info:
; codeLenInByte = 12304
; NumSgprs: 57
; NumVgprs: 30
; ScratchSize: 0
; MemoryBound: 0
; FloatMode: 240
; IeeeMode: 1
; LDSByteSize: 0 bytes/workgroup (compile time only)
; SGPRBlocks: 7
; VGPRBlocks: 3
; NumSGPRsForWavesPerEU: 57
; NumVGPRsForWavesPerEU: 30
; Occupancy: 16
; WaveLimiterHint : 0
; COMPUTE_PGM_RSRC2:SCRATCH_EN: 0
; COMPUTE_PGM_RSRC2:USER_SGPR: 15
; COMPUTE_PGM_RSRC2:TRAP_HANDLER: 0
; COMPUTE_PGM_RSRC2:TGID_X_EN: 1
; COMPUTE_PGM_RSRC2:TGID_Y_EN: 0
; COMPUTE_PGM_RSRC2:TGID_Z_EN: 0
; COMPUTE_PGM_RSRC2:TIDIG_COMP_CNT: 0
	.section	.text._ZN2at6native16triu_tril_kernelIN3c107complexIdEEiLb1ELi1ELb0EEEvNS_4cuda6detail10TensorInfoIT_T0_EENS7_IKS8_S9_EEllS9_,"axG",@progbits,_ZN2at6native16triu_tril_kernelIN3c107complexIdEEiLb1ELi1ELb0EEEvNS_4cuda6detail10TensorInfoIT_T0_EENS7_IKS8_S9_EEllS9_,comdat
	.protected	_ZN2at6native16triu_tril_kernelIN3c107complexIdEEiLb1ELi1ELb0EEEvNS_4cuda6detail10TensorInfoIT_T0_EENS7_IKS8_S9_EEllS9_ ; -- Begin function _ZN2at6native16triu_tril_kernelIN3c107complexIdEEiLb1ELi1ELb0EEEvNS_4cuda6detail10TensorInfoIT_T0_EENS7_IKS8_S9_EEllS9_
	.globl	_ZN2at6native16triu_tril_kernelIN3c107complexIdEEiLb1ELi1ELb0EEEvNS_4cuda6detail10TensorInfoIT_T0_EENS7_IKS8_S9_EEllS9_
	.p2align	8
	.type	_ZN2at6native16triu_tril_kernelIN3c107complexIdEEiLb1ELi1ELb0EEEvNS_4cuda6detail10TensorInfoIT_T0_EENS7_IKS8_S9_EEllS9_,@function
_ZN2at6native16triu_tril_kernelIN3c107complexIdEEiLb1ELi1ELb0EEEvNS_4cuda6detail10TensorInfoIT_T0_EENS7_IKS8_S9_EEllS9_: ; @_ZN2at6native16triu_tril_kernelIN3c107complexIdEEiLb1ELi1ELb0EEEvNS_4cuda6detail10TensorInfoIT_T0_EENS7_IKS8_S9_EEllS9_
; %bb.0:
	s_clause 0x1
	s_load_b32 s2, s[0:1], 0x1d4
	s_load_b128 s[4:7], s[0:1], 0x1b0
	v_mov_b32_e32 v4, 0
	s_add_u32 s12, s0, 0x1c8
	s_addc_u32 s13, s1, 0
	s_delay_alu instid0(VALU_DEP_1) | instskip(SKIP_3) | instid1(VALU_DEP_1)
	v_mov_b32_e32 v1, v4
	s_waitcnt lgkmcnt(0)
	s_and_b32 s16, s2, 0xffff
	s_mov_b32 s2, exec_lo
	v_mad_u64_u32 v[6:7], null, s16, s15, v[0:1]
	s_delay_alu instid0(VALU_DEP_1)
	v_cmpx_gt_i64_e64 s[6:7], v[6:7]
	s_cbranch_execz .LBB81_46
; %bb.1:
	s_clause 0x1
	s_load_b32 s18, s[0:1], 0x1a8
	s_load_b32 s26, s[0:1], 0x1c0
	s_add_u32 s27, s0, 0xd8
	s_addc_u32 s28, s1, 0
	s_load_b64 s[2:3], s[0:1], 0xd8
	s_load_b32 s17, s[12:13], 0x0
	s_mov_b32 s39, 0
	s_waitcnt lgkmcnt(0)
	s_ashr_i32 s19, s18, 31
	s_ashr_i32 s29, s26, 31
	s_lshl_b64 s[8:9], s[18:19], 2
	v_cvt_f32_u32_e32 v0, s26
	s_add_u32 s14, s8, -8
	s_addc_u32 s15, s9, -1
	s_add_u32 s10, s27, s14
	s_addc_u32 s11, s28, s15
	v_rcp_iflag_f32_e32 v0, v0
	s_clause 0x1
	s_load_b64 s[8:9], s[10:11], 0x8
	s_load_b64 s[10:11], s[10:11], 0x6c
	s_mul_i32 s38, s17, s16
	s_mov_b32 s17, 0
	s_waitcnt_depctr 0xfff
	v_mul_f32_e32 v0, 0x4f7ffffe, v0
	s_delay_alu instid0(VALU_DEP_1)
	v_cvt_u32_f32_e32 v0, v0
	s_waitcnt lgkmcnt(0)
	s_ashr_i32 s30, s8, 31
	s_add_u32 s31, s0, 0x6c
	s_addc_u32 s33, s1, 0
	s_add_u32 s14, s31, s14
	s_addc_u32 s15, s33, s15
	s_and_b32 s34, s18, 3
	s_add_i32 s35, s18, -3
	s_cmp_lg_u32 s34, 2
	s_load_b64 s[12:13], s[14:15], 0x0
	s_cselect_b32 s36, -1, 0
	s_cmp_gt_u32 s35, 2
	s_load_b64 s[14:15], s[0:1], 0x0
	s_cselect_b32 s37, -1, 0
	s_sub_i32 s20, 0, s26
	v_cmp_gt_i64_e64 s1, s[18:19], 2
	v_mul_lo_u32 v1, s20, v0
	s_delay_alu instid0(VALU_DEP_1) | instskip(NEXT) | instid1(VALU_DEP_1)
	v_mul_hi_u32 v1, v0, v1
	v_add_nc_u32_e32 v17, v0, v1
	s_branch .LBB81_3
.LBB81_2:                               ;   in Loop: Header=BB81_3 Depth=1
	s_or_b32 exec_lo, exec_lo, s0
	v_add_co_u32 v6, vcc_lo, v6, s38
	v_add_co_ci_u32_e32 v7, vcc_lo, 0, v7, vcc_lo
	s_delay_alu instid0(VALU_DEP_1) | instskip(SKIP_1) | instid1(SALU_CYCLE_1)
	v_cmp_le_i64_e32 vcc_lo, s[6:7], v[6:7]
	s_or_b32 s39, vcc_lo, s39
	s_and_not1_b32 exec_lo, exec_lo, s39
	s_cbranch_execz .LBB81_46
.LBB81_3:                               ; =>This Loop Header: Depth=1
                                        ;     Child Loop BB81_14 Depth 2
                                        ;     Child Loop BB81_22 Depth 2
	v_or_b32_e32 v5, s29, v7
                                        ; implicit-def: $vgpr2_vgpr3
	s_mov_b32 s0, exec_lo
	s_delay_alu instid0(VALU_DEP_1)
	v_cmpx_ne_u64_e32 0, v[4:5]
	s_xor_b32 s16, exec_lo, s0
	s_cbranch_execz .LBB81_5
; %bb.4:                                ;   in Loop: Header=BB81_3 Depth=1
	s_add_u32 s20, s26, s29
	s_mov_b32 s18, s29
	s_mov_b32 s19, s29
	s_addc_u32 s21, s29, s29
	s_delay_alu instid0(SALU_CYCLE_1) | instskip(NEXT) | instid1(SALU_CYCLE_1)
	s_xor_b64 s[20:21], s[20:21], s[18:19]
	v_cvt_f32_u32_e32 v0, s20
	v_cvt_f32_u32_e32 v1, s21
	s_sub_u32 s0, 0, s20
	s_subb_u32 s22, 0, s21
	s_delay_alu instid0(VALU_DEP_1) | instskip(NEXT) | instid1(VALU_DEP_1)
	v_fmac_f32_e32 v0, 0x4f800000, v1
	v_rcp_f32_e32 v0, v0
	s_waitcnt_depctr 0xfff
	v_mul_f32_e32 v0, 0x5f7ffffc, v0
	s_delay_alu instid0(VALU_DEP_1) | instskip(NEXT) | instid1(VALU_DEP_1)
	v_mul_f32_e32 v1, 0x2f800000, v0
	v_trunc_f32_e32 v1, v1
	s_delay_alu instid0(VALU_DEP_1) | instskip(SKIP_1) | instid1(VALU_DEP_2)
	v_fmac_f32_e32 v0, 0xcf800000, v1
	v_cvt_u32_f32_e32 v1, v1
	v_cvt_u32_f32_e32 v0, v0
	s_delay_alu instid0(VALU_DEP_2) | instskip(NEXT) | instid1(VALU_DEP_2)
	v_mul_lo_u32 v2, s0, v1
	v_mul_hi_u32 v3, s0, v0
	v_mul_lo_u32 v5, s22, v0
	s_delay_alu instid0(VALU_DEP_2) | instskip(SKIP_1) | instid1(VALU_DEP_2)
	v_add_nc_u32_e32 v2, v3, v2
	v_mul_lo_u32 v3, s0, v0
	v_add_nc_u32_e32 v2, v2, v5
	s_delay_alu instid0(VALU_DEP_2) | instskip(NEXT) | instid1(VALU_DEP_2)
	v_mul_hi_u32 v5, v0, v3
	v_mul_lo_u32 v8, v0, v2
	v_mul_hi_u32 v9, v0, v2
	v_mul_hi_u32 v10, v1, v3
	v_mul_lo_u32 v3, v1, v3
	v_mul_hi_u32 v11, v1, v2
	v_mul_lo_u32 v2, v1, v2
	v_add_co_u32 v5, vcc_lo, v5, v8
	v_add_co_ci_u32_e32 v8, vcc_lo, 0, v9, vcc_lo
	s_delay_alu instid0(VALU_DEP_2) | instskip(NEXT) | instid1(VALU_DEP_2)
	v_add_co_u32 v3, vcc_lo, v5, v3
	v_add_co_ci_u32_e32 v3, vcc_lo, v8, v10, vcc_lo
	v_add_co_ci_u32_e32 v5, vcc_lo, 0, v11, vcc_lo
	v_ashrrev_i32_e32 v10, 31, v7
	s_delay_alu instid0(VALU_DEP_3) | instskip(NEXT) | instid1(VALU_DEP_3)
	v_add_co_u32 v2, vcc_lo, v3, v2
	v_add_co_ci_u32_e32 v3, vcc_lo, 0, v5, vcc_lo
	s_delay_alu instid0(VALU_DEP_2) | instskip(NEXT) | instid1(VALU_DEP_2)
	v_add_co_u32 v0, vcc_lo, v0, v2
	v_add_co_ci_u32_e32 v1, vcc_lo, v1, v3, vcc_lo
	s_delay_alu instid0(VALU_DEP_2) | instskip(SKIP_1) | instid1(VALU_DEP_3)
	v_mul_hi_u32 v2, s0, v0
	v_mul_lo_u32 v5, s22, v0
	v_mul_lo_u32 v3, s0, v1
	s_delay_alu instid0(VALU_DEP_1) | instskip(SKIP_1) | instid1(VALU_DEP_2)
	v_add_nc_u32_e32 v2, v2, v3
	v_mul_lo_u32 v3, s0, v0
	v_add_nc_u32_e32 v2, v2, v5
	s_delay_alu instid0(VALU_DEP_2) | instskip(NEXT) | instid1(VALU_DEP_2)
	v_mul_hi_u32 v5, v0, v3
	v_mul_lo_u32 v8, v0, v2
	v_mul_hi_u32 v9, v0, v2
	v_mul_hi_u32 v11, v1, v3
	v_mul_lo_u32 v3, v1, v3
	v_mul_hi_u32 v12, v1, v2
	v_mul_lo_u32 v2, v1, v2
	v_add_co_u32 v5, vcc_lo, v5, v8
	v_add_co_ci_u32_e32 v8, vcc_lo, 0, v9, vcc_lo
	s_delay_alu instid0(VALU_DEP_2) | instskip(NEXT) | instid1(VALU_DEP_2)
	v_add_co_u32 v3, vcc_lo, v5, v3
	v_add_co_ci_u32_e32 v3, vcc_lo, v8, v11, vcc_lo
	v_add_co_ci_u32_e32 v5, vcc_lo, 0, v12, vcc_lo
	v_add_co_u32 v8, vcc_lo, v6, v10
	v_add_co_ci_u32_e32 v9, vcc_lo, v7, v10, vcc_lo
	s_delay_alu instid0(VALU_DEP_4) | instskip(NEXT) | instid1(VALU_DEP_4)
	v_add_co_u32 v2, vcc_lo, v3, v2
	v_add_co_ci_u32_e32 v3, vcc_lo, 0, v5, vcc_lo
	s_delay_alu instid0(VALU_DEP_4) | instskip(NEXT) | instid1(VALU_DEP_3)
	v_xor_b32_e32 v5, v8, v10
	v_add_co_u32 v8, vcc_lo, v0, v2
	s_delay_alu instid0(VALU_DEP_3) | instskip(SKIP_1) | instid1(VALU_DEP_3)
	v_add_co_ci_u32_e32 v11, vcc_lo, v1, v3, vcc_lo
	v_xor_b32_e32 v12, v9, v10
	v_mul_hi_u32 v13, v5, v8
	s_delay_alu instid0(VALU_DEP_3) | instskip(NEXT) | instid1(VALU_DEP_3)
	v_mad_u64_u32 v[0:1], null, v5, v11, 0
	v_mad_u64_u32 v[2:3], null, v12, v8, 0
	;; [unrolled: 1-line block ×3, first 2 shown]
	s_delay_alu instid0(VALU_DEP_3) | instskip(NEXT) | instid1(VALU_DEP_4)
	v_add_co_u32 v0, vcc_lo, v13, v0
	v_add_co_ci_u32_e32 v1, vcc_lo, 0, v1, vcc_lo
	s_delay_alu instid0(VALU_DEP_2) | instskip(NEXT) | instid1(VALU_DEP_2)
	v_add_co_u32 v0, vcc_lo, v0, v2
	v_add_co_ci_u32_e32 v0, vcc_lo, v1, v3, vcc_lo
	v_add_co_ci_u32_e32 v1, vcc_lo, 0, v9, vcc_lo
	s_delay_alu instid0(VALU_DEP_2) | instskip(NEXT) | instid1(VALU_DEP_2)
	v_add_co_u32 v2, vcc_lo, v0, v8
	v_add_co_ci_u32_e32 v3, vcc_lo, 0, v1, vcc_lo
	s_delay_alu instid0(VALU_DEP_2) | instskip(SKIP_1) | instid1(VALU_DEP_3)
	v_mul_lo_u32 v8, s21, v2
	v_mad_u64_u32 v[0:1], null, s20, v2, 0
	v_mul_lo_u32 v9, s20, v3
	s_delay_alu instid0(VALU_DEP_2) | instskip(NEXT) | instid1(VALU_DEP_2)
	v_sub_co_u32 v0, vcc_lo, v5, v0
	v_add3_u32 v1, v1, v9, v8
	s_delay_alu instid0(VALU_DEP_1) | instskip(NEXT) | instid1(VALU_DEP_1)
	v_sub_nc_u32_e32 v8, v12, v1
	v_subrev_co_ci_u32_e64 v5, s0, s21, v8, vcc_lo
	v_add_co_u32 v8, s0, v2, 2
	s_delay_alu instid0(VALU_DEP_1) | instskip(SKIP_3) | instid1(VALU_DEP_3)
	v_add_co_ci_u32_e64 v9, s0, 0, v3, s0
	v_sub_co_u32 v11, s0, v0, s20
	v_sub_co_ci_u32_e32 v1, vcc_lo, v12, v1, vcc_lo
	v_subrev_co_ci_u32_e64 v5, s0, 0, v5, s0
	v_cmp_le_u32_e32 vcc_lo, s20, v11
	s_delay_alu instid0(VALU_DEP_3) | instskip(SKIP_1) | instid1(VALU_DEP_4)
	v_cmp_eq_u32_e64 s0, s21, v1
	v_cndmask_b32_e64 v11, 0, -1, vcc_lo
	v_cmp_le_u32_e32 vcc_lo, s21, v5
	v_cndmask_b32_e64 v12, 0, -1, vcc_lo
	v_cmp_le_u32_e32 vcc_lo, s20, v0
	;; [unrolled: 2-line block ×3, first 2 shown]
	v_cndmask_b32_e64 v13, 0, -1, vcc_lo
	v_cmp_eq_u32_e32 vcc_lo, s21, v5
	s_delay_alu instid0(VALU_DEP_2) | instskip(SKIP_3) | instid1(VALU_DEP_3)
	v_cndmask_b32_e64 v0, v13, v0, s0
	v_cndmask_b32_e32 v5, v12, v11, vcc_lo
	v_add_co_u32 v11, vcc_lo, v2, 1
	v_add_co_ci_u32_e32 v12, vcc_lo, 0, v3, vcc_lo
	v_cmp_ne_u32_e32 vcc_lo, 0, v5
	s_delay_alu instid0(VALU_DEP_2) | instskip(NEXT) | instid1(VALU_DEP_4)
	v_cndmask_b32_e32 v1, v12, v9, vcc_lo
	v_cndmask_b32_e32 v5, v11, v8, vcc_lo
	v_cmp_ne_u32_e32 vcc_lo, 0, v0
	v_xor_b32_e32 v0, s18, v10
	s_delay_alu instid0(VALU_DEP_4) | instskip(NEXT) | instid1(VALU_DEP_4)
	v_cndmask_b32_e32 v1, v3, v1, vcc_lo
	v_cndmask_b32_e32 v2, v2, v5, vcc_lo
	v_xor_b32_e32 v3, s19, v10
	s_delay_alu instid0(VALU_DEP_2) | instskip(NEXT) | instid1(VALU_DEP_2)
	v_xor_b32_e32 v2, v2, v0
	v_xor_b32_e32 v1, v1, v3
	s_delay_alu instid0(VALU_DEP_2) | instskip(NEXT) | instid1(VALU_DEP_2)
	v_sub_co_u32 v2, vcc_lo, v2, v0
	v_sub_co_ci_u32_e32 v3, vcc_lo, v1, v3, vcc_lo
.LBB81_5:                               ;   in Loop: Header=BB81_3 Depth=1
	s_and_not1_saveexec_b32 s0, s16
; %bb.6:                                ;   in Loop: Header=BB81_3 Depth=1
	v_mul_hi_u32 v0, v6, v17
	s_delay_alu instid0(VALU_DEP_1) | instskip(NEXT) | instid1(VALU_DEP_1)
	v_mul_lo_u32 v1, v0, s26
	v_sub_nc_u32_e32 v1, v6, v1
	s_delay_alu instid0(VALU_DEP_1) | instskip(SKIP_1) | instid1(VALU_DEP_2)
	v_subrev_nc_u32_e32 v3, s26, v1
	v_cmp_le_u32_e32 vcc_lo, s26, v1
	v_dual_cndmask_b32 v1, v1, v3 :: v_dual_add_nc_u32 v2, 1, v0
	s_delay_alu instid0(VALU_DEP_1) | instskip(SKIP_1) | instid1(VALU_DEP_3)
	v_cndmask_b32_e32 v0, v0, v2, vcc_lo
	v_mov_b32_e32 v3, v4
	v_cmp_le_u32_e32 vcc_lo, s26, v1
	s_delay_alu instid0(VALU_DEP_3) | instskip(NEXT) | instid1(VALU_DEP_1)
	v_add_nc_u32_e32 v2, 1, v0
	v_cndmask_b32_e32 v2, v0, v2, vcc_lo
; %bb.7:                                ;   in Loop: Header=BB81_3 Depth=1
	s_or_b32 exec_lo, exec_lo, s0
	v_or_b32_e32 v5, s30, v3
                                        ; implicit-def: $vgpr0_vgpr1
	s_mov_b32 s0, exec_lo
	s_delay_alu instid0(VALU_DEP_1)
	v_cmpx_ne_u64_e32 0, v[4:5]
	s_xor_b32 s16, exec_lo, s0
	s_cbranch_execz .LBB81_9
; %bb.8:                                ;   in Loop: Header=BB81_3 Depth=1
	s_add_u32 s20, s8, s30
	s_mov_b32 s18, s30
	s_mov_b32 s19, s30
	s_addc_u32 s21, s30, s30
	s_delay_alu instid0(SALU_CYCLE_1) | instskip(NEXT) | instid1(SALU_CYCLE_1)
	s_xor_b64 s[20:21], s[20:21], s[18:19]
	v_cvt_f32_u32_e32 v0, s20
	v_cvt_f32_u32_e32 v1, s21
	s_sub_u32 s0, 0, s20
	s_subb_u32 s22, 0, s21
	s_delay_alu instid0(VALU_DEP_1) | instskip(NEXT) | instid1(VALU_DEP_1)
	v_fmac_f32_e32 v0, 0x4f800000, v1
	v_rcp_f32_e32 v0, v0
	s_waitcnt_depctr 0xfff
	v_mul_f32_e32 v0, 0x5f7ffffc, v0
	s_delay_alu instid0(VALU_DEP_1) | instskip(NEXT) | instid1(VALU_DEP_1)
	v_mul_f32_e32 v1, 0x2f800000, v0
	v_trunc_f32_e32 v1, v1
	s_delay_alu instid0(VALU_DEP_1) | instskip(SKIP_1) | instid1(VALU_DEP_2)
	v_fmac_f32_e32 v0, 0xcf800000, v1
	v_cvt_u32_f32_e32 v1, v1
	v_cvt_u32_f32_e32 v0, v0
	s_delay_alu instid0(VALU_DEP_2) | instskip(NEXT) | instid1(VALU_DEP_2)
	v_mul_lo_u32 v5, s0, v1
	v_mul_hi_u32 v8, s0, v0
	v_mul_lo_u32 v9, s22, v0
	s_delay_alu instid0(VALU_DEP_2) | instskip(SKIP_1) | instid1(VALU_DEP_2)
	v_add_nc_u32_e32 v5, v8, v5
	v_mul_lo_u32 v8, s0, v0
	v_add_nc_u32_e32 v5, v5, v9
	s_delay_alu instid0(VALU_DEP_2) | instskip(NEXT) | instid1(VALU_DEP_2)
	v_mul_hi_u32 v9, v0, v8
	v_mul_lo_u32 v10, v0, v5
	v_mul_hi_u32 v11, v0, v5
	v_mul_hi_u32 v12, v1, v8
	v_mul_lo_u32 v8, v1, v8
	v_mul_hi_u32 v13, v1, v5
	v_mul_lo_u32 v5, v1, v5
	v_add_co_u32 v9, vcc_lo, v9, v10
	v_add_co_ci_u32_e32 v10, vcc_lo, 0, v11, vcc_lo
	s_delay_alu instid0(VALU_DEP_2) | instskip(NEXT) | instid1(VALU_DEP_2)
	v_add_co_u32 v8, vcc_lo, v9, v8
	v_add_co_ci_u32_e32 v8, vcc_lo, v10, v12, vcc_lo
	v_add_co_ci_u32_e32 v9, vcc_lo, 0, v13, vcc_lo
	v_ashrrev_i32_e32 v12, 31, v3
	s_delay_alu instid0(VALU_DEP_3) | instskip(NEXT) | instid1(VALU_DEP_3)
	v_add_co_u32 v5, vcc_lo, v8, v5
	v_add_co_ci_u32_e32 v8, vcc_lo, 0, v9, vcc_lo
	s_delay_alu instid0(VALU_DEP_2) | instskip(NEXT) | instid1(VALU_DEP_2)
	v_add_co_u32 v0, vcc_lo, v0, v5
	v_add_co_ci_u32_e32 v1, vcc_lo, v1, v8, vcc_lo
	s_delay_alu instid0(VALU_DEP_2) | instskip(SKIP_1) | instid1(VALU_DEP_3)
	v_mul_hi_u32 v5, s0, v0
	v_mul_lo_u32 v9, s22, v0
	v_mul_lo_u32 v8, s0, v1
	s_delay_alu instid0(VALU_DEP_1) | instskip(SKIP_1) | instid1(VALU_DEP_2)
	v_add_nc_u32_e32 v5, v5, v8
	v_mul_lo_u32 v8, s0, v0
	v_add_nc_u32_e32 v5, v5, v9
	s_delay_alu instid0(VALU_DEP_2) | instskip(NEXT) | instid1(VALU_DEP_2)
	v_mul_hi_u32 v9, v0, v8
	v_mul_lo_u32 v10, v0, v5
	v_mul_hi_u32 v11, v0, v5
	v_mul_hi_u32 v13, v1, v8
	v_mul_lo_u32 v8, v1, v8
	v_mul_hi_u32 v14, v1, v5
	v_mul_lo_u32 v5, v1, v5
	v_add_co_u32 v9, vcc_lo, v9, v10
	v_add_co_ci_u32_e32 v10, vcc_lo, 0, v11, vcc_lo
	s_delay_alu instid0(VALU_DEP_2) | instskip(NEXT) | instid1(VALU_DEP_2)
	v_add_co_u32 v8, vcc_lo, v9, v8
	v_add_co_ci_u32_e32 v8, vcc_lo, v10, v13, vcc_lo
	v_add_co_ci_u32_e32 v9, vcc_lo, 0, v14, vcc_lo
	v_add_co_u32 v10, vcc_lo, v2, v12
	v_add_co_ci_u32_e32 v3, vcc_lo, v3, v12, vcc_lo
	s_delay_alu instid0(VALU_DEP_4) | instskip(NEXT) | instid1(VALU_DEP_4)
	v_add_co_u32 v5, vcc_lo, v8, v5
	v_add_co_ci_u32_e32 v8, vcc_lo, 0, v9, vcc_lo
	s_delay_alu instid0(VALU_DEP_4) | instskip(NEXT) | instid1(VALU_DEP_3)
	v_xor_b32_e32 v13, v10, v12
	v_add_co_u32 v5, vcc_lo, v0, v5
	s_delay_alu instid0(VALU_DEP_3) | instskip(SKIP_1) | instid1(VALU_DEP_3)
	v_add_co_ci_u32_e32 v14, vcc_lo, v1, v8, vcc_lo
	v_xor_b32_e32 v3, v3, v12
	v_mul_hi_u32 v15, v13, v5
	s_delay_alu instid0(VALU_DEP_3) | instskip(NEXT) | instid1(VALU_DEP_3)
	v_mad_u64_u32 v[0:1], null, v13, v14, 0
	v_mad_u64_u32 v[8:9], null, v3, v5, 0
	;; [unrolled: 1-line block ×3, first 2 shown]
	s_delay_alu instid0(VALU_DEP_3) | instskip(NEXT) | instid1(VALU_DEP_4)
	v_add_co_u32 v0, vcc_lo, v15, v0
	v_add_co_ci_u32_e32 v1, vcc_lo, 0, v1, vcc_lo
	s_delay_alu instid0(VALU_DEP_2) | instskip(NEXT) | instid1(VALU_DEP_2)
	v_add_co_u32 v0, vcc_lo, v0, v8
	v_add_co_ci_u32_e32 v0, vcc_lo, v1, v9, vcc_lo
	v_add_co_ci_u32_e32 v1, vcc_lo, 0, v11, vcc_lo
	s_delay_alu instid0(VALU_DEP_2) | instskip(NEXT) | instid1(VALU_DEP_2)
	v_add_co_u32 v5, vcc_lo, v0, v10
	v_add_co_ci_u32_e32 v8, vcc_lo, 0, v1, vcc_lo
	s_delay_alu instid0(VALU_DEP_2) | instskip(SKIP_1) | instid1(VALU_DEP_3)
	v_mul_lo_u32 v9, s21, v5
	v_mad_u64_u32 v[0:1], null, s20, v5, 0
	v_mul_lo_u32 v10, s20, v8
	s_delay_alu instid0(VALU_DEP_2) | instskip(NEXT) | instid1(VALU_DEP_2)
	v_sub_co_u32 v0, vcc_lo, v13, v0
	v_add3_u32 v1, v1, v10, v9
	s_delay_alu instid0(VALU_DEP_1) | instskip(NEXT) | instid1(VALU_DEP_1)
	v_sub_nc_u32_e32 v9, v3, v1
	v_subrev_co_ci_u32_e64 v9, s0, s21, v9, vcc_lo
	v_add_co_u32 v10, s0, v5, 2
	s_delay_alu instid0(VALU_DEP_1) | instskip(SKIP_3) | instid1(VALU_DEP_3)
	v_add_co_ci_u32_e64 v11, s0, 0, v8, s0
	v_sub_co_u32 v13, s0, v0, s20
	v_sub_co_ci_u32_e32 v1, vcc_lo, v3, v1, vcc_lo
	v_subrev_co_ci_u32_e64 v9, s0, 0, v9, s0
	v_cmp_le_u32_e32 vcc_lo, s20, v13
	s_delay_alu instid0(VALU_DEP_3) | instskip(SKIP_1) | instid1(VALU_DEP_4)
	v_cmp_eq_u32_e64 s0, s21, v1
	v_cndmask_b32_e64 v3, 0, -1, vcc_lo
	v_cmp_le_u32_e32 vcc_lo, s21, v9
	v_cndmask_b32_e64 v13, 0, -1, vcc_lo
	v_cmp_le_u32_e32 vcc_lo, s20, v0
	v_cndmask_b32_e64 v0, 0, -1, vcc_lo
	v_cmp_le_u32_e32 vcc_lo, s21, v1
	v_cndmask_b32_e64 v14, 0, -1, vcc_lo
	v_cmp_eq_u32_e32 vcc_lo, s21, v9
	s_delay_alu instid0(VALU_DEP_2) | instskip(SKIP_3) | instid1(VALU_DEP_3)
	v_cndmask_b32_e64 v0, v14, v0, s0
	v_cndmask_b32_e32 v3, v13, v3, vcc_lo
	v_add_co_u32 v9, vcc_lo, v5, 1
	v_add_co_ci_u32_e32 v13, vcc_lo, 0, v8, vcc_lo
	v_cmp_ne_u32_e32 vcc_lo, 0, v3
	s_delay_alu instid0(VALU_DEP_2) | instskip(NEXT) | instid1(VALU_DEP_4)
	v_cndmask_b32_e32 v1, v13, v11, vcc_lo
	v_cndmask_b32_e32 v3, v9, v10, vcc_lo
	v_cmp_ne_u32_e32 vcc_lo, 0, v0
	v_xor_b32_e32 v0, s18, v12
	s_delay_alu instid0(VALU_DEP_3) | instskip(SKIP_2) | instid1(VALU_DEP_3)
	v_cndmask_b32_e32 v3, v5, v3, vcc_lo
	v_cndmask_b32_e32 v1, v8, v1, vcc_lo
	v_xor_b32_e32 v5, s19, v12
	v_xor_b32_e32 v3, v3, v0
	s_delay_alu instid0(VALU_DEP_2) | instskip(NEXT) | instid1(VALU_DEP_2)
	v_xor_b32_e32 v1, v1, v5
	v_sub_co_u32 v0, vcc_lo, v3, v0
	s_delay_alu instid0(VALU_DEP_2)
	v_sub_co_ci_u32_e32 v1, vcc_lo, v1, v5, vcc_lo
.LBB81_9:                               ;   in Loop: Header=BB81_3 Depth=1
	s_and_not1_saveexec_b32 s0, s16
	s_cbranch_execz .LBB81_11
; %bb.10:                               ;   in Loop: Header=BB81_3 Depth=1
	v_cvt_f32_u32_e32 v0, s8
	s_sub_i32 s16, 0, s8
	s_delay_alu instid0(VALU_DEP_1) | instskip(SKIP_2) | instid1(VALU_DEP_1)
	v_rcp_iflag_f32_e32 v0, v0
	s_waitcnt_depctr 0xfff
	v_mul_f32_e32 v0, 0x4f7ffffe, v0
	v_cvt_u32_f32_e32 v0, v0
	s_delay_alu instid0(VALU_DEP_1) | instskip(NEXT) | instid1(VALU_DEP_1)
	v_mul_lo_u32 v1, s16, v0
	v_mul_hi_u32 v1, v0, v1
	s_delay_alu instid0(VALU_DEP_1) | instskip(NEXT) | instid1(VALU_DEP_1)
	v_add_nc_u32_e32 v0, v0, v1
	v_mul_hi_u32 v0, v2, v0
	s_delay_alu instid0(VALU_DEP_1) | instskip(SKIP_1) | instid1(VALU_DEP_2)
	v_mul_lo_u32 v1, v0, s8
	v_add_nc_u32_e32 v3, 1, v0
	v_sub_nc_u32_e32 v1, v2, v1
	s_delay_alu instid0(VALU_DEP_1) | instskip(SKIP_1) | instid1(VALU_DEP_2)
	v_subrev_nc_u32_e32 v5, s8, v1
	v_cmp_le_u32_e32 vcc_lo, s8, v1
	v_dual_cndmask_b32 v1, v1, v5 :: v_dual_cndmask_b32 v0, v0, v3
	s_delay_alu instid0(VALU_DEP_1) | instskip(NEXT) | instid1(VALU_DEP_2)
	v_cmp_le_u32_e32 vcc_lo, s8, v1
	v_add_nc_u32_e32 v3, 1, v0
	v_mov_b32_e32 v1, v4
	s_delay_alu instid0(VALU_DEP_2)
	v_cndmask_b32_e32 v0, v0, v3, vcc_lo
.LBB81_11:                              ;   in Loop: Header=BB81_3 Depth=1
	s_or_b32 exec_lo, exec_lo, s0
	v_mad_u64_u32 v[8:9], null, v2, s26, 0
	s_delay_alu instid0(VALU_DEP_2) | instskip(SKIP_1) | instid1(VALU_DEP_2)
	v_mad_u64_u32 v[9:10], null, v0, s8, 0
	s_and_not1_b32 vcc_lo, exec_lo, s1
	v_sub_co_u32 v18, null, v6, v8
	s_delay_alu instid0(VALU_DEP_2) | instskip(NEXT) | instid1(VALU_DEP_2)
	v_sub_co_u32 v19, null, v2, v9
	v_mul_lo_u32 v3, s11, v18
	s_waitcnt lgkmcnt(0)
	v_mul_lo_u32 v5, s13, v18
	s_delay_alu instid0(VALU_DEP_2) | instskip(NEXT) | instid1(VALU_DEP_2)
	v_mad_u64_u32 v[10:11], null, s10, v19, v[3:4]
	v_mad_u64_u32 v[8:9], null, s12, v19, v[5:6]
	s_cbranch_vccnz .LBB81_40
; %bb.12:                               ;   in Loop: Header=BB81_3 Depth=1
	s_and_not1_b32 vcc_lo, exec_lo, s36
	s_mov_b32 s40, 1
	s_cbranch_vccnz .LBB81_20
; %bb.13:                               ;   in Loop: Header=BB81_3 Depth=1
	v_dual_mov_b32 v3, v1 :: v_dual_mov_b32 v2, v0
	s_mov_b32 s16, s35
.LBB81_14:                              ;   Parent Loop BB81_3 Depth=1
                                        ; =>  This Inner Loop Header: Depth=2
	s_delay_alu instid0(SALU_CYCLE_1)
	s_lshl_b64 s[20:21], s[16:17], 2
                                        ; implicit-def: $vgpr0_vgpr1
	s_mov_b32 s22, exec_lo
	s_add_u32 s18, s27, s20
	s_addc_u32 s19, s28, s21
	s_load_b32 s41, s[18:19], 0x8
	s_waitcnt lgkmcnt(0)
	s_ashr_i32 s0, s41, 31
	s_delay_alu instid0(SALU_CYCLE_1) | instskip(NEXT) | instid1(VALU_DEP_1)
	v_or_b32_e32 v5, s0, v3
	v_cmpx_ne_u64_e32 0, v[4:5]
	s_xor_b32 s42, exec_lo, s22
	s_cbranch_execz .LBB81_16
; %bb.15:                               ;   in Loop: Header=BB81_14 Depth=2
	s_add_u32 s24, s41, s0
	s_mov_b32 s22, s0
	s_mov_b32 s23, s0
	s_addc_u32 s25, s0, s0
	s_delay_alu instid0(SALU_CYCLE_1) | instskip(NEXT) | instid1(SALU_CYCLE_1)
	s_xor_b64 s[24:25], s[24:25], s[22:23]
	v_cvt_f32_u32_e32 v0, s24
	v_cvt_f32_u32_e32 v1, s25
	s_sub_u32 s0, 0, s24
	s_subb_u32 s43, 0, s25
	s_delay_alu instid0(VALU_DEP_1) | instskip(NEXT) | instid1(VALU_DEP_1)
	v_fmac_f32_e32 v0, 0x4f800000, v1
	v_rcp_f32_e32 v0, v0
	s_waitcnt_depctr 0xfff
	v_mul_f32_e32 v0, 0x5f7ffffc, v0
	s_delay_alu instid0(VALU_DEP_1) | instskip(NEXT) | instid1(VALU_DEP_1)
	v_mul_f32_e32 v1, 0x2f800000, v0
	v_trunc_f32_e32 v1, v1
	s_delay_alu instid0(VALU_DEP_1) | instskip(SKIP_1) | instid1(VALU_DEP_2)
	v_fmac_f32_e32 v0, 0xcf800000, v1
	v_cvt_u32_f32_e32 v1, v1
	v_cvt_u32_f32_e32 v0, v0
	s_delay_alu instid0(VALU_DEP_2) | instskip(NEXT) | instid1(VALU_DEP_2)
	v_mul_lo_u32 v5, s0, v1
	v_mul_hi_u32 v9, s0, v0
	v_mul_lo_u32 v11, s43, v0
	s_delay_alu instid0(VALU_DEP_2) | instskip(SKIP_1) | instid1(VALU_DEP_2)
	v_add_nc_u32_e32 v5, v9, v5
	v_mul_lo_u32 v9, s0, v0
	v_add_nc_u32_e32 v5, v5, v11
	s_delay_alu instid0(VALU_DEP_2) | instskip(NEXT) | instid1(VALU_DEP_2)
	v_mul_hi_u32 v11, v0, v9
	v_mul_lo_u32 v12, v0, v5
	v_mul_hi_u32 v13, v0, v5
	v_mul_hi_u32 v14, v1, v9
	v_mul_lo_u32 v9, v1, v9
	v_mul_hi_u32 v15, v1, v5
	v_mul_lo_u32 v5, v1, v5
	v_add_co_u32 v11, vcc_lo, v11, v12
	v_add_co_ci_u32_e32 v12, vcc_lo, 0, v13, vcc_lo
	s_delay_alu instid0(VALU_DEP_2) | instskip(NEXT) | instid1(VALU_DEP_2)
	v_add_co_u32 v9, vcc_lo, v11, v9
	v_add_co_ci_u32_e32 v9, vcc_lo, v12, v14, vcc_lo
	v_add_co_ci_u32_e32 v11, vcc_lo, 0, v15, vcc_lo
	v_ashrrev_i32_e32 v15, 31, v3
	s_delay_alu instid0(VALU_DEP_3) | instskip(NEXT) | instid1(VALU_DEP_3)
	v_add_co_u32 v5, vcc_lo, v9, v5
	v_add_co_ci_u32_e32 v9, vcc_lo, 0, v11, vcc_lo
	s_delay_alu instid0(VALU_DEP_2) | instskip(NEXT) | instid1(VALU_DEP_2)
	v_add_co_u32 v0, vcc_lo, v0, v5
	v_add_co_ci_u32_e32 v1, vcc_lo, v1, v9, vcc_lo
	s_delay_alu instid0(VALU_DEP_2) | instskip(SKIP_1) | instid1(VALU_DEP_3)
	v_mul_hi_u32 v5, s0, v0
	v_mul_lo_u32 v11, s43, v0
	v_mul_lo_u32 v9, s0, v1
	s_delay_alu instid0(VALU_DEP_1) | instskip(SKIP_1) | instid1(VALU_DEP_2)
	v_add_nc_u32_e32 v5, v5, v9
	v_mul_lo_u32 v9, s0, v0
	v_add_nc_u32_e32 v5, v5, v11
	s_delay_alu instid0(VALU_DEP_2) | instskip(NEXT) | instid1(VALU_DEP_2)
	v_mul_hi_u32 v11, v0, v9
	v_mul_lo_u32 v12, v0, v5
	v_mul_hi_u32 v13, v0, v5
	v_mul_hi_u32 v14, v1, v9
	v_mul_lo_u32 v9, v1, v9
	v_mul_hi_u32 v16, v1, v5
	v_mul_lo_u32 v5, v1, v5
	v_add_co_u32 v11, vcc_lo, v11, v12
	v_add_co_ci_u32_e32 v12, vcc_lo, 0, v13, vcc_lo
	s_delay_alu instid0(VALU_DEP_2) | instskip(NEXT) | instid1(VALU_DEP_2)
	v_add_co_u32 v9, vcc_lo, v11, v9
	v_add_co_ci_u32_e32 v9, vcc_lo, v12, v14, vcc_lo
	v_add_co_ci_u32_e32 v11, vcc_lo, 0, v16, vcc_lo
	v_add_co_u32 v12, vcc_lo, v2, v15
	v_add_co_ci_u32_e32 v3, vcc_lo, v3, v15, vcc_lo
	s_delay_alu instid0(VALU_DEP_4) | instskip(NEXT) | instid1(VALU_DEP_4)
	v_add_co_u32 v5, vcc_lo, v9, v5
	v_add_co_ci_u32_e32 v9, vcc_lo, 0, v11, vcc_lo
	s_delay_alu instid0(VALU_DEP_4) | instskip(NEXT) | instid1(VALU_DEP_3)
	v_xor_b32_e32 v16, v12, v15
	v_add_co_u32 v5, vcc_lo, v0, v5
	s_delay_alu instid0(VALU_DEP_3) | instskip(SKIP_1) | instid1(VALU_DEP_3)
	v_add_co_ci_u32_e32 v9, vcc_lo, v1, v9, vcc_lo
	v_xor_b32_e32 v3, v3, v15
	v_mul_hi_u32 v20, v16, v5
	s_delay_alu instid0(VALU_DEP_3) | instskip(NEXT) | instid1(VALU_DEP_3)
	v_mad_u64_u32 v[0:1], null, v16, v9, 0
	v_mad_u64_u32 v[11:12], null, v3, v5, 0
	;; [unrolled: 1-line block ×3, first 2 shown]
	s_delay_alu instid0(VALU_DEP_3) | instskip(NEXT) | instid1(VALU_DEP_4)
	v_add_co_u32 v0, vcc_lo, v20, v0
	v_add_co_ci_u32_e32 v1, vcc_lo, 0, v1, vcc_lo
	s_delay_alu instid0(VALU_DEP_2) | instskip(NEXT) | instid1(VALU_DEP_2)
	v_add_co_u32 v0, vcc_lo, v0, v11
	v_add_co_ci_u32_e32 v0, vcc_lo, v1, v12, vcc_lo
	v_add_co_ci_u32_e32 v1, vcc_lo, 0, v14, vcc_lo
	s_delay_alu instid0(VALU_DEP_2) | instskip(NEXT) | instid1(VALU_DEP_2)
	v_add_co_u32 v5, vcc_lo, v0, v13
	v_add_co_ci_u32_e32 v9, vcc_lo, 0, v1, vcc_lo
	s_delay_alu instid0(VALU_DEP_2) | instskip(SKIP_1) | instid1(VALU_DEP_3)
	v_mul_lo_u32 v11, s25, v5
	v_mad_u64_u32 v[0:1], null, s24, v5, 0
	v_mul_lo_u32 v12, s24, v9
	s_delay_alu instid0(VALU_DEP_2) | instskip(NEXT) | instid1(VALU_DEP_2)
	v_sub_co_u32 v0, vcc_lo, v16, v0
	v_add3_u32 v1, v1, v12, v11
	s_delay_alu instid0(VALU_DEP_1) | instskip(NEXT) | instid1(VALU_DEP_1)
	v_sub_nc_u32_e32 v11, v3, v1
	v_subrev_co_ci_u32_e64 v11, s0, s25, v11, vcc_lo
	v_add_co_u32 v12, s0, v5, 2
	s_delay_alu instid0(VALU_DEP_1) | instskip(SKIP_3) | instid1(VALU_DEP_3)
	v_add_co_ci_u32_e64 v13, s0, 0, v9, s0
	v_sub_co_u32 v14, s0, v0, s24
	v_sub_co_ci_u32_e32 v1, vcc_lo, v3, v1, vcc_lo
	v_subrev_co_ci_u32_e64 v11, s0, 0, v11, s0
	v_cmp_le_u32_e32 vcc_lo, s24, v14
	s_delay_alu instid0(VALU_DEP_3) | instskip(SKIP_1) | instid1(VALU_DEP_4)
	v_cmp_eq_u32_e64 s0, s25, v1
	v_cndmask_b32_e64 v3, 0, -1, vcc_lo
	v_cmp_le_u32_e32 vcc_lo, s25, v11
	v_cndmask_b32_e64 v14, 0, -1, vcc_lo
	v_cmp_le_u32_e32 vcc_lo, s24, v0
	;; [unrolled: 2-line block ×3, first 2 shown]
	v_cndmask_b32_e64 v16, 0, -1, vcc_lo
	v_cmp_eq_u32_e32 vcc_lo, s25, v11
	s_delay_alu instid0(VALU_DEP_2) | instskip(SKIP_3) | instid1(VALU_DEP_3)
	v_cndmask_b32_e64 v0, v16, v0, s0
	v_cndmask_b32_e32 v3, v14, v3, vcc_lo
	v_add_co_u32 v11, vcc_lo, v5, 1
	v_add_co_ci_u32_e32 v14, vcc_lo, 0, v9, vcc_lo
	v_cmp_ne_u32_e32 vcc_lo, 0, v3
	s_delay_alu instid0(VALU_DEP_2) | instskip(NEXT) | instid1(VALU_DEP_4)
	v_cndmask_b32_e32 v1, v14, v13, vcc_lo
	v_cndmask_b32_e32 v3, v11, v12, vcc_lo
	v_cmp_ne_u32_e32 vcc_lo, 0, v0
	v_xor_b32_e32 v0, s22, v15
	s_delay_alu instid0(VALU_DEP_3) | instskip(SKIP_2) | instid1(VALU_DEP_3)
	v_cndmask_b32_e32 v3, v5, v3, vcc_lo
	v_cndmask_b32_e32 v1, v9, v1, vcc_lo
	v_xor_b32_e32 v5, s23, v15
	v_xor_b32_e32 v3, v3, v0
	s_delay_alu instid0(VALU_DEP_2) | instskip(NEXT) | instid1(VALU_DEP_2)
	v_xor_b32_e32 v1, v1, v5
	v_sub_co_u32 v0, vcc_lo, v3, v0
	s_delay_alu instid0(VALU_DEP_2)
	v_sub_co_ci_u32_e32 v1, vcc_lo, v1, v5, vcc_lo
.LBB81_16:                              ;   in Loop: Header=BB81_14 Depth=2
	s_and_not1_saveexec_b32 s0, s42
	s_cbranch_execz .LBB81_18
; %bb.17:                               ;   in Loop: Header=BB81_14 Depth=2
	v_cvt_f32_u32_e32 v0, s41
	s_sub_i32 s22, 0, s41
	s_delay_alu instid0(VALU_DEP_1) | instskip(SKIP_2) | instid1(VALU_DEP_1)
	v_rcp_iflag_f32_e32 v0, v0
	s_waitcnt_depctr 0xfff
	v_mul_f32_e32 v0, 0x4f7ffffe, v0
	v_cvt_u32_f32_e32 v0, v0
	s_delay_alu instid0(VALU_DEP_1) | instskip(NEXT) | instid1(VALU_DEP_1)
	v_mul_lo_u32 v1, s22, v0
	v_mul_hi_u32 v1, v0, v1
	s_delay_alu instid0(VALU_DEP_1) | instskip(NEXT) | instid1(VALU_DEP_1)
	v_add_nc_u32_e32 v0, v0, v1
	v_mul_hi_u32 v0, v2, v0
	s_delay_alu instid0(VALU_DEP_1) | instskip(SKIP_1) | instid1(VALU_DEP_2)
	v_mul_lo_u32 v1, v0, s41
	v_add_nc_u32_e32 v3, 1, v0
	v_sub_nc_u32_e32 v1, v2, v1
	s_delay_alu instid0(VALU_DEP_1) | instskip(SKIP_1) | instid1(VALU_DEP_2)
	v_subrev_nc_u32_e32 v5, s41, v1
	v_cmp_le_u32_e32 vcc_lo, s41, v1
	v_dual_cndmask_b32 v1, v1, v5 :: v_dual_cndmask_b32 v0, v0, v3
	s_delay_alu instid0(VALU_DEP_1) | instskip(NEXT) | instid1(VALU_DEP_2)
	v_cmp_le_u32_e32 vcc_lo, s41, v1
	v_add_nc_u32_e32 v3, 1, v0
	v_mov_b32_e32 v1, v4
	s_delay_alu instid0(VALU_DEP_2)
	v_cndmask_b32_e32 v0, v0, v3, vcc_lo
.LBB81_18:                              ;   in Loop: Header=BB81_14 Depth=2
	s_or_b32 exec_lo, exec_lo, s0
	s_add_u32 s20, s31, s20
	s_addc_u32 s21, s33, s21
	s_clause 0x1
	s_load_b32 s0, s[18:19], 0x6c
	s_load_b32 s18, s[20:21], 0x0
	v_mul_lo_u32 v3, v0, s41
	s_add_i32 s16, s16, -1
	s_delay_alu instid0(VALU_DEP_1) | instskip(SKIP_1) | instid1(VALU_DEP_1)
	v_sub_nc_u32_e32 v5, v2, v3
	s_waitcnt lgkmcnt(0)
	v_mad_u64_u32 v[2:3], null, s0, v5, v[10:11]
	v_mad_u64_u32 v[9:10], null, s18, v5, v[8:9]
	s_xor_b32 s0, s34, s40
	s_add_i32 s40, s40, 1
	s_cmp_lg_u32 s0, 2
	s_delay_alu instid0(VALU_DEP_2) | instskip(NEXT) | instid1(VALU_DEP_2)
	v_mov_b32_e32 v10, v2
	v_mov_b32_e32 v8, v9
	s_cbranch_scc0 .LBB81_21
; %bb.19:                               ;   in Loop: Header=BB81_14 Depth=2
	v_dual_mov_b32 v3, v1 :: v_dual_mov_b32 v2, v0
	s_branch .LBB81_14
.LBB81_20:                              ;   in Loop: Header=BB81_3 Depth=1
	s_mov_b32 s16, s35
.LBB81_21:                              ;   in Loop: Header=BB81_3 Depth=1
	s_and_b32 vcc_lo, exec_lo, s37
	s_cbranch_vccz .LBB81_40
.LBB81_22:                              ;   Parent Loop BB81_3 Depth=1
                                        ; =>  This Inner Loop Header: Depth=2
	s_lshl_b64 s[18:19], s[16:17], 2
                                        ; implicit-def: $vgpr2_vgpr3
	s_mov_b32 s22, exec_lo
	s_add_u32 s20, s27, s18
	s_addc_u32 s21, s28, s19
	s_load_b32 s40, s[20:21], 0x8
	s_waitcnt lgkmcnt(0)
	s_ashr_i32 s0, s40, 31
	s_delay_alu instid0(SALU_CYCLE_1) | instskip(NEXT) | instid1(VALU_DEP_1)
	v_or_b32_e32 v5, s0, v1
	v_cmpx_ne_u64_e32 0, v[4:5]
	s_xor_b32 s41, exec_lo, s22
	s_cbranch_execz .LBB81_24
; %bb.23:                               ;   in Loop: Header=BB81_22 Depth=2
	s_add_u32 s24, s40, s0
	s_mov_b32 s22, s0
	s_mov_b32 s23, s0
	s_addc_u32 s25, s0, s0
	s_delay_alu instid0(SALU_CYCLE_1) | instskip(NEXT) | instid1(SALU_CYCLE_1)
	s_xor_b64 s[24:25], s[24:25], s[22:23]
	v_cvt_f32_u32_e32 v2, s24
	v_cvt_f32_u32_e32 v3, s25
	s_sub_u32 s0, 0, s24
	s_subb_u32 s42, 0, s25
	s_delay_alu instid0(VALU_DEP_1) | instskip(NEXT) | instid1(VALU_DEP_1)
	v_fmac_f32_e32 v2, 0x4f800000, v3
	v_rcp_f32_e32 v2, v2
	s_waitcnt_depctr 0xfff
	v_mul_f32_e32 v2, 0x5f7ffffc, v2
	s_delay_alu instid0(VALU_DEP_1) | instskip(NEXT) | instid1(VALU_DEP_1)
	v_mul_f32_e32 v3, 0x2f800000, v2
	v_trunc_f32_e32 v3, v3
	s_delay_alu instid0(VALU_DEP_1) | instskip(SKIP_1) | instid1(VALU_DEP_2)
	v_fmac_f32_e32 v2, 0xcf800000, v3
	v_cvt_u32_f32_e32 v3, v3
	v_cvt_u32_f32_e32 v2, v2
	s_delay_alu instid0(VALU_DEP_2) | instskip(NEXT) | instid1(VALU_DEP_2)
	v_mul_lo_u32 v5, s0, v3
	v_mul_hi_u32 v9, s0, v2
	v_mul_lo_u32 v11, s42, v2
	s_delay_alu instid0(VALU_DEP_2) | instskip(SKIP_1) | instid1(VALU_DEP_2)
	v_add_nc_u32_e32 v5, v9, v5
	v_mul_lo_u32 v9, s0, v2
	v_add_nc_u32_e32 v5, v5, v11
	s_delay_alu instid0(VALU_DEP_2) | instskip(NEXT) | instid1(VALU_DEP_2)
	v_mul_hi_u32 v11, v2, v9
	v_mul_lo_u32 v12, v2, v5
	v_mul_hi_u32 v13, v2, v5
	v_mul_hi_u32 v14, v3, v9
	v_mul_lo_u32 v9, v3, v9
	v_mul_hi_u32 v15, v3, v5
	v_mul_lo_u32 v5, v3, v5
	v_add_co_u32 v11, vcc_lo, v11, v12
	v_add_co_ci_u32_e32 v12, vcc_lo, 0, v13, vcc_lo
	s_delay_alu instid0(VALU_DEP_2) | instskip(NEXT) | instid1(VALU_DEP_2)
	v_add_co_u32 v9, vcc_lo, v11, v9
	v_add_co_ci_u32_e32 v9, vcc_lo, v12, v14, vcc_lo
	v_add_co_ci_u32_e32 v11, vcc_lo, 0, v15, vcc_lo
	v_ashrrev_i32_e32 v15, 31, v1
	s_delay_alu instid0(VALU_DEP_3) | instskip(NEXT) | instid1(VALU_DEP_3)
	v_add_co_u32 v5, vcc_lo, v9, v5
	v_add_co_ci_u32_e32 v9, vcc_lo, 0, v11, vcc_lo
	s_delay_alu instid0(VALU_DEP_2) | instskip(NEXT) | instid1(VALU_DEP_2)
	v_add_co_u32 v2, vcc_lo, v2, v5
	v_add_co_ci_u32_e32 v3, vcc_lo, v3, v9, vcc_lo
	s_delay_alu instid0(VALU_DEP_2) | instskip(SKIP_1) | instid1(VALU_DEP_3)
	v_mul_hi_u32 v5, s0, v2
	v_mul_lo_u32 v11, s42, v2
	v_mul_lo_u32 v9, s0, v3
	s_delay_alu instid0(VALU_DEP_1) | instskip(SKIP_1) | instid1(VALU_DEP_2)
	v_add_nc_u32_e32 v5, v5, v9
	v_mul_lo_u32 v9, s0, v2
	v_add_nc_u32_e32 v5, v5, v11
	s_delay_alu instid0(VALU_DEP_2) | instskip(NEXT) | instid1(VALU_DEP_2)
	v_mul_hi_u32 v11, v2, v9
	v_mul_lo_u32 v12, v2, v5
	v_mul_hi_u32 v13, v2, v5
	v_mul_hi_u32 v14, v3, v9
	v_mul_lo_u32 v9, v3, v9
	v_mul_hi_u32 v16, v3, v5
	v_mul_lo_u32 v5, v3, v5
	v_add_co_u32 v11, vcc_lo, v11, v12
	v_add_co_ci_u32_e32 v12, vcc_lo, 0, v13, vcc_lo
	s_delay_alu instid0(VALU_DEP_2) | instskip(NEXT) | instid1(VALU_DEP_2)
	v_add_co_u32 v9, vcc_lo, v11, v9
	v_add_co_ci_u32_e32 v9, vcc_lo, v12, v14, vcc_lo
	v_add_co_ci_u32_e32 v11, vcc_lo, 0, v16, vcc_lo
	v_add_co_u32 v12, vcc_lo, v0, v15
	v_add_co_ci_u32_e32 v1, vcc_lo, v1, v15, vcc_lo
	s_delay_alu instid0(VALU_DEP_4) | instskip(NEXT) | instid1(VALU_DEP_4)
	v_add_co_u32 v5, vcc_lo, v9, v5
	v_add_co_ci_u32_e32 v9, vcc_lo, 0, v11, vcc_lo
	s_delay_alu instid0(VALU_DEP_4) | instskip(NEXT) | instid1(VALU_DEP_3)
	v_xor_b32_e32 v16, v12, v15
	v_add_co_u32 v5, vcc_lo, v2, v5
	s_delay_alu instid0(VALU_DEP_3) | instskip(SKIP_1) | instid1(VALU_DEP_3)
	v_add_co_ci_u32_e32 v3, vcc_lo, v3, v9, vcc_lo
	v_xor_b32_e32 v9, v1, v15
	v_mul_hi_u32 v20, v16, v5
	s_delay_alu instid0(VALU_DEP_3) | instskip(NEXT) | instid1(VALU_DEP_3)
	v_mad_u64_u32 v[1:2], null, v16, v3, 0
	v_mad_u64_u32 v[11:12], null, v9, v5, 0
	;; [unrolled: 1-line block ×3, first 2 shown]
	s_delay_alu instid0(VALU_DEP_3) | instskip(NEXT) | instid1(VALU_DEP_4)
	v_add_co_u32 v1, vcc_lo, v20, v1
	v_add_co_ci_u32_e32 v2, vcc_lo, 0, v2, vcc_lo
	s_delay_alu instid0(VALU_DEP_2) | instskip(NEXT) | instid1(VALU_DEP_2)
	v_add_co_u32 v1, vcc_lo, v1, v11
	v_add_co_ci_u32_e32 v1, vcc_lo, v2, v12, vcc_lo
	v_add_co_ci_u32_e32 v2, vcc_lo, 0, v14, vcc_lo
	s_delay_alu instid0(VALU_DEP_2) | instskip(NEXT) | instid1(VALU_DEP_2)
	v_add_co_u32 v3, vcc_lo, v1, v13
	v_add_co_ci_u32_e32 v5, vcc_lo, 0, v2, vcc_lo
	s_delay_alu instid0(VALU_DEP_2) | instskip(SKIP_1) | instid1(VALU_DEP_3)
	v_mul_lo_u32 v11, s25, v3
	v_mad_u64_u32 v[1:2], null, s24, v3, 0
	v_mul_lo_u32 v12, s24, v5
	s_delay_alu instid0(VALU_DEP_2) | instskip(NEXT) | instid1(VALU_DEP_2)
	v_sub_co_u32 v1, vcc_lo, v16, v1
	v_add3_u32 v2, v2, v12, v11
	s_delay_alu instid0(VALU_DEP_1) | instskip(NEXT) | instid1(VALU_DEP_1)
	v_sub_nc_u32_e32 v11, v9, v2
	v_subrev_co_ci_u32_e64 v11, s0, s25, v11, vcc_lo
	v_add_co_u32 v12, s0, v3, 2
	s_delay_alu instid0(VALU_DEP_1) | instskip(SKIP_3) | instid1(VALU_DEP_3)
	v_add_co_ci_u32_e64 v13, s0, 0, v5, s0
	v_sub_co_u32 v14, s0, v1, s24
	v_sub_co_ci_u32_e32 v2, vcc_lo, v9, v2, vcc_lo
	v_subrev_co_ci_u32_e64 v11, s0, 0, v11, s0
	v_cmp_le_u32_e32 vcc_lo, s24, v14
	s_delay_alu instid0(VALU_DEP_3) | instskip(SKIP_1) | instid1(VALU_DEP_4)
	v_cmp_eq_u32_e64 s0, s25, v2
	v_cndmask_b32_e64 v9, 0, -1, vcc_lo
	v_cmp_le_u32_e32 vcc_lo, s25, v11
	v_cndmask_b32_e64 v14, 0, -1, vcc_lo
	v_cmp_le_u32_e32 vcc_lo, s24, v1
	;; [unrolled: 2-line block ×3, first 2 shown]
	v_cndmask_b32_e64 v16, 0, -1, vcc_lo
	v_cmp_eq_u32_e32 vcc_lo, s25, v11
	s_delay_alu instid0(VALU_DEP_2) | instskip(SKIP_3) | instid1(VALU_DEP_3)
	v_cndmask_b32_e64 v1, v16, v1, s0
	v_cndmask_b32_e32 v9, v14, v9, vcc_lo
	v_add_co_u32 v11, vcc_lo, v3, 1
	v_add_co_ci_u32_e32 v14, vcc_lo, 0, v5, vcc_lo
	v_cmp_ne_u32_e32 vcc_lo, 0, v9
	s_delay_alu instid0(VALU_DEP_2) | instskip(SKIP_2) | instid1(VALU_DEP_3)
	v_dual_cndmask_b32 v2, v14, v13 :: v_dual_cndmask_b32 v9, v11, v12
	v_cmp_ne_u32_e32 vcc_lo, 0, v1
	v_xor_b32_e32 v1, s22, v15
	v_dual_cndmask_b32 v2, v5, v2 :: v_dual_cndmask_b32 v3, v3, v9
	v_xor_b32_e32 v5, s23, v15
	s_delay_alu instid0(VALU_DEP_2) | instskip(NEXT) | instid1(VALU_DEP_2)
	v_xor_b32_e32 v3, v3, v1
	v_xor_b32_e32 v9, v2, v5
	s_delay_alu instid0(VALU_DEP_2) | instskip(NEXT) | instid1(VALU_DEP_2)
	v_sub_co_u32 v2, vcc_lo, v3, v1
	v_sub_co_ci_u32_e32 v3, vcc_lo, v9, v5, vcc_lo
.LBB81_24:                              ;   in Loop: Header=BB81_22 Depth=2
	s_and_not1_saveexec_b32 s0, s41
	s_cbranch_execz .LBB81_26
; %bb.25:                               ;   in Loop: Header=BB81_22 Depth=2
	v_cvt_f32_u32_e32 v1, s40
	s_sub_i32 s22, 0, s40
	s_delay_alu instid0(VALU_DEP_1) | instskip(SKIP_2) | instid1(VALU_DEP_1)
	v_rcp_iflag_f32_e32 v1, v1
	s_waitcnt_depctr 0xfff
	v_mul_f32_e32 v1, 0x4f7ffffe, v1
	v_cvt_u32_f32_e32 v1, v1
	s_delay_alu instid0(VALU_DEP_1) | instskip(NEXT) | instid1(VALU_DEP_1)
	v_mul_lo_u32 v2, s22, v1
	v_mul_hi_u32 v2, v1, v2
	s_delay_alu instid0(VALU_DEP_1) | instskip(NEXT) | instid1(VALU_DEP_1)
	v_add_nc_u32_e32 v1, v1, v2
	v_mul_hi_u32 v1, v0, v1
	s_delay_alu instid0(VALU_DEP_1) | instskip(SKIP_1) | instid1(VALU_DEP_2)
	v_mul_lo_u32 v2, v1, s40
	v_add_nc_u32_e32 v3, 1, v1
	v_sub_nc_u32_e32 v2, v0, v2
	s_delay_alu instid0(VALU_DEP_1) | instskip(SKIP_1) | instid1(VALU_DEP_2)
	v_subrev_nc_u32_e32 v5, s40, v2
	v_cmp_le_u32_e32 vcc_lo, s40, v2
	v_dual_cndmask_b32 v2, v2, v5 :: v_dual_cndmask_b32 v1, v1, v3
	s_delay_alu instid0(VALU_DEP_1) | instskip(NEXT) | instid1(VALU_DEP_2)
	v_cmp_le_u32_e32 vcc_lo, s40, v2
	v_add_nc_u32_e32 v3, 1, v1
	s_delay_alu instid0(VALU_DEP_1)
	v_dual_cndmask_b32 v2, v1, v3 :: v_dual_mov_b32 v3, v4
.LBB81_26:                              ;   in Loop: Header=BB81_22 Depth=2
	s_or_b32 exec_lo, exec_lo, s0
	s_add_u32 s24, s31, s18
	s_addc_u32 s25, s33, s19
	s_add_i32 s18, s16, -1
	s_mov_b32 s19, s17
                                        ; implicit-def: $vgpr11_vgpr12
	s_delay_alu instid0(SALU_CYCLE_1) | instskip(NEXT) | instid1(SALU_CYCLE_1)
	s_lshl_b64 s[22:23], s[18:19], 2
	s_add_u32 s18, s27, s22
	s_addc_u32 s19, s28, s23
	s_clause 0x2
	s_load_b32 s43, s[18:19], 0x8
	s_load_b32 s41, s[20:21], 0x6c
	;; [unrolled: 1-line block ×3, first 2 shown]
	s_mov_b32 s20, exec_lo
	s_waitcnt lgkmcnt(0)
	s_ashr_i32 s0, s43, 31
	s_delay_alu instid0(SALU_CYCLE_1) | instskip(NEXT) | instid1(VALU_DEP_1)
	v_or_b32_e32 v5, s0, v3
	v_cmpx_ne_u64_e32 0, v[4:5]
	s_xor_b32 s44, exec_lo, s20
	s_cbranch_execz .LBB81_28
; %bb.27:                               ;   in Loop: Header=BB81_22 Depth=2
	s_add_u32 s24, s43, s0
	s_mov_b32 s20, s0
	s_mov_b32 s21, s0
	s_addc_u32 s25, s0, s0
	v_ashrrev_i32_e32 v20, 31, v3
	s_xor_b64 s[24:25], s[24:25], s[20:21]
	s_delay_alu instid0(SALU_CYCLE_1) | instskip(SKIP_3) | instid1(VALU_DEP_1)
	v_cvt_f32_u32_e32 v1, s24
	v_cvt_f32_u32_e32 v5, s25
	s_sub_u32 s0, 0, s24
	s_subb_u32 s45, 0, s25
	v_fmac_f32_e32 v1, 0x4f800000, v5
	s_delay_alu instid0(VALU_DEP_1) | instskip(SKIP_2) | instid1(VALU_DEP_1)
	v_rcp_f32_e32 v1, v1
	s_waitcnt_depctr 0xfff
	v_mul_f32_e32 v1, 0x5f7ffffc, v1
	v_mul_f32_e32 v5, 0x2f800000, v1
	s_delay_alu instid0(VALU_DEP_1) | instskip(NEXT) | instid1(VALU_DEP_1)
	v_trunc_f32_e32 v5, v5
	v_fmac_f32_e32 v1, 0xcf800000, v5
	v_cvt_u32_f32_e32 v5, v5
	s_delay_alu instid0(VALU_DEP_2) | instskip(NEXT) | instid1(VALU_DEP_2)
	v_cvt_u32_f32_e32 v1, v1
	v_mul_lo_u32 v9, s0, v5
	s_delay_alu instid0(VALU_DEP_2) | instskip(SKIP_1) | instid1(VALU_DEP_2)
	v_mul_hi_u32 v11, s0, v1
	v_mul_lo_u32 v12, s45, v1
	v_add_nc_u32_e32 v9, v11, v9
	v_mul_lo_u32 v11, s0, v1
	s_delay_alu instid0(VALU_DEP_2) | instskip(NEXT) | instid1(VALU_DEP_2)
	v_add_nc_u32_e32 v9, v9, v12
	v_mul_hi_u32 v12, v1, v11
	s_delay_alu instid0(VALU_DEP_2)
	v_mul_lo_u32 v13, v1, v9
	v_mul_hi_u32 v14, v1, v9
	v_mul_hi_u32 v15, v5, v11
	v_mul_lo_u32 v11, v5, v11
	v_mul_hi_u32 v16, v5, v9
	v_mul_lo_u32 v9, v5, v9
	v_add_co_u32 v12, vcc_lo, v12, v13
	v_add_co_ci_u32_e32 v13, vcc_lo, 0, v14, vcc_lo
	s_delay_alu instid0(VALU_DEP_2) | instskip(NEXT) | instid1(VALU_DEP_2)
	v_add_co_u32 v11, vcc_lo, v12, v11
	v_add_co_ci_u32_e32 v11, vcc_lo, v13, v15, vcc_lo
	v_add_co_ci_u32_e32 v12, vcc_lo, 0, v16, vcc_lo
	s_delay_alu instid0(VALU_DEP_2) | instskip(NEXT) | instid1(VALU_DEP_2)
	v_add_co_u32 v9, vcc_lo, v11, v9
	v_add_co_ci_u32_e32 v11, vcc_lo, 0, v12, vcc_lo
	s_delay_alu instid0(VALU_DEP_2) | instskip(NEXT) | instid1(VALU_DEP_2)
	v_add_co_u32 v1, vcc_lo, v1, v9
	v_add_co_ci_u32_e32 v5, vcc_lo, v5, v11, vcc_lo
	s_delay_alu instid0(VALU_DEP_2) | instskip(SKIP_1) | instid1(VALU_DEP_3)
	v_mul_hi_u32 v9, s0, v1
	v_mul_lo_u32 v12, s45, v1
	v_mul_lo_u32 v11, s0, v5
	s_delay_alu instid0(VALU_DEP_1) | instskip(SKIP_1) | instid1(VALU_DEP_2)
	v_add_nc_u32_e32 v9, v9, v11
	v_mul_lo_u32 v11, s0, v1
	v_add_nc_u32_e32 v9, v9, v12
	s_delay_alu instid0(VALU_DEP_2) | instskip(NEXT) | instid1(VALU_DEP_2)
	v_mul_hi_u32 v12, v1, v11
	v_mul_lo_u32 v13, v1, v9
	v_mul_hi_u32 v14, v1, v9
	v_mul_hi_u32 v15, v5, v11
	v_mul_lo_u32 v11, v5, v11
	v_mul_hi_u32 v16, v5, v9
	v_mul_lo_u32 v9, v5, v9
	v_add_co_u32 v12, vcc_lo, v12, v13
	v_add_co_ci_u32_e32 v13, vcc_lo, 0, v14, vcc_lo
	s_delay_alu instid0(VALU_DEP_2) | instskip(NEXT) | instid1(VALU_DEP_2)
	v_add_co_u32 v11, vcc_lo, v12, v11
	v_add_co_ci_u32_e32 v11, vcc_lo, v13, v15, vcc_lo
	v_add_co_ci_u32_e32 v12, vcc_lo, 0, v16, vcc_lo
	v_add_co_u32 v13, vcc_lo, v2, v20
	v_add_co_ci_u32_e32 v3, vcc_lo, v3, v20, vcc_lo
	s_delay_alu instid0(VALU_DEP_4) | instskip(NEXT) | instid1(VALU_DEP_4)
	v_add_co_u32 v9, vcc_lo, v11, v9
	v_add_co_ci_u32_e32 v11, vcc_lo, 0, v12, vcc_lo
	s_delay_alu instid0(VALU_DEP_4) | instskip(NEXT) | instid1(VALU_DEP_3)
	v_xor_b32_e32 v21, v13, v20
	v_add_co_u32 v1, vcc_lo, v1, v9
	s_delay_alu instid0(VALU_DEP_3) | instskip(SKIP_1) | instid1(VALU_DEP_3)
	v_add_co_ci_u32_e32 v5, vcc_lo, v5, v11, vcc_lo
	v_xor_b32_e32 v3, v3, v20
	v_mul_hi_u32 v9, v21, v1
	s_delay_alu instid0(VALU_DEP_3) | instskip(NEXT) | instid1(VALU_DEP_3)
	v_mad_u64_u32 v[11:12], null, v21, v5, 0
	v_mad_u64_u32 v[13:14], null, v3, v1, 0
	;; [unrolled: 1-line block ×3, first 2 shown]
	s_delay_alu instid0(VALU_DEP_3) | instskip(NEXT) | instid1(VALU_DEP_4)
	v_add_co_u32 v1, vcc_lo, v9, v11
	v_add_co_ci_u32_e32 v5, vcc_lo, 0, v12, vcc_lo
	s_delay_alu instid0(VALU_DEP_2) | instskip(NEXT) | instid1(VALU_DEP_2)
	v_add_co_u32 v1, vcc_lo, v1, v13
	v_add_co_ci_u32_e32 v1, vcc_lo, v5, v14, vcc_lo
	v_add_co_ci_u32_e32 v5, vcc_lo, 0, v16, vcc_lo
	s_delay_alu instid0(VALU_DEP_2) | instskip(NEXT) | instid1(VALU_DEP_2)
	v_add_co_u32 v1, vcc_lo, v1, v15
	v_add_co_ci_u32_e32 v5, vcc_lo, 0, v5, vcc_lo
	s_delay_alu instid0(VALU_DEP_2) | instskip(SKIP_1) | instid1(VALU_DEP_3)
	v_mul_lo_u32 v9, s25, v1
	v_mad_u64_u32 v[11:12], null, s24, v1, 0
	v_mul_lo_u32 v13, s24, v5
	s_delay_alu instid0(VALU_DEP_2) | instskip(NEXT) | instid1(VALU_DEP_2)
	v_sub_co_u32 v11, vcc_lo, v21, v11
	v_add3_u32 v9, v12, v13, v9
	s_delay_alu instid0(VALU_DEP_1) | instskip(NEXT) | instid1(VALU_DEP_1)
	v_sub_nc_u32_e32 v12, v3, v9
	v_subrev_co_ci_u32_e64 v12, s0, s25, v12, vcc_lo
	v_add_co_u32 v13, s0, v1, 2
	s_delay_alu instid0(VALU_DEP_1) | instskip(SKIP_3) | instid1(VALU_DEP_3)
	v_add_co_ci_u32_e64 v14, s0, 0, v5, s0
	v_sub_co_u32 v15, s0, v11, s24
	v_sub_co_ci_u32_e32 v3, vcc_lo, v3, v9, vcc_lo
	v_subrev_co_ci_u32_e64 v12, s0, 0, v12, s0
	v_cmp_le_u32_e32 vcc_lo, s24, v15
	s_delay_alu instid0(VALU_DEP_3) | instskip(SKIP_1) | instid1(VALU_DEP_4)
	v_cmp_eq_u32_e64 s0, s25, v3
	v_cndmask_b32_e64 v9, 0, -1, vcc_lo
	v_cmp_le_u32_e32 vcc_lo, s25, v12
	v_cndmask_b32_e64 v15, 0, -1, vcc_lo
	v_cmp_le_u32_e32 vcc_lo, s24, v11
	;; [unrolled: 2-line block ×3, first 2 shown]
	v_cndmask_b32_e64 v16, 0, -1, vcc_lo
	v_cmp_eq_u32_e32 vcc_lo, s25, v12
	s_delay_alu instid0(VALU_DEP_2) | instskip(SKIP_3) | instid1(VALU_DEP_3)
	v_cndmask_b32_e64 v3, v16, v11, s0
	v_cndmask_b32_e32 v9, v15, v9, vcc_lo
	v_add_co_u32 v12, vcc_lo, v1, 1
	v_add_co_ci_u32_e32 v15, vcc_lo, 0, v5, vcc_lo
	v_cmp_ne_u32_e32 vcc_lo, 0, v9
	s_delay_alu instid0(VALU_DEP_2) | instskip(NEXT) | instid1(VALU_DEP_4)
	v_cndmask_b32_e32 v9, v15, v14, vcc_lo
	v_cndmask_b32_e32 v11, v12, v13, vcc_lo
	v_cmp_ne_u32_e32 vcc_lo, 0, v3
	v_xor_b32_e32 v3, s20, v20
	s_delay_alu instid0(VALU_DEP_3) | instskip(SKIP_2) | instid1(VALU_DEP_3)
	v_cndmask_b32_e32 v1, v1, v11, vcc_lo
	v_cndmask_b32_e32 v5, v5, v9, vcc_lo
	v_xor_b32_e32 v9, s21, v20
	v_xor_b32_e32 v1, v1, v3
	s_delay_alu instid0(VALU_DEP_2) | instskip(NEXT) | instid1(VALU_DEP_2)
	v_xor_b32_e32 v5, v5, v9
	v_sub_co_u32 v11, vcc_lo, v1, v3
	s_delay_alu instid0(VALU_DEP_2)
	v_sub_co_ci_u32_e32 v12, vcc_lo, v5, v9, vcc_lo
.LBB81_28:                              ;   in Loop: Header=BB81_22 Depth=2
	s_and_not1_saveexec_b32 s0, s44
	s_cbranch_execz .LBB81_30
; %bb.29:                               ;   in Loop: Header=BB81_22 Depth=2
	v_cvt_f32_u32_e32 v1, s43
	s_sub_i32 s20, 0, s43
	v_mov_b32_e32 v12, v4
	s_delay_alu instid0(VALU_DEP_2) | instskip(SKIP_2) | instid1(VALU_DEP_1)
	v_rcp_iflag_f32_e32 v1, v1
	s_waitcnt_depctr 0xfff
	v_mul_f32_e32 v1, 0x4f7ffffe, v1
	v_cvt_u32_f32_e32 v1, v1
	s_delay_alu instid0(VALU_DEP_1) | instskip(NEXT) | instid1(VALU_DEP_1)
	v_mul_lo_u32 v3, s20, v1
	v_mul_hi_u32 v3, v1, v3
	s_delay_alu instid0(VALU_DEP_1) | instskip(NEXT) | instid1(VALU_DEP_1)
	v_add_nc_u32_e32 v1, v1, v3
	v_mul_hi_u32 v1, v2, v1
	s_delay_alu instid0(VALU_DEP_1) | instskip(SKIP_1) | instid1(VALU_DEP_2)
	v_mul_lo_u32 v3, v1, s43
	v_add_nc_u32_e32 v5, 1, v1
	v_sub_nc_u32_e32 v3, v2, v3
	s_delay_alu instid0(VALU_DEP_1) | instskip(SKIP_1) | instid1(VALU_DEP_2)
	v_subrev_nc_u32_e32 v9, s43, v3
	v_cmp_le_u32_e32 vcc_lo, s43, v3
	v_cndmask_b32_e32 v3, v3, v9, vcc_lo
	v_cndmask_b32_e32 v1, v1, v5, vcc_lo
	s_delay_alu instid0(VALU_DEP_2) | instskip(NEXT) | instid1(VALU_DEP_2)
	v_cmp_le_u32_e32 vcc_lo, s43, v3
	v_add_nc_u32_e32 v5, 1, v1
	s_delay_alu instid0(VALU_DEP_1)
	v_cndmask_b32_e32 v11, v1, v5, vcc_lo
.LBB81_30:                              ;   in Loop: Header=BB81_22 Depth=2
	s_or_b32 exec_lo, exec_lo, s0
	s_add_u32 s24, s31, s22
	s_addc_u32 s25, s33, s23
	s_add_i32 s20, s16, -2
	s_mov_b32 s21, s17
                                        ; implicit-def: $vgpr13_vgpr14
	s_delay_alu instid0(SALU_CYCLE_1) | instskip(NEXT) | instid1(SALU_CYCLE_1)
	s_lshl_b64 s[20:21], s[20:21], 2
	s_add_u32 s22, s27, s20
	s_addc_u32 s23, s28, s21
	s_clause 0x2
	s_load_b32 s46, s[22:23], 0x8
	s_load_b32 s44, s[18:19], 0x6c
	;; [unrolled: 1-line block ×3, first 2 shown]
	s_mov_b32 s18, exec_lo
	s_waitcnt lgkmcnt(0)
	s_ashr_i32 s0, s46, 31
	s_delay_alu instid0(SALU_CYCLE_1) | instskip(NEXT) | instid1(VALU_DEP_1)
	v_or_b32_e32 v5, s0, v12
	v_cmpx_ne_u64_e32 0, v[4:5]
	s_xor_b32 s47, exec_lo, s18
	s_cbranch_execz .LBB81_32
; %bb.31:                               ;   in Loop: Header=BB81_22 Depth=2
	s_add_u32 s24, s46, s0
	s_mov_b32 s18, s0
	s_mov_b32 s19, s0
	s_addc_u32 s25, s0, s0
	s_delay_alu instid0(SALU_CYCLE_1) | instskip(NEXT) | instid1(SALU_CYCLE_1)
	s_xor_b64 s[24:25], s[24:25], s[18:19]
	v_cvt_f32_u32_e32 v1, s24
	v_cvt_f32_u32_e32 v3, s25
	s_sub_u32 s0, 0, s24
	s_subb_u32 s48, 0, s25
	s_delay_alu instid0(VALU_DEP_1) | instskip(NEXT) | instid1(VALU_DEP_1)
	v_fmac_f32_e32 v1, 0x4f800000, v3
	v_rcp_f32_e32 v1, v1
	s_waitcnt_depctr 0xfff
	v_mul_f32_e32 v1, 0x5f7ffffc, v1
	s_delay_alu instid0(VALU_DEP_1) | instskip(NEXT) | instid1(VALU_DEP_1)
	v_mul_f32_e32 v3, 0x2f800000, v1
	v_trunc_f32_e32 v3, v3
	s_delay_alu instid0(VALU_DEP_1) | instskip(SKIP_1) | instid1(VALU_DEP_2)
	v_fmac_f32_e32 v1, 0xcf800000, v3
	v_cvt_u32_f32_e32 v3, v3
	v_cvt_u32_f32_e32 v1, v1
	s_delay_alu instid0(VALU_DEP_2) | instskip(NEXT) | instid1(VALU_DEP_2)
	v_mul_lo_u32 v5, s0, v3
	v_mul_hi_u32 v9, s0, v1
	v_mul_lo_u32 v13, s48, v1
	s_delay_alu instid0(VALU_DEP_2) | instskip(SKIP_1) | instid1(VALU_DEP_2)
	v_add_nc_u32_e32 v5, v9, v5
	v_mul_lo_u32 v9, s0, v1
	v_add_nc_u32_e32 v5, v5, v13
	s_delay_alu instid0(VALU_DEP_2) | instskip(NEXT) | instid1(VALU_DEP_2)
	v_mul_hi_u32 v13, v1, v9
	v_mul_lo_u32 v14, v1, v5
	v_mul_hi_u32 v15, v1, v5
	v_mul_hi_u32 v16, v3, v9
	v_mul_lo_u32 v9, v3, v9
	v_mul_hi_u32 v20, v3, v5
	v_mul_lo_u32 v5, v3, v5
	v_add_co_u32 v13, vcc_lo, v13, v14
	v_add_co_ci_u32_e32 v14, vcc_lo, 0, v15, vcc_lo
	s_delay_alu instid0(VALU_DEP_2) | instskip(NEXT) | instid1(VALU_DEP_2)
	v_add_co_u32 v9, vcc_lo, v13, v9
	v_add_co_ci_u32_e32 v9, vcc_lo, v14, v16, vcc_lo
	v_add_co_ci_u32_e32 v13, vcc_lo, 0, v20, vcc_lo
	v_ashrrev_i32_e32 v16, 31, v12
	s_delay_alu instid0(VALU_DEP_3) | instskip(NEXT) | instid1(VALU_DEP_3)
	v_add_co_u32 v5, vcc_lo, v9, v5
	v_add_co_ci_u32_e32 v9, vcc_lo, 0, v13, vcc_lo
	s_delay_alu instid0(VALU_DEP_2) | instskip(NEXT) | instid1(VALU_DEP_2)
	v_add_co_u32 v1, vcc_lo, v1, v5
	v_add_co_ci_u32_e32 v3, vcc_lo, v3, v9, vcc_lo
	s_delay_alu instid0(VALU_DEP_2) | instskip(SKIP_1) | instid1(VALU_DEP_3)
	v_mul_hi_u32 v5, s0, v1
	v_mul_lo_u32 v13, s48, v1
	v_mul_lo_u32 v9, s0, v3
	s_delay_alu instid0(VALU_DEP_1) | instskip(SKIP_1) | instid1(VALU_DEP_2)
	v_add_nc_u32_e32 v5, v5, v9
	v_mul_lo_u32 v9, s0, v1
	v_add_nc_u32_e32 v5, v5, v13
	s_delay_alu instid0(VALU_DEP_2) | instskip(NEXT) | instid1(VALU_DEP_2)
	v_mul_hi_u32 v13, v1, v9
	v_mul_lo_u32 v14, v1, v5
	v_mul_hi_u32 v15, v1, v5
	v_mul_hi_u32 v20, v3, v9
	v_mul_lo_u32 v9, v3, v9
	v_mul_hi_u32 v21, v3, v5
	v_mul_lo_u32 v5, v3, v5
	v_add_co_u32 v13, vcc_lo, v13, v14
	v_add_co_ci_u32_e32 v14, vcc_lo, 0, v15, vcc_lo
	s_delay_alu instid0(VALU_DEP_2) | instskip(NEXT) | instid1(VALU_DEP_2)
	v_add_co_u32 v9, vcc_lo, v13, v9
	v_add_co_ci_u32_e32 v9, vcc_lo, v14, v20, vcc_lo
	v_add_co_ci_u32_e32 v13, vcc_lo, 0, v21, vcc_lo
	v_add_co_u32 v14, vcc_lo, v11, v16
	v_add_co_ci_u32_e32 v12, vcc_lo, v12, v16, vcc_lo
	s_delay_alu instid0(VALU_DEP_4) | instskip(NEXT) | instid1(VALU_DEP_4)
	v_add_co_u32 v5, vcc_lo, v9, v5
	v_add_co_ci_u32_e32 v9, vcc_lo, 0, v13, vcc_lo
	s_delay_alu instid0(VALU_DEP_4) | instskip(NEXT) | instid1(VALU_DEP_3)
	v_xor_b32_e32 v22, v14, v16
	v_add_co_u32 v1, vcc_lo, v1, v5
	s_delay_alu instid0(VALU_DEP_3) | instskip(SKIP_1) | instid1(VALU_DEP_3)
	v_add_co_ci_u32_e32 v3, vcc_lo, v3, v9, vcc_lo
	v_xor_b32_e32 v5, v12, v16
	v_mul_hi_u32 v9, v22, v1
	s_delay_alu instid0(VALU_DEP_3) | instskip(NEXT) | instid1(VALU_DEP_3)
	v_mad_u64_u32 v[12:13], null, v22, v3, 0
	v_mad_u64_u32 v[14:15], null, v5, v1, 0
	;; [unrolled: 1-line block ×3, first 2 shown]
	s_delay_alu instid0(VALU_DEP_3) | instskip(NEXT) | instid1(VALU_DEP_4)
	v_add_co_u32 v1, vcc_lo, v9, v12
	v_add_co_ci_u32_e32 v3, vcc_lo, 0, v13, vcc_lo
	s_delay_alu instid0(VALU_DEP_2) | instskip(NEXT) | instid1(VALU_DEP_2)
	v_add_co_u32 v1, vcc_lo, v1, v14
	v_add_co_ci_u32_e32 v1, vcc_lo, v3, v15, vcc_lo
	v_add_co_ci_u32_e32 v3, vcc_lo, 0, v21, vcc_lo
	s_delay_alu instid0(VALU_DEP_2) | instskip(NEXT) | instid1(VALU_DEP_2)
	v_add_co_u32 v1, vcc_lo, v1, v20
	v_add_co_ci_u32_e32 v3, vcc_lo, 0, v3, vcc_lo
	s_delay_alu instid0(VALU_DEP_2) | instskip(SKIP_1) | instid1(VALU_DEP_3)
	v_mul_lo_u32 v9, s25, v1
	v_mad_u64_u32 v[12:13], null, s24, v1, 0
	v_mul_lo_u32 v14, s24, v3
	s_delay_alu instid0(VALU_DEP_2) | instskip(NEXT) | instid1(VALU_DEP_2)
	v_sub_co_u32 v12, vcc_lo, v22, v12
	v_add3_u32 v9, v13, v14, v9
	s_delay_alu instid0(VALU_DEP_1) | instskip(NEXT) | instid1(VALU_DEP_1)
	v_sub_nc_u32_e32 v13, v5, v9
	v_subrev_co_ci_u32_e64 v13, s0, s25, v13, vcc_lo
	v_add_co_u32 v14, s0, v1, 2
	s_delay_alu instid0(VALU_DEP_1) | instskip(SKIP_3) | instid1(VALU_DEP_3)
	v_add_co_ci_u32_e64 v15, s0, 0, v3, s0
	v_sub_co_u32 v20, s0, v12, s24
	v_sub_co_ci_u32_e32 v5, vcc_lo, v5, v9, vcc_lo
	v_subrev_co_ci_u32_e64 v13, s0, 0, v13, s0
	v_cmp_le_u32_e32 vcc_lo, s24, v20
	s_delay_alu instid0(VALU_DEP_3) | instskip(SKIP_1) | instid1(VALU_DEP_4)
	v_cmp_eq_u32_e64 s0, s25, v5
	v_cndmask_b32_e64 v9, 0, -1, vcc_lo
	v_cmp_le_u32_e32 vcc_lo, s25, v13
	v_cndmask_b32_e64 v20, 0, -1, vcc_lo
	v_cmp_le_u32_e32 vcc_lo, s24, v12
	;; [unrolled: 2-line block ×3, first 2 shown]
	v_cndmask_b32_e64 v21, 0, -1, vcc_lo
	v_cmp_eq_u32_e32 vcc_lo, s25, v13
	s_delay_alu instid0(VALU_DEP_2) | instskip(SKIP_3) | instid1(VALU_DEP_3)
	v_cndmask_b32_e64 v5, v21, v12, s0
	v_cndmask_b32_e32 v9, v20, v9, vcc_lo
	v_add_co_u32 v13, vcc_lo, v1, 1
	v_add_co_ci_u32_e32 v20, vcc_lo, 0, v3, vcc_lo
	v_cmp_ne_u32_e32 vcc_lo, 0, v9
	s_delay_alu instid0(VALU_DEP_2) | instskip(SKIP_2) | instid1(VALU_DEP_3)
	v_dual_cndmask_b32 v12, v13, v14 :: v_dual_cndmask_b32 v9, v20, v15
	v_cmp_ne_u32_e32 vcc_lo, 0, v5
	v_xor_b32_e32 v5, s18, v16
	v_cndmask_b32_e32 v1, v1, v12, vcc_lo
	s_delay_alu instid0(VALU_DEP_4) | instskip(SKIP_1) | instid1(VALU_DEP_3)
	v_cndmask_b32_e32 v3, v3, v9, vcc_lo
	v_xor_b32_e32 v9, s19, v16
	v_xor_b32_e32 v1, v1, v5
	s_delay_alu instid0(VALU_DEP_2) | instskip(NEXT) | instid1(VALU_DEP_2)
	v_xor_b32_e32 v3, v3, v9
	v_sub_co_u32 v13, vcc_lo, v1, v5
	s_delay_alu instid0(VALU_DEP_2)
	v_sub_co_ci_u32_e32 v14, vcc_lo, v3, v9, vcc_lo
.LBB81_32:                              ;   in Loop: Header=BB81_22 Depth=2
	s_and_not1_saveexec_b32 s0, s47
	s_cbranch_execz .LBB81_34
; %bb.33:                               ;   in Loop: Header=BB81_22 Depth=2
	v_cvt_f32_u32_e32 v1, s46
	s_sub_i32 s18, 0, s46
	v_mov_b32_e32 v14, v4
	s_delay_alu instid0(VALU_DEP_2) | instskip(SKIP_2) | instid1(VALU_DEP_1)
	v_rcp_iflag_f32_e32 v1, v1
	s_waitcnt_depctr 0xfff
	v_mul_f32_e32 v1, 0x4f7ffffe, v1
	v_cvt_u32_f32_e32 v1, v1
	s_delay_alu instid0(VALU_DEP_1) | instskip(NEXT) | instid1(VALU_DEP_1)
	v_mul_lo_u32 v3, s18, v1
	v_mul_hi_u32 v3, v1, v3
	s_delay_alu instid0(VALU_DEP_1) | instskip(NEXT) | instid1(VALU_DEP_1)
	v_add_nc_u32_e32 v1, v1, v3
	v_mul_hi_u32 v1, v11, v1
	s_delay_alu instid0(VALU_DEP_1) | instskip(SKIP_1) | instid1(VALU_DEP_2)
	v_mul_lo_u32 v3, v1, s46
	v_add_nc_u32_e32 v5, 1, v1
	v_sub_nc_u32_e32 v3, v11, v3
	s_delay_alu instid0(VALU_DEP_1) | instskip(SKIP_1) | instid1(VALU_DEP_2)
	v_subrev_nc_u32_e32 v9, s46, v3
	v_cmp_le_u32_e32 vcc_lo, s46, v3
	v_cndmask_b32_e32 v3, v3, v9, vcc_lo
	v_cndmask_b32_e32 v1, v1, v5, vcc_lo
	s_delay_alu instid0(VALU_DEP_2) | instskip(NEXT) | instid1(VALU_DEP_2)
	v_cmp_le_u32_e32 vcc_lo, s46, v3
	v_add_nc_u32_e32 v5, 1, v1
	s_delay_alu instid0(VALU_DEP_1)
	v_cndmask_b32_e32 v13, v1, v5, vcc_lo
.LBB81_34:                              ;   in Loop: Header=BB81_22 Depth=2
	s_or_b32 exec_lo, exec_lo, s0
	s_add_u32 s24, s31, s20
	s_addc_u32 s25, s33, s21
	s_add_i32 s18, s16, -3
	s_mov_b32 s19, s17
                                        ; implicit-def: $vgpr15_vgpr16
	s_delay_alu instid0(SALU_CYCLE_1) | instskip(NEXT) | instid1(SALU_CYCLE_1)
	s_lshl_b64 s[20:21], s[18:19], 2
	s_add_u32 s18, s27, s20
	s_addc_u32 s19, s28, s21
	s_clause 0x2
	s_load_b32 s49, s[18:19], 0x8
	s_load_b32 s47, s[22:23], 0x6c
	;; [unrolled: 1-line block ×3, first 2 shown]
	s_mov_b32 s22, exec_lo
	s_waitcnt lgkmcnt(0)
	s_ashr_i32 s0, s49, 31
	s_delay_alu instid0(SALU_CYCLE_1) | instskip(NEXT) | instid1(VALU_DEP_1)
	v_or_b32_e32 v5, s0, v14
	v_cmpx_ne_u64_e32 0, v[4:5]
	s_xor_b32 s50, exec_lo, s22
	s_cbranch_execz .LBB81_36
; %bb.35:                               ;   in Loop: Header=BB81_22 Depth=2
	s_add_u32 s24, s49, s0
	s_mov_b32 s22, s0
	s_mov_b32 s23, s0
	s_addc_u32 s25, s0, s0
	v_ashrrev_i32_e32 v24, 31, v14
	s_xor_b64 s[24:25], s[24:25], s[22:23]
	s_delay_alu instid0(SALU_CYCLE_1) | instskip(SKIP_3) | instid1(VALU_DEP_1)
	v_cvt_f32_u32_e32 v1, s24
	v_cvt_f32_u32_e32 v3, s25
	s_sub_u32 s0, 0, s24
	s_subb_u32 s51, 0, s25
	v_fmac_f32_e32 v1, 0x4f800000, v3
	s_delay_alu instid0(VALU_DEP_1) | instskip(SKIP_2) | instid1(VALU_DEP_1)
	v_rcp_f32_e32 v1, v1
	s_waitcnt_depctr 0xfff
	v_mul_f32_e32 v1, 0x5f7ffffc, v1
	v_mul_f32_e32 v3, 0x2f800000, v1
	s_delay_alu instid0(VALU_DEP_1) | instskip(NEXT) | instid1(VALU_DEP_1)
	v_trunc_f32_e32 v3, v3
	v_fmac_f32_e32 v1, 0xcf800000, v3
	v_cvt_u32_f32_e32 v3, v3
	s_delay_alu instid0(VALU_DEP_2) | instskip(NEXT) | instid1(VALU_DEP_2)
	v_cvt_u32_f32_e32 v1, v1
	v_mul_lo_u32 v5, s0, v3
	s_delay_alu instid0(VALU_DEP_2) | instskip(SKIP_1) | instid1(VALU_DEP_2)
	v_mul_hi_u32 v9, s0, v1
	v_mul_lo_u32 v12, s51, v1
	v_add_nc_u32_e32 v5, v9, v5
	v_mul_lo_u32 v9, s0, v1
	s_delay_alu instid0(VALU_DEP_2) | instskip(NEXT) | instid1(VALU_DEP_2)
	v_add_nc_u32_e32 v5, v5, v12
	v_mul_hi_u32 v12, v1, v9
	s_delay_alu instid0(VALU_DEP_2)
	v_mul_lo_u32 v15, v1, v5
	v_mul_hi_u32 v16, v1, v5
	v_mul_hi_u32 v20, v3, v9
	v_mul_lo_u32 v9, v3, v9
	v_mul_hi_u32 v21, v3, v5
	v_mul_lo_u32 v5, v3, v5
	v_add_co_u32 v12, vcc_lo, v12, v15
	v_add_co_ci_u32_e32 v15, vcc_lo, 0, v16, vcc_lo
	s_delay_alu instid0(VALU_DEP_2) | instskip(NEXT) | instid1(VALU_DEP_2)
	v_add_co_u32 v9, vcc_lo, v12, v9
	v_add_co_ci_u32_e32 v9, vcc_lo, v15, v20, vcc_lo
	v_add_co_ci_u32_e32 v12, vcc_lo, 0, v21, vcc_lo
	s_delay_alu instid0(VALU_DEP_2) | instskip(NEXT) | instid1(VALU_DEP_2)
	v_add_co_u32 v5, vcc_lo, v9, v5
	v_add_co_ci_u32_e32 v9, vcc_lo, 0, v12, vcc_lo
	s_delay_alu instid0(VALU_DEP_2) | instskip(NEXT) | instid1(VALU_DEP_2)
	v_add_co_u32 v1, vcc_lo, v1, v5
	v_add_co_ci_u32_e32 v3, vcc_lo, v3, v9, vcc_lo
	s_delay_alu instid0(VALU_DEP_2) | instskip(SKIP_1) | instid1(VALU_DEP_3)
	v_mul_hi_u32 v5, s0, v1
	v_mul_lo_u32 v12, s51, v1
	v_mul_lo_u32 v9, s0, v3
	s_delay_alu instid0(VALU_DEP_1) | instskip(SKIP_1) | instid1(VALU_DEP_2)
	v_add_nc_u32_e32 v5, v5, v9
	v_mul_lo_u32 v9, s0, v1
	v_add_nc_u32_e32 v5, v5, v12
	s_delay_alu instid0(VALU_DEP_2) | instskip(NEXT) | instid1(VALU_DEP_2)
	v_mul_hi_u32 v12, v1, v9
	v_mul_lo_u32 v15, v1, v5
	v_mul_hi_u32 v16, v1, v5
	v_mul_hi_u32 v20, v3, v9
	v_mul_lo_u32 v9, v3, v9
	v_mul_hi_u32 v21, v3, v5
	v_mul_lo_u32 v5, v3, v5
	v_add_co_u32 v12, vcc_lo, v12, v15
	v_add_co_ci_u32_e32 v15, vcc_lo, 0, v16, vcc_lo
	s_delay_alu instid0(VALU_DEP_2) | instskip(NEXT) | instid1(VALU_DEP_2)
	v_add_co_u32 v9, vcc_lo, v12, v9
	v_add_co_ci_u32_e32 v9, vcc_lo, v15, v20, vcc_lo
	v_add_co_ci_u32_e32 v12, vcc_lo, 0, v21, vcc_lo
	v_add_co_u32 v15, vcc_lo, v13, v24
	v_add_co_ci_u32_e32 v14, vcc_lo, v14, v24, vcc_lo
	s_delay_alu instid0(VALU_DEP_4) | instskip(NEXT) | instid1(VALU_DEP_4)
	v_add_co_u32 v5, vcc_lo, v9, v5
	v_add_co_ci_u32_e32 v9, vcc_lo, 0, v12, vcc_lo
	s_delay_alu instid0(VALU_DEP_4) | instskip(NEXT) | instid1(VALU_DEP_3)
	v_xor_b32_e32 v12, v15, v24
	v_add_co_u32 v1, vcc_lo, v1, v5
	s_delay_alu instid0(VALU_DEP_3) | instskip(SKIP_1) | instid1(VALU_DEP_3)
	v_add_co_ci_u32_e32 v3, vcc_lo, v3, v9, vcc_lo
	v_xor_b32_e32 v5, v14, v24
	v_mul_hi_u32 v9, v12, v1
	s_delay_alu instid0(VALU_DEP_3) | instskip(NEXT) | instid1(VALU_DEP_3)
	v_mad_u64_u32 v[14:15], null, v12, v3, 0
	v_mad_u64_u32 v[20:21], null, v5, v1, 0
	;; [unrolled: 1-line block ×3, first 2 shown]
	s_delay_alu instid0(VALU_DEP_3) | instskip(NEXT) | instid1(VALU_DEP_4)
	v_add_co_u32 v1, vcc_lo, v9, v14
	v_add_co_ci_u32_e32 v3, vcc_lo, 0, v15, vcc_lo
	s_delay_alu instid0(VALU_DEP_2) | instskip(NEXT) | instid1(VALU_DEP_2)
	v_add_co_u32 v1, vcc_lo, v1, v20
	v_add_co_ci_u32_e32 v1, vcc_lo, v3, v21, vcc_lo
	v_add_co_ci_u32_e32 v3, vcc_lo, 0, v23, vcc_lo
	s_delay_alu instid0(VALU_DEP_2) | instskip(NEXT) | instid1(VALU_DEP_2)
	v_add_co_u32 v1, vcc_lo, v1, v22
	v_add_co_ci_u32_e32 v3, vcc_lo, 0, v3, vcc_lo
	s_delay_alu instid0(VALU_DEP_2) | instskip(SKIP_1) | instid1(VALU_DEP_3)
	v_mul_lo_u32 v9, s25, v1
	v_mad_u64_u32 v[14:15], null, s24, v1, 0
	v_mul_lo_u32 v16, s24, v3
	s_delay_alu instid0(VALU_DEP_2) | instskip(NEXT) | instid1(VALU_DEP_2)
	v_sub_co_u32 v12, vcc_lo, v12, v14
	v_add3_u32 v9, v15, v16, v9
	s_delay_alu instid0(VALU_DEP_1) | instskip(NEXT) | instid1(VALU_DEP_1)
	v_sub_nc_u32_e32 v15, v5, v9
	v_subrev_co_ci_u32_e64 v14, s0, s25, v15, vcc_lo
	v_add_co_u32 v15, s0, v1, 2
	s_delay_alu instid0(VALU_DEP_1) | instskip(SKIP_3) | instid1(VALU_DEP_3)
	v_add_co_ci_u32_e64 v16, s0, 0, v3, s0
	v_sub_co_u32 v20, s0, v12, s24
	v_sub_co_ci_u32_e32 v5, vcc_lo, v5, v9, vcc_lo
	v_subrev_co_ci_u32_e64 v14, s0, 0, v14, s0
	v_cmp_le_u32_e32 vcc_lo, s24, v20
	s_delay_alu instid0(VALU_DEP_3) | instskip(SKIP_1) | instid1(VALU_DEP_4)
	v_cmp_eq_u32_e64 s0, s25, v5
	v_cndmask_b32_e64 v9, 0, -1, vcc_lo
	v_cmp_le_u32_e32 vcc_lo, s25, v14
	v_cndmask_b32_e64 v20, 0, -1, vcc_lo
	v_cmp_le_u32_e32 vcc_lo, s24, v12
	;; [unrolled: 2-line block ×3, first 2 shown]
	v_cndmask_b32_e64 v21, 0, -1, vcc_lo
	v_cmp_eq_u32_e32 vcc_lo, s25, v14
	s_delay_alu instid0(VALU_DEP_2) | instskip(SKIP_3) | instid1(VALU_DEP_3)
	v_cndmask_b32_e64 v5, v21, v12, s0
	v_cndmask_b32_e32 v9, v20, v9, vcc_lo
	v_add_co_u32 v14, vcc_lo, v1, 1
	v_add_co_ci_u32_e32 v20, vcc_lo, 0, v3, vcc_lo
	v_cmp_ne_u32_e32 vcc_lo, 0, v9
	s_delay_alu instid0(VALU_DEP_2) | instskip(SKIP_2) | instid1(VALU_DEP_3)
	v_dual_cndmask_b32 v12, v14, v15 :: v_dual_cndmask_b32 v9, v20, v16
	v_cmp_ne_u32_e32 vcc_lo, 0, v5
	v_xor_b32_e32 v5, s22, v24
	v_cndmask_b32_e32 v1, v1, v12, vcc_lo
	s_delay_alu instid0(VALU_DEP_4) | instskip(SKIP_1) | instid1(VALU_DEP_3)
	v_cndmask_b32_e32 v3, v3, v9, vcc_lo
	v_xor_b32_e32 v9, s23, v24
	v_xor_b32_e32 v1, v1, v5
	s_delay_alu instid0(VALU_DEP_2) | instskip(NEXT) | instid1(VALU_DEP_2)
	v_xor_b32_e32 v3, v3, v9
	v_sub_co_u32 v15, vcc_lo, v1, v5
	s_delay_alu instid0(VALU_DEP_2)
	v_sub_co_ci_u32_e32 v16, vcc_lo, v3, v9, vcc_lo
.LBB81_36:                              ;   in Loop: Header=BB81_22 Depth=2
	s_and_not1_saveexec_b32 s0, s50
	s_cbranch_execz .LBB81_38
; %bb.37:                               ;   in Loop: Header=BB81_22 Depth=2
	v_cvt_f32_u32_e32 v1, s49
	s_sub_i32 s22, 0, s49
	v_mov_b32_e32 v16, v4
	s_delay_alu instid0(VALU_DEP_2) | instskip(SKIP_2) | instid1(VALU_DEP_1)
	v_rcp_iflag_f32_e32 v1, v1
	s_waitcnt_depctr 0xfff
	v_mul_f32_e32 v1, 0x4f7ffffe, v1
	v_cvt_u32_f32_e32 v1, v1
	s_delay_alu instid0(VALU_DEP_1) | instskip(NEXT) | instid1(VALU_DEP_1)
	v_mul_lo_u32 v3, s22, v1
	v_mul_hi_u32 v3, v1, v3
	s_delay_alu instid0(VALU_DEP_1) | instskip(NEXT) | instid1(VALU_DEP_1)
	v_add_nc_u32_e32 v1, v1, v3
	v_mul_hi_u32 v1, v13, v1
	s_delay_alu instid0(VALU_DEP_1) | instskip(SKIP_1) | instid1(VALU_DEP_2)
	v_mul_lo_u32 v3, v1, s49
	v_add_nc_u32_e32 v5, 1, v1
	v_sub_nc_u32_e32 v3, v13, v3
	s_delay_alu instid0(VALU_DEP_1) | instskip(SKIP_1) | instid1(VALU_DEP_2)
	v_subrev_nc_u32_e32 v9, s49, v3
	v_cmp_le_u32_e32 vcc_lo, s49, v3
	v_cndmask_b32_e32 v3, v3, v9, vcc_lo
	v_cndmask_b32_e32 v1, v1, v5, vcc_lo
	s_delay_alu instid0(VALU_DEP_2) | instskip(NEXT) | instid1(VALU_DEP_2)
	v_cmp_le_u32_e32 vcc_lo, s49, v3
	v_add_nc_u32_e32 v5, 1, v1
	s_delay_alu instid0(VALU_DEP_1)
	v_cndmask_b32_e32 v15, v1, v5, vcc_lo
.LBB81_38:                              ;   in Loop: Header=BB81_22 Depth=2
	s_or_b32 exec_lo, exec_lo, s0
	s_add_u32 s20, s31, s20
	s_addc_u32 s21, s33, s21
	s_clause 0x1
	s_load_b32 s0, s[18:19], 0x6c
	s_load_b32 s18, s[20:21], 0x0
	v_mul_lo_u32 v1, v2, s40
	v_mul_lo_u32 v3, v11, s43
	;; [unrolled: 1-line block ×4, first 2 shown]
	s_add_i32 s16, s16, -4
	s_delay_alu instid0(SALU_CYCLE_1) | instskip(NEXT) | instid1(VALU_DEP_4)
	s_cmp_eq_u32 s16, -1
	v_sub_nc_u32_e32 v0, v0, v1
	s_delay_alu instid0(VALU_DEP_4) | instskip(NEXT) | instid1(VALU_DEP_4)
	v_sub_nc_u32_e32 v1, v2, v3
	v_sub_nc_u32_e32 v2, v11, v5
	s_delay_alu instid0(VALU_DEP_4) | instskip(NEXT) | instid1(VALU_DEP_4)
	v_sub_nc_u32_e32 v3, v13, v9
	v_mul_lo_u32 v5, s41, v0
	v_mul_lo_u32 v0, s42, v0
	;; [unrolled: 1-line block ×6, first 2 shown]
	s_waitcnt lgkmcnt(0)
	v_mul_lo_u32 v12, s0, v3
	v_mul_lo_u32 v3, s18, v3
	v_add3_u32 v5, v5, v10, v9
	v_add3_u32 v0, v0, v8, v1
	s_delay_alu instid0(VALU_DEP_2) | instskip(NEXT) | instid1(VALU_DEP_2)
	v_add3_u32 v10, v11, v5, v12
	v_add3_u32 v8, v2, v0, v3
	s_cbranch_scc1 .LBB81_40
; %bb.39:                               ;   in Loop: Header=BB81_22 Depth=2
	v_dual_mov_b32 v0, v15 :: v_dual_mov_b32 v1, v16
	s_branch .LBB81_22
.LBB81_40:                              ;   in Loop: Header=BB81_3 Depth=1
	v_sub_nc_u32_e32 v9, v18, v19
	v_mov_b32_e32 v2, 0
	s_delay_alu instid0(VALU_DEP_2) | instskip(NEXT) | instid1(VALU_DEP_1)
	v_dual_mov_b32 v3, 0 :: v_dual_add_nc_u32 v0, 1, v9
	v_ashrrev_i32_e32 v1, 31, v0
	s_delay_alu instid0(VALU_DEP_1) | instskip(NEXT) | instid1(VALU_DEP_3)
	v_cmp_le_i64_e32 vcc_lo, s[4:5], v[0:1]
	v_dual_mov_b32 v0, v2 :: v_dual_mov_b32 v1, v3
	s_and_saveexec_b32 s0, vcc_lo
	s_cbranch_execz .LBB81_44
; %bb.41:                               ;   in Loop: Header=BB81_3 Depth=1
	v_mov_b32_e32 v0, 0
	v_mov_b32_e32 v1, 0
	s_mov_b32 s16, exec_lo
	s_delay_alu instid0(VALU_DEP_1)
	v_dual_mov_b32 v3, v1 :: v_dual_mov_b32 v2, v0
	v_cmpx_gt_i32_e64 s9, v18
	s_cbranch_execz .LBB81_43
; %bb.42:                               ;   in Loop: Header=BB81_3 Depth=1
	v_ashrrev_i32_e32 v11, 31, v10
	s_delay_alu instid0(VALU_DEP_1) | instskip(NEXT) | instid1(VALU_DEP_1)
	v_lshlrev_b64 v[0:1], 4, v[10:11]
	v_add_co_u32 v0, vcc_lo, s2, v0
	s_delay_alu instid0(VALU_DEP_2)
	v_add_co_ci_u32_e32 v1, vcc_lo, s3, v1, vcc_lo
	global_load_b128 v[0:3], v[0:1], off
.LBB81_43:                              ;   in Loop: Header=BB81_3 Depth=1
	s_or_b32 exec_lo, exec_lo, s16
	v_ashrrev_i32_e32 v10, 31, v9
	s_delay_alu instid0(VALU_DEP_1)
	v_cmp_gt_i64_e32 vcc_lo, s[4:5], v[9:10]
	s_waitcnt vmcnt(0)
	v_cndmask_b32_e64 v1, v1, 0, vcc_lo
	v_cndmask_b32_e64 v0, v0, 0, vcc_lo
	;; [unrolled: 1-line block ×4, first 2 shown]
.LBB81_44:                              ;   in Loop: Header=BB81_3 Depth=1
	s_or_b32 exec_lo, exec_lo, s0
	s_delay_alu instid0(SALU_CYCLE_1)
	s_mov_b32 s0, exec_lo
	v_cmpx_gt_i32_e64 s9, v18
	s_cbranch_execz .LBB81_2
; %bb.45:                               ;   in Loop: Header=BB81_3 Depth=1
	v_ashrrev_i32_e32 v9, 31, v8
	s_delay_alu instid0(VALU_DEP_1) | instskip(NEXT) | instid1(VALU_DEP_1)
	v_lshlrev_b64 v[8:9], 4, v[8:9]
	v_add_co_u32 v8, vcc_lo, s14, v8
	s_delay_alu instid0(VALU_DEP_2)
	v_add_co_ci_u32_e32 v9, vcc_lo, s15, v9, vcc_lo
	global_store_b128 v[8:9], v[0:3], off
	s_branch .LBB81_2
.LBB81_46:
	s_nop 0
	s_sendmsg sendmsg(MSG_DEALLOC_VGPRS)
	s_endpgm
	.section	.rodata,"a",@progbits
	.p2align	6, 0x0
	.amdhsa_kernel _ZN2at6native16triu_tril_kernelIN3c107complexIdEEiLb1ELi1ELb0EEEvNS_4cuda6detail10TensorInfoIT_T0_EENS7_IKS8_S9_EEllS9_
		.amdhsa_group_segment_fixed_size 0
		.amdhsa_private_segment_fixed_size 0
		.amdhsa_kernarg_size 712
		.amdhsa_user_sgpr_count 15
		.amdhsa_user_sgpr_dispatch_ptr 0
		.amdhsa_user_sgpr_queue_ptr 0
		.amdhsa_user_sgpr_kernarg_segment_ptr 1
		.amdhsa_user_sgpr_dispatch_id 0
		.amdhsa_user_sgpr_private_segment_size 0
		.amdhsa_wavefront_size32 1
		.amdhsa_uses_dynamic_stack 0
		.amdhsa_enable_private_segment 0
		.amdhsa_system_sgpr_workgroup_id_x 1
		.amdhsa_system_sgpr_workgroup_id_y 0
		.amdhsa_system_sgpr_workgroup_id_z 0
		.amdhsa_system_sgpr_workgroup_info 0
		.amdhsa_system_vgpr_workitem_id 0
		.amdhsa_next_free_vgpr 25
		.amdhsa_next_free_sgpr 52
		.amdhsa_reserve_vcc 1
		.amdhsa_float_round_mode_32 0
		.amdhsa_float_round_mode_16_64 0
		.amdhsa_float_denorm_mode_32 3
		.amdhsa_float_denorm_mode_16_64 3
		.amdhsa_dx10_clamp 1
		.amdhsa_ieee_mode 1
		.amdhsa_fp16_overflow 0
		.amdhsa_workgroup_processor_mode 1
		.amdhsa_memory_ordered 1
		.amdhsa_forward_progress 0
		.amdhsa_shared_vgpr_count 0
		.amdhsa_exception_fp_ieee_invalid_op 0
		.amdhsa_exception_fp_denorm_src 0
		.amdhsa_exception_fp_ieee_div_zero 0
		.amdhsa_exception_fp_ieee_overflow 0
		.amdhsa_exception_fp_ieee_underflow 0
		.amdhsa_exception_fp_ieee_inexact 0
		.amdhsa_exception_int_div_zero 0
	.end_amdhsa_kernel
	.section	.text._ZN2at6native16triu_tril_kernelIN3c107complexIdEEiLb1ELi1ELb0EEEvNS_4cuda6detail10TensorInfoIT_T0_EENS7_IKS8_S9_EEllS9_,"axG",@progbits,_ZN2at6native16triu_tril_kernelIN3c107complexIdEEiLb1ELi1ELb0EEEvNS_4cuda6detail10TensorInfoIT_T0_EENS7_IKS8_S9_EEllS9_,comdat
.Lfunc_end81:
	.size	_ZN2at6native16triu_tril_kernelIN3c107complexIdEEiLb1ELi1ELb0EEEvNS_4cuda6detail10TensorInfoIT_T0_EENS7_IKS8_S9_EEllS9_, .Lfunc_end81-_ZN2at6native16triu_tril_kernelIN3c107complexIdEEiLb1ELi1ELb0EEEvNS_4cuda6detail10TensorInfoIT_T0_EENS7_IKS8_S9_EEllS9_
                                        ; -- End function
	.section	.AMDGPU.csdata,"",@progbits
; Kernel info:
; codeLenInByte = 8240
; NumSgprs: 54
; NumVgprs: 25
; ScratchSize: 0
; MemoryBound: 1
; FloatMode: 240
; IeeeMode: 1
; LDSByteSize: 0 bytes/workgroup (compile time only)
; SGPRBlocks: 6
; VGPRBlocks: 3
; NumSGPRsForWavesPerEU: 54
; NumVGPRsForWavesPerEU: 25
; Occupancy: 16
; WaveLimiterHint : 0
; COMPUTE_PGM_RSRC2:SCRATCH_EN: 0
; COMPUTE_PGM_RSRC2:USER_SGPR: 15
; COMPUTE_PGM_RSRC2:TRAP_HANDLER: 0
; COMPUTE_PGM_RSRC2:TGID_X_EN: 1
; COMPUTE_PGM_RSRC2:TGID_Y_EN: 0
; COMPUTE_PGM_RSRC2:TGID_Z_EN: 0
; COMPUTE_PGM_RSRC2:TIDIG_COMP_CNT: 0
	.section	.text._ZN2at6native16triu_tril_kernelIN3c107complexIdEElLb1ELi1ELb1EEEvNS_4cuda6detail10TensorInfoIT_T0_EENS7_IKS8_S9_EEllS9_,"axG",@progbits,_ZN2at6native16triu_tril_kernelIN3c107complexIdEElLb1ELi1ELb1EEEvNS_4cuda6detail10TensorInfoIT_T0_EENS7_IKS8_S9_EEllS9_,comdat
	.protected	_ZN2at6native16triu_tril_kernelIN3c107complexIdEElLb1ELi1ELb1EEEvNS_4cuda6detail10TensorInfoIT_T0_EENS7_IKS8_S9_EEllS9_ ; -- Begin function _ZN2at6native16triu_tril_kernelIN3c107complexIdEElLb1ELi1ELb1EEEvNS_4cuda6detail10TensorInfoIT_T0_EENS7_IKS8_S9_EEllS9_
	.globl	_ZN2at6native16triu_tril_kernelIN3c107complexIdEElLb1ELi1ELb1EEEvNS_4cuda6detail10TensorInfoIT_T0_EENS7_IKS8_S9_EEllS9_
	.p2align	8
	.type	_ZN2at6native16triu_tril_kernelIN3c107complexIdEElLb1ELi1ELb1EEEvNS_4cuda6detail10TensorInfoIT_T0_EENS7_IKS8_S9_EEllS9_,@function
_ZN2at6native16triu_tril_kernelIN3c107complexIdEElLb1ELi1ELb1EEEvNS_4cuda6detail10TensorInfoIT_T0_EENS7_IKS8_S9_EEllS9_: ; @_ZN2at6native16triu_tril_kernelIN3c107complexIdEElLb1ELi1ELb1EEEvNS_4cuda6detail10TensorInfoIT_T0_EENS7_IKS8_S9_EEllS9_
; %bb.0:
	s_clause 0x1
	s_load_b32 s2, s[0:1], 0x364
	s_load_b128 s[4:7], s[0:1], 0x340
	v_mov_b32_e32 v2, 0
	s_add_u32 s10, s0, 0x358
	s_addc_u32 s11, s1, 0
	s_delay_alu instid0(VALU_DEP_1) | instskip(SKIP_3) | instid1(VALU_DEP_1)
	v_mov_b32_e32 v1, v2
	s_waitcnt lgkmcnt(0)
	s_and_b32 s24, s2, 0xffff
	s_mov_b32 s2, exec_lo
	v_mad_u64_u32 v[6:7], null, s24, s15, v[0:1]
	s_delay_alu instid0(VALU_DEP_1)
	v_cmpx_gt_i64_e64 s[6:7], v[6:7]
	s_cbranch_execz .LBB82_20
; %bb.1:
	s_clause 0x2
	s_load_b32 s26, s[0:1], 0x338
	s_load_b64 s[2:3], s[0:1], 0x350
	s_load_b64 s[8:9], s[0:1], 0x0
	s_load_b32 s25, s[10:11], 0x0
	s_mov_b32 s42, 0
	s_waitcnt lgkmcnt(0)
	s_ashr_i32 s27, s26, 31
	s_add_u32 s20, s0, 0x1a8
	s_addc_u32 s21, s1, 0
	s_lshl_b64 s[12:13], s[26:27], 3
	v_cvt_f32_u32_e32 v0, s2
	s_add_u32 s14, s12, -16
	s_addc_u32 s15, s13, -1
	s_add_u32 s22, s20, s14
	s_addc_u32 s23, s21, s15
	v_rcp_iflag_f32_e32 v0, v0
	s_add_u32 s16, s12, -8
	s_addc_u32 s17, s13, -1
	s_add_u32 s28, s0, 0xd0
	s_addc_u32 s29, s1, 0
	s_add_u32 s10, s28, s16
	s_addc_u32 s11, s29, s17
	;; [unrolled: 2-line block ×3, first 2 shown]
	s_add_i32 s0, s26, -3
	s_waitcnt_depctr 0xfff
	v_mul_f32_e32 v0, 0x4f7ffffe, v0
	s_ashr_i32 s1, s0, 31
	s_add_u32 s14, s20, s16
	s_addc_u32 s15, s21, s17
	s_lshl_b64 s[18:19], s[0:1], 3
	v_cvt_u32_f32_e32 v0, v0
	s_add_u32 s16, s28, s18
	s_addc_u32 s17, s29, s19
	s_add_u32 s18, s20, s18
	s_addc_u32 s19, s21, s19
	;; [unrolled: 2-line block ×3, first 2 shown]
	s_sub_i32 s0, 0, s2
	s_load_b64 s[22:23], s[22:23], 0x0
	v_mul_lo_u32 v1, s0, v0
	v_cmp_gt_i64_e64 s1, s[26:27], 2
	s_mul_i32 s33, s25, s24
	s_ashr_i32 s24, s3, 31
	s_delay_alu instid0(VALU_DEP_2) | instskip(NEXT) | instid1(VALU_DEP_1)
	v_mul_hi_u32 v1, v0, v1
	v_add_nc_u32_e32 v14, v0, v1
	s_waitcnt lgkmcnt(0)
	s_ashr_i32 s26, s23, 31
	s_branch .LBB82_3
.LBB82_2:                               ;   in Loop: Header=BB82_3 Depth=1
	s_or_b32 exec_lo, exec_lo, s25
	v_add_co_u32 v6, vcc_lo, v6, s33
	v_add_co_ci_u32_e32 v7, vcc_lo, 0, v7, vcc_lo
	s_delay_alu instid0(VALU_DEP_1) | instskip(SKIP_1) | instid1(SALU_CYCLE_1)
	v_cmp_le_i64_e32 vcc_lo, s[6:7], v[6:7]
	s_or_b32 s42, vcc_lo, s42
	s_and_not1_b32 exec_lo, exec_lo, s42
	s_cbranch_execz .LBB82_20
.LBB82_3:                               ; =>This Loop Header: Depth=1
                                        ;     Child Loop BB82_16 Depth 2
	v_or_b32_e32 v3, s3, v7
                                        ; implicit-def: $vgpr8_vgpr9
	s_mov_b32 s0, exec_lo
	s_delay_alu instid0(VALU_DEP_1)
	v_cmpx_ne_u64_e32 0, v[2:3]
	s_xor_b32 s27, exec_lo, s0
	s_cbranch_execz .LBB82_5
; %bb.4:                                ;   in Loop: Header=BB82_3 Depth=1
	s_add_u32 s28, s2, s24
	s_mov_b32 s25, s24
	s_addc_u32 s29, s3, s24
	s_delay_alu instid0(SALU_CYCLE_1) | instskip(NEXT) | instid1(SALU_CYCLE_1)
	s_xor_b64 s[28:29], s[28:29], s[24:25]
	v_cvt_f32_u32_e32 v0, s28
	v_cvt_f32_u32_e32 v1, s29
	s_sub_u32 s0, 0, s28
	s_subb_u32 s25, 0, s29
	s_delay_alu instid0(VALU_DEP_1) | instskip(NEXT) | instid1(VALU_DEP_1)
	v_fmac_f32_e32 v0, 0x4f800000, v1
	v_rcp_f32_e32 v0, v0
	s_waitcnt_depctr 0xfff
	v_mul_f32_e32 v0, 0x5f7ffffc, v0
	s_delay_alu instid0(VALU_DEP_1) | instskip(NEXT) | instid1(VALU_DEP_1)
	v_mul_f32_e32 v1, 0x2f800000, v0
	v_trunc_f32_e32 v1, v1
	s_delay_alu instid0(VALU_DEP_1) | instskip(SKIP_1) | instid1(VALU_DEP_2)
	v_fmac_f32_e32 v0, 0xcf800000, v1
	v_cvt_u32_f32_e32 v1, v1
	v_cvt_u32_f32_e32 v0, v0
	s_delay_alu instid0(VALU_DEP_2) | instskip(NEXT) | instid1(VALU_DEP_2)
	v_mul_lo_u32 v3, s0, v1
	v_mul_hi_u32 v4, s0, v0
	v_mul_lo_u32 v5, s25, v0
	s_delay_alu instid0(VALU_DEP_2) | instskip(SKIP_1) | instid1(VALU_DEP_2)
	v_add_nc_u32_e32 v3, v4, v3
	v_mul_lo_u32 v4, s0, v0
	v_add_nc_u32_e32 v3, v3, v5
	s_delay_alu instid0(VALU_DEP_2) | instskip(NEXT) | instid1(VALU_DEP_2)
	v_mul_hi_u32 v5, v0, v4
	v_mul_lo_u32 v8, v0, v3
	v_mul_hi_u32 v9, v0, v3
	v_mul_hi_u32 v10, v1, v4
	v_mul_lo_u32 v4, v1, v4
	v_mul_hi_u32 v11, v1, v3
	v_mul_lo_u32 v3, v1, v3
	v_add_co_u32 v5, vcc_lo, v5, v8
	v_add_co_ci_u32_e32 v8, vcc_lo, 0, v9, vcc_lo
	s_delay_alu instid0(VALU_DEP_2) | instskip(NEXT) | instid1(VALU_DEP_2)
	v_add_co_u32 v4, vcc_lo, v5, v4
	v_add_co_ci_u32_e32 v4, vcc_lo, v8, v10, vcc_lo
	v_add_co_ci_u32_e32 v5, vcc_lo, 0, v11, vcc_lo
	v_ashrrev_i32_e32 v10, 31, v7
	s_delay_alu instid0(VALU_DEP_3) | instskip(NEXT) | instid1(VALU_DEP_3)
	v_add_co_u32 v3, vcc_lo, v4, v3
	v_add_co_ci_u32_e32 v4, vcc_lo, 0, v5, vcc_lo
	s_delay_alu instid0(VALU_DEP_2) | instskip(NEXT) | instid1(VALU_DEP_2)
	v_add_co_u32 v0, vcc_lo, v0, v3
	v_add_co_ci_u32_e32 v1, vcc_lo, v1, v4, vcc_lo
	s_delay_alu instid0(VALU_DEP_2) | instskip(SKIP_1) | instid1(VALU_DEP_3)
	v_mul_hi_u32 v3, s0, v0
	v_mul_lo_u32 v5, s25, v0
	v_mul_lo_u32 v4, s0, v1
	s_delay_alu instid0(VALU_DEP_1) | instskip(SKIP_1) | instid1(VALU_DEP_2)
	v_add_nc_u32_e32 v3, v3, v4
	v_mul_lo_u32 v4, s0, v0
	v_add_nc_u32_e32 v3, v3, v5
	s_delay_alu instid0(VALU_DEP_2) | instskip(NEXT) | instid1(VALU_DEP_2)
	v_mul_hi_u32 v5, v0, v4
	v_mul_lo_u32 v8, v0, v3
	v_mul_hi_u32 v9, v0, v3
	v_mul_hi_u32 v11, v1, v4
	v_mul_lo_u32 v4, v1, v4
	v_mul_hi_u32 v12, v1, v3
	v_mul_lo_u32 v3, v1, v3
	v_add_co_u32 v5, vcc_lo, v5, v8
	v_add_co_ci_u32_e32 v8, vcc_lo, 0, v9, vcc_lo
	s_delay_alu instid0(VALU_DEP_2) | instskip(NEXT) | instid1(VALU_DEP_2)
	v_add_co_u32 v4, vcc_lo, v5, v4
	v_add_co_ci_u32_e32 v4, vcc_lo, v8, v11, vcc_lo
	v_add_co_ci_u32_e32 v5, vcc_lo, 0, v12, vcc_lo
	v_add_co_u32 v8, vcc_lo, v6, v10
	v_add_co_ci_u32_e32 v9, vcc_lo, v7, v10, vcc_lo
	s_delay_alu instid0(VALU_DEP_4) | instskip(NEXT) | instid1(VALU_DEP_4)
	v_add_co_u32 v3, vcc_lo, v4, v3
	v_add_co_ci_u32_e32 v4, vcc_lo, 0, v5, vcc_lo
	s_delay_alu instid0(VALU_DEP_4) | instskip(NEXT) | instid1(VALU_DEP_3)
	v_xor_b32_e32 v5, v8, v10
	v_add_co_u32 v8, vcc_lo, v0, v3
	s_delay_alu instid0(VALU_DEP_3) | instskip(SKIP_1) | instid1(VALU_DEP_3)
	v_add_co_ci_u32_e32 v11, vcc_lo, v1, v4, vcc_lo
	v_xor_b32_e32 v12, v9, v10
	v_mul_hi_u32 v13, v5, v8
	s_delay_alu instid0(VALU_DEP_3) | instskip(NEXT) | instid1(VALU_DEP_3)
	v_mad_u64_u32 v[0:1], null, v5, v11, 0
	v_mad_u64_u32 v[3:4], null, v12, v8, 0
	;; [unrolled: 1-line block ×3, first 2 shown]
	s_delay_alu instid0(VALU_DEP_3) | instskip(NEXT) | instid1(VALU_DEP_4)
	v_add_co_u32 v0, vcc_lo, v13, v0
	v_add_co_ci_u32_e32 v1, vcc_lo, 0, v1, vcc_lo
	s_delay_alu instid0(VALU_DEP_2) | instskip(NEXT) | instid1(VALU_DEP_2)
	v_add_co_u32 v0, vcc_lo, v0, v3
	v_add_co_ci_u32_e32 v0, vcc_lo, v1, v4, vcc_lo
	v_add_co_ci_u32_e32 v1, vcc_lo, 0, v9, vcc_lo
	s_delay_alu instid0(VALU_DEP_2) | instskip(NEXT) | instid1(VALU_DEP_2)
	v_add_co_u32 v3, vcc_lo, v0, v8
	v_add_co_ci_u32_e32 v4, vcc_lo, 0, v1, vcc_lo
	s_delay_alu instid0(VALU_DEP_2) | instskip(SKIP_1) | instid1(VALU_DEP_3)
	v_mul_lo_u32 v8, s29, v3
	v_mad_u64_u32 v[0:1], null, s28, v3, 0
	v_mul_lo_u32 v9, s28, v4
	s_delay_alu instid0(VALU_DEP_2) | instskip(NEXT) | instid1(VALU_DEP_2)
	v_sub_co_u32 v0, vcc_lo, v5, v0
	v_add3_u32 v1, v1, v9, v8
	s_delay_alu instid0(VALU_DEP_1) | instskip(NEXT) | instid1(VALU_DEP_1)
	v_sub_nc_u32_e32 v8, v12, v1
	v_subrev_co_ci_u32_e64 v5, s0, s29, v8, vcc_lo
	v_add_co_u32 v8, s0, v3, 2
	s_delay_alu instid0(VALU_DEP_1) | instskip(SKIP_3) | instid1(VALU_DEP_3)
	v_add_co_ci_u32_e64 v9, s0, 0, v4, s0
	v_sub_co_u32 v11, s0, v0, s28
	v_sub_co_ci_u32_e32 v1, vcc_lo, v12, v1, vcc_lo
	v_subrev_co_ci_u32_e64 v5, s0, 0, v5, s0
	v_cmp_le_u32_e32 vcc_lo, s28, v11
	s_delay_alu instid0(VALU_DEP_3) | instskip(SKIP_1) | instid1(VALU_DEP_4)
	v_cmp_eq_u32_e64 s0, s29, v1
	v_cndmask_b32_e64 v11, 0, -1, vcc_lo
	v_cmp_le_u32_e32 vcc_lo, s29, v5
	v_cndmask_b32_e64 v12, 0, -1, vcc_lo
	v_cmp_le_u32_e32 vcc_lo, s28, v0
	;; [unrolled: 2-line block ×3, first 2 shown]
	v_cndmask_b32_e64 v13, 0, -1, vcc_lo
	v_cmp_eq_u32_e32 vcc_lo, s29, v5
	s_delay_alu instid0(VALU_DEP_2) | instskip(SKIP_3) | instid1(VALU_DEP_3)
	v_cndmask_b32_e64 v0, v13, v0, s0
	v_cndmask_b32_e32 v5, v12, v11, vcc_lo
	v_add_co_u32 v11, vcc_lo, v3, 1
	v_add_co_ci_u32_e32 v12, vcc_lo, 0, v4, vcc_lo
	v_cmp_ne_u32_e32 vcc_lo, 0, v5
	s_delay_alu instid0(VALU_DEP_2) | instskip(NEXT) | instid1(VALU_DEP_4)
	v_cndmask_b32_e32 v1, v12, v9, vcc_lo
	v_cndmask_b32_e32 v5, v11, v8, vcc_lo
	v_cmp_ne_u32_e32 vcc_lo, 0, v0
	v_xor_b32_e32 v0, s24, v10
	s_delay_alu instid0(VALU_DEP_3) | instskip(SKIP_1) | instid1(VALU_DEP_2)
	v_cndmask_b32_e32 v3, v3, v5, vcc_lo
	v_cndmask_b32_e32 v1, v4, v1, vcc_lo
	v_xor_b32_e32 v3, v3, v0
	s_delay_alu instid0(VALU_DEP_2) | instskip(NEXT) | instid1(VALU_DEP_2)
	v_xor_b32_e32 v1, v1, v0
	v_sub_co_u32 v8, vcc_lo, v3, v0
	s_delay_alu instid0(VALU_DEP_2)
	v_sub_co_ci_u32_e32 v9, vcc_lo, v1, v0, vcc_lo
.LBB82_5:                               ;   in Loop: Header=BB82_3 Depth=1
	s_and_not1_saveexec_b32 s0, s27
; %bb.6:                                ;   in Loop: Header=BB82_3 Depth=1
	v_mul_hi_u32 v0, v6, v14
	v_mov_b32_e32 v9, v2
	s_delay_alu instid0(VALU_DEP_2) | instskip(SKIP_1) | instid1(VALU_DEP_2)
	v_mul_lo_u32 v1, v0, s2
	v_add_nc_u32_e32 v3, 1, v0
	v_sub_nc_u32_e32 v1, v6, v1
	s_delay_alu instid0(VALU_DEP_1) | instskip(SKIP_1) | instid1(VALU_DEP_2)
	v_subrev_nc_u32_e32 v4, s2, v1
	v_cmp_le_u32_e32 vcc_lo, s2, v1
	v_dual_cndmask_b32 v1, v1, v4 :: v_dual_cndmask_b32 v0, v0, v3
	s_delay_alu instid0(VALU_DEP_1) | instskip(NEXT) | instid1(VALU_DEP_2)
	v_cmp_le_u32_e32 vcc_lo, s2, v1
	v_add_nc_u32_e32 v3, 1, v0
	s_delay_alu instid0(VALU_DEP_1)
	v_cndmask_b32_e32 v8, v0, v3, vcc_lo
; %bb.7:                                ;   in Loop: Header=BB82_3 Depth=1
	s_or_b32 exec_lo, exec_lo, s0
	v_or_b32_e32 v3, s23, v9
                                        ; implicit-def: $vgpr0_vgpr1
	s_mov_b32 s0, exec_lo
	s_delay_alu instid0(VALU_DEP_1)
	v_cmpx_ne_u64_e32 0, v[2:3]
	s_xor_b32 s25, exec_lo, s0
	s_cbranch_execz .LBB82_9
; %bb.8:                                ;   in Loop: Header=BB82_3 Depth=1
	s_add_u32 s28, s22, s26
	s_mov_b32 s27, s26
	s_addc_u32 s29, s23, s26
	s_delay_alu instid0(SALU_CYCLE_1) | instskip(NEXT) | instid1(SALU_CYCLE_1)
	s_xor_b64 s[28:29], s[28:29], s[26:27]
	v_cvt_f32_u32_e32 v0, s28
	v_cvt_f32_u32_e32 v1, s29
	s_sub_u32 s0, 0, s28
	s_subb_u32 s27, 0, s29
	s_delay_alu instid0(VALU_DEP_1) | instskip(NEXT) | instid1(VALU_DEP_1)
	v_fmac_f32_e32 v0, 0x4f800000, v1
	v_rcp_f32_e32 v0, v0
	s_waitcnt_depctr 0xfff
	v_mul_f32_e32 v0, 0x5f7ffffc, v0
	s_delay_alu instid0(VALU_DEP_1) | instskip(NEXT) | instid1(VALU_DEP_1)
	v_mul_f32_e32 v1, 0x2f800000, v0
	v_trunc_f32_e32 v1, v1
	s_delay_alu instid0(VALU_DEP_1) | instskip(SKIP_1) | instid1(VALU_DEP_2)
	v_fmac_f32_e32 v0, 0xcf800000, v1
	v_cvt_u32_f32_e32 v1, v1
	v_cvt_u32_f32_e32 v0, v0
	s_delay_alu instid0(VALU_DEP_2) | instskip(NEXT) | instid1(VALU_DEP_2)
	v_mul_lo_u32 v3, s0, v1
	v_mul_hi_u32 v4, s0, v0
	v_mul_lo_u32 v5, s27, v0
	s_delay_alu instid0(VALU_DEP_2) | instskip(SKIP_1) | instid1(VALU_DEP_2)
	v_add_nc_u32_e32 v3, v4, v3
	v_mul_lo_u32 v4, s0, v0
	v_add_nc_u32_e32 v3, v3, v5
	s_delay_alu instid0(VALU_DEP_2) | instskip(NEXT) | instid1(VALU_DEP_2)
	v_mul_hi_u32 v5, v0, v4
	v_mul_lo_u32 v10, v0, v3
	v_mul_hi_u32 v11, v0, v3
	v_mul_hi_u32 v12, v1, v4
	v_mul_lo_u32 v4, v1, v4
	v_mul_hi_u32 v13, v1, v3
	v_mul_lo_u32 v3, v1, v3
	v_add_co_u32 v5, vcc_lo, v5, v10
	v_add_co_ci_u32_e32 v10, vcc_lo, 0, v11, vcc_lo
	s_delay_alu instid0(VALU_DEP_2) | instskip(NEXT) | instid1(VALU_DEP_2)
	v_add_co_u32 v4, vcc_lo, v5, v4
	v_add_co_ci_u32_e32 v4, vcc_lo, v10, v12, vcc_lo
	v_add_co_ci_u32_e32 v5, vcc_lo, 0, v13, vcc_lo
	v_ashrrev_i32_e32 v12, 31, v9
	s_delay_alu instid0(VALU_DEP_3) | instskip(NEXT) | instid1(VALU_DEP_3)
	v_add_co_u32 v3, vcc_lo, v4, v3
	v_add_co_ci_u32_e32 v4, vcc_lo, 0, v5, vcc_lo
	s_delay_alu instid0(VALU_DEP_2) | instskip(NEXT) | instid1(VALU_DEP_2)
	v_add_co_u32 v0, vcc_lo, v0, v3
	v_add_co_ci_u32_e32 v1, vcc_lo, v1, v4, vcc_lo
	s_delay_alu instid0(VALU_DEP_2) | instskip(SKIP_1) | instid1(VALU_DEP_3)
	v_mul_hi_u32 v3, s0, v0
	v_mul_lo_u32 v5, s27, v0
	v_mul_lo_u32 v4, s0, v1
	s_delay_alu instid0(VALU_DEP_1) | instskip(SKIP_1) | instid1(VALU_DEP_2)
	v_add_nc_u32_e32 v3, v3, v4
	v_mul_lo_u32 v4, s0, v0
	v_add_nc_u32_e32 v3, v3, v5
	s_delay_alu instid0(VALU_DEP_2) | instskip(NEXT) | instid1(VALU_DEP_2)
	v_mul_hi_u32 v5, v0, v4
	v_mul_lo_u32 v10, v0, v3
	v_mul_hi_u32 v11, v0, v3
	v_mul_hi_u32 v13, v1, v4
	v_mul_lo_u32 v4, v1, v4
	v_mul_hi_u32 v15, v1, v3
	v_mul_lo_u32 v3, v1, v3
	v_add_co_u32 v5, vcc_lo, v5, v10
	v_add_co_ci_u32_e32 v10, vcc_lo, 0, v11, vcc_lo
	s_delay_alu instid0(VALU_DEP_2) | instskip(NEXT) | instid1(VALU_DEP_2)
	v_add_co_u32 v4, vcc_lo, v5, v4
	v_add_co_ci_u32_e32 v4, vcc_lo, v10, v13, vcc_lo
	v_add_co_ci_u32_e32 v5, vcc_lo, 0, v15, vcc_lo
	v_add_co_u32 v10, vcc_lo, v8, v12
	v_add_co_ci_u32_e32 v11, vcc_lo, v9, v12, vcc_lo
	s_delay_alu instid0(VALU_DEP_4) | instskip(NEXT) | instid1(VALU_DEP_4)
	v_add_co_u32 v3, vcc_lo, v4, v3
	v_add_co_ci_u32_e32 v4, vcc_lo, 0, v5, vcc_lo
	s_delay_alu instid0(VALU_DEP_4) | instskip(NEXT) | instid1(VALU_DEP_3)
	v_xor_b32_e32 v5, v10, v12
	v_add_co_u32 v10, vcc_lo, v0, v3
	s_delay_alu instid0(VALU_DEP_3) | instskip(SKIP_1) | instid1(VALU_DEP_3)
	v_add_co_ci_u32_e32 v13, vcc_lo, v1, v4, vcc_lo
	v_xor_b32_e32 v15, v11, v12
	v_mul_hi_u32 v16, v5, v10
	s_delay_alu instid0(VALU_DEP_3) | instskip(NEXT) | instid1(VALU_DEP_3)
	v_mad_u64_u32 v[0:1], null, v5, v13, 0
	v_mad_u64_u32 v[3:4], null, v15, v10, 0
	;; [unrolled: 1-line block ×3, first 2 shown]
	s_delay_alu instid0(VALU_DEP_3) | instskip(NEXT) | instid1(VALU_DEP_4)
	v_add_co_u32 v0, vcc_lo, v16, v0
	v_add_co_ci_u32_e32 v1, vcc_lo, 0, v1, vcc_lo
	s_delay_alu instid0(VALU_DEP_2) | instskip(NEXT) | instid1(VALU_DEP_2)
	v_add_co_u32 v0, vcc_lo, v0, v3
	v_add_co_ci_u32_e32 v0, vcc_lo, v1, v4, vcc_lo
	v_add_co_ci_u32_e32 v1, vcc_lo, 0, v11, vcc_lo
	s_delay_alu instid0(VALU_DEP_2) | instskip(NEXT) | instid1(VALU_DEP_2)
	v_add_co_u32 v3, vcc_lo, v0, v10
	v_add_co_ci_u32_e32 v4, vcc_lo, 0, v1, vcc_lo
	s_delay_alu instid0(VALU_DEP_2) | instskip(SKIP_1) | instid1(VALU_DEP_3)
	v_mul_lo_u32 v10, s29, v3
	v_mad_u64_u32 v[0:1], null, s28, v3, 0
	v_mul_lo_u32 v11, s28, v4
	s_delay_alu instid0(VALU_DEP_2) | instskip(NEXT) | instid1(VALU_DEP_2)
	v_sub_co_u32 v0, vcc_lo, v5, v0
	v_add3_u32 v1, v1, v11, v10
	s_delay_alu instid0(VALU_DEP_1) | instskip(NEXT) | instid1(VALU_DEP_1)
	v_sub_nc_u32_e32 v10, v15, v1
	v_subrev_co_ci_u32_e64 v5, s0, s29, v10, vcc_lo
	v_add_co_u32 v10, s0, v3, 2
	s_delay_alu instid0(VALU_DEP_1) | instskip(SKIP_3) | instid1(VALU_DEP_3)
	v_add_co_ci_u32_e64 v11, s0, 0, v4, s0
	v_sub_co_u32 v13, s0, v0, s28
	v_sub_co_ci_u32_e32 v1, vcc_lo, v15, v1, vcc_lo
	v_subrev_co_ci_u32_e64 v5, s0, 0, v5, s0
	v_cmp_le_u32_e32 vcc_lo, s28, v13
	s_delay_alu instid0(VALU_DEP_3) | instskip(SKIP_1) | instid1(VALU_DEP_4)
	v_cmp_eq_u32_e64 s0, s29, v1
	v_cndmask_b32_e64 v13, 0, -1, vcc_lo
	v_cmp_le_u32_e32 vcc_lo, s29, v5
	v_cndmask_b32_e64 v15, 0, -1, vcc_lo
	v_cmp_le_u32_e32 vcc_lo, s28, v0
	;; [unrolled: 2-line block ×3, first 2 shown]
	v_cndmask_b32_e64 v16, 0, -1, vcc_lo
	v_cmp_eq_u32_e32 vcc_lo, s29, v5
	s_delay_alu instid0(VALU_DEP_2) | instskip(SKIP_3) | instid1(VALU_DEP_3)
	v_cndmask_b32_e64 v0, v16, v0, s0
	v_cndmask_b32_e32 v5, v15, v13, vcc_lo
	v_add_co_u32 v13, vcc_lo, v3, 1
	v_add_co_ci_u32_e32 v15, vcc_lo, 0, v4, vcc_lo
	v_cmp_ne_u32_e32 vcc_lo, 0, v5
	s_delay_alu instid0(VALU_DEP_2) | instskip(NEXT) | instid1(VALU_DEP_4)
	v_cndmask_b32_e32 v1, v15, v11, vcc_lo
	v_cndmask_b32_e32 v5, v13, v10, vcc_lo
	v_cmp_ne_u32_e32 vcc_lo, 0, v0
	v_xor_b32_e32 v10, s26, v12
	s_delay_alu instid0(VALU_DEP_4) | instskip(NEXT) | instid1(VALU_DEP_4)
	v_cndmask_b32_e32 v0, v4, v1, vcc_lo
	v_cndmask_b32_e32 v1, v3, v5, vcc_lo
	s_delay_alu instid0(VALU_DEP_2) | instskip(NEXT) | instid1(VALU_DEP_2)
	v_xor_b32_e32 v3, v0, v10
	v_xor_b32_e32 v1, v1, v10
	s_delay_alu instid0(VALU_DEP_1) | instskip(NEXT) | instid1(VALU_DEP_3)
	v_sub_co_u32 v0, vcc_lo, v1, v10
	v_sub_co_ci_u32_e32 v1, vcc_lo, v3, v10, vcc_lo
.LBB82_9:                               ;   in Loop: Header=BB82_3 Depth=1
	s_and_not1_saveexec_b32 s0, s25
	s_cbranch_execz .LBB82_11
; %bb.10:                               ;   in Loop: Header=BB82_3 Depth=1
	v_cvt_f32_u32_e32 v0, s22
	s_sub_i32 s25, 0, s22
	s_delay_alu instid0(VALU_DEP_1) | instskip(SKIP_2) | instid1(VALU_DEP_1)
	v_rcp_iflag_f32_e32 v0, v0
	s_waitcnt_depctr 0xfff
	v_mul_f32_e32 v0, 0x4f7ffffe, v0
	v_cvt_u32_f32_e32 v0, v0
	s_delay_alu instid0(VALU_DEP_1) | instskip(NEXT) | instid1(VALU_DEP_1)
	v_mul_lo_u32 v1, s25, v0
	v_mul_hi_u32 v1, v0, v1
	s_delay_alu instid0(VALU_DEP_1) | instskip(NEXT) | instid1(VALU_DEP_1)
	v_add_nc_u32_e32 v0, v0, v1
	v_mul_hi_u32 v0, v8, v0
	s_delay_alu instid0(VALU_DEP_1) | instskip(SKIP_1) | instid1(VALU_DEP_2)
	v_mul_lo_u32 v1, v0, s22
	v_add_nc_u32_e32 v3, 1, v0
	v_sub_nc_u32_e32 v1, v8, v1
	s_delay_alu instid0(VALU_DEP_1) | instskip(SKIP_1) | instid1(VALU_DEP_2)
	v_subrev_nc_u32_e32 v4, s22, v1
	v_cmp_le_u32_e32 vcc_lo, s22, v1
	v_dual_cndmask_b32 v1, v1, v4 :: v_dual_cndmask_b32 v0, v0, v3
	s_delay_alu instid0(VALU_DEP_1) | instskip(NEXT) | instid1(VALU_DEP_2)
	v_cmp_le_u32_e32 vcc_lo, s22, v1
	v_add_nc_u32_e32 v3, 1, v0
	s_delay_alu instid0(VALU_DEP_1)
	v_dual_mov_b32 v1, v2 :: v_dual_cndmask_b32 v0, v0, v3
.LBB82_11:                              ;   in Loop: Header=BB82_3 Depth=1
	s_or_b32 exec_lo, exec_lo, s0
	v_mul_lo_u32 v5, v9, s2
	v_mul_lo_u32 v12, v8, s3
	v_mad_u64_u32 v[3:4], null, v8, s2, 0
	v_mul_lo_u32 v13, v1, s22
	v_mul_lo_u32 v15, v0, s23
	v_mad_u64_u32 v[10:11], null, v0, s22, 0
	s_mov_b32 s25, exec_lo
	s_delay_alu instid0(VALU_DEP_4) | instskip(SKIP_1) | instid1(VALU_DEP_3)
	v_add3_u32 v5, v4, v12, v5
	v_sub_co_u32 v4, vcc_lo, v6, v3
	v_add3_u32 v11, v11, v15, v13
	s_delay_alu instid0(VALU_DEP_3) | instskip(SKIP_1) | instid1(VALU_DEP_3)
	v_sub_co_ci_u32_e32 v5, vcc_lo, v7, v5, vcc_lo
	v_sub_co_u32 v3, vcc_lo, v8, v10
	v_sub_co_ci_u32_e32 v8, vcc_lo, v9, v11, vcc_lo
	s_delay_alu instid0(VALU_DEP_2) | instskip(NEXT) | instid1(VALU_DEP_2)
	v_sub_co_u32 v9, vcc_lo, v4, v3
	v_sub_co_ci_u32_e32 v10, vcc_lo, v5, v8, vcc_lo
	s_delay_alu instid0(VALU_DEP_1)
	v_cmpx_gt_i64_e64 s[4:5], v[9:10]
	s_cbranch_execz .LBB82_2
; %bb.12:                               ;   in Loop: Header=BB82_3 Depth=1
	s_clause 0x1
	s_load_b64 s[28:29], s[10:11], 0x0
	s_load_b64 s[30:31], s[12:13], 0x0
	s_and_not1_b32 vcc_lo, exec_lo, s1
	s_mov_b64 s[34:35], s[16:17]
	s_waitcnt lgkmcnt(0)
	v_mul_lo_u32 v9, s29, v4
	v_mul_lo_u32 v12, s28, v5
	v_mad_u64_u32 v[10:11], null, s28, v4, 0
	s_mov_b64 s[28:29], s[20:21]
	s_delay_alu instid0(VALU_DEP_1) | instskip(SKIP_1) | instid1(VALU_DEP_2)
	v_add3_u32 v11, v11, v12, v9
	v_mul_lo_u32 v12, s30, v8
	v_mad_u64_u32 v[8:9], null, s30, v3, v[10:11]
	v_mul_lo_u32 v3, s31, v3
	s_mov_b64 s[30:31], s[18:19]
	s_delay_alu instid0(VALU_DEP_1) | instskip(NEXT) | instid1(VALU_DEP_1)
	v_add3_u32 v9, v3, v9, v12
	v_dual_mov_b32 v13, v9 :: v_dual_mov_b32 v12, v8
	s_cbranch_vccz .LBB82_16
.LBB82_13:                              ;   in Loop: Header=BB82_3 Depth=1
	s_load_b64 s[28:29], s[14:15], 0x0
	s_waitcnt lgkmcnt(0)
	v_cmp_gt_i64_e32 vcc_lo, s[28:29], v[4:5]
	s_and_b32 exec_lo, exec_lo, vcc_lo
	s_cbranch_execz .LBB82_2
; %bb.14:                               ;   in Loop: Header=BB82_3 Depth=1
	v_lshlrev_b64 v[0:1], 4, v[12:13]
	v_mov_b32_e32 v3, v2
	v_mov_b32_e32 v4, v2
	;; [unrolled: 1-line block ×3, first 2 shown]
	s_delay_alu instid0(VALU_DEP_4)
	v_add_co_u32 v0, vcc_lo, s8, v0
	v_add_co_ci_u32_e32 v1, vcc_lo, s9, v1, vcc_lo
	global_store_b128 v[0:1], v[2:5], off
	s_branch .LBB82_2
.LBB82_15:                              ;   in Loop: Header=BB82_16 Depth=2
	s_or_b32 exec_lo, exec_lo, s0
	s_load_b64 s[38:39], s[34:35], 0x0
	s_delay_alu instid0(VALU_DEP_1)
	v_mul_lo_u32 v3, v11, s36
	v_mul_lo_u32 v15, v10, s37
	v_mad_u64_u32 v[12:13], null, v10, s36, 0
	s_add_u32 s34, s34, -8
	s_addc_u32 s35, s35, -1
	s_add_u32 s30, s30, -8
	s_addc_u32 s31, s31, -1
	;; [unrolled: 2-line block ×3, first 2 shown]
	s_delay_alu instid0(VALU_DEP_1) | instskip(SKIP_2) | instid1(VALU_DEP_3)
	v_add3_u32 v3, v13, v15, v3
	v_sub_co_u32 v0, vcc_lo, v0, v12
	v_cmp_gt_i64_e64 s0, s[28:29], 0
	v_sub_co_ci_u32_e32 v1, vcc_lo, v1, v3, vcc_lo
	s_delay_alu instid0(VALU_DEP_2) | instskip(SKIP_1) | instid1(VALU_DEP_1)
	s_and_b32 vcc_lo, exec_lo, s0
	s_waitcnt lgkmcnt(0)
	v_mul_lo_u32 v1, s38, v1
	v_mul_lo_u32 v3, s39, v0
	v_mad_u64_u32 v[12:13], null, s38, v0, v[8:9]
	s_delay_alu instid0(VALU_DEP_1) | instskip(NEXT) | instid1(VALU_DEP_2)
	v_add3_u32 v13, v3, v13, v1
	v_mov_b32_e32 v8, v12
	v_dual_mov_b32 v0, v10 :: v_dual_mov_b32 v1, v11
	s_delay_alu instid0(VALU_DEP_3)
	v_mov_b32_e32 v9, v13
	s_cbranch_vccz .LBB82_13
.LBB82_16:                              ;   Parent Loop BB82_3 Depth=1
                                        ; =>  This Inner Loop Header: Depth=2
	s_load_b64 s[36:37], s[30:31], 0x0
                                        ; implicit-def: $vgpr10_vgpr11
	s_mov_b32 s0, exec_lo
	s_waitcnt lgkmcnt(0)
	v_or_b32_e32 v3, s37, v1
	s_delay_alu instid0(VALU_DEP_1)
	v_cmpx_ne_u64_e32 0, v[2:3]
	s_xor_b32 s27, exec_lo, s0
	s_cbranch_execz .LBB82_18
; %bb.17:                               ;   in Loop: Header=BB82_16 Depth=2
	s_ashr_i32 s38, s37, 31
	s_delay_alu instid0(SALU_CYCLE_1) | instskip(SKIP_2) | instid1(SALU_CYCLE_1)
	s_add_u32 s40, s36, s38
	s_mov_b32 s39, s38
	s_addc_u32 s41, s37, s38
	s_xor_b64 s[40:41], s[40:41], s[38:39]
	s_delay_alu instid0(SALU_CYCLE_1) | instskip(SKIP_3) | instid1(VALU_DEP_1)
	v_cvt_f32_u32_e32 v3, s40
	v_cvt_f32_u32_e32 v10, s41
	s_sub_u32 s0, 0, s40
	s_subb_u32 s39, 0, s41
	v_fmac_f32_e32 v3, 0x4f800000, v10
	s_delay_alu instid0(VALU_DEP_1) | instskip(SKIP_2) | instid1(VALU_DEP_1)
	v_rcp_f32_e32 v3, v3
	s_waitcnt_depctr 0xfff
	v_mul_f32_e32 v3, 0x5f7ffffc, v3
	v_mul_f32_e32 v10, 0x2f800000, v3
	s_delay_alu instid0(VALU_DEP_1) | instskip(NEXT) | instid1(VALU_DEP_1)
	v_trunc_f32_e32 v10, v10
	v_fmac_f32_e32 v3, 0xcf800000, v10
	v_cvt_u32_f32_e32 v10, v10
	s_delay_alu instid0(VALU_DEP_2) | instskip(NEXT) | instid1(VALU_DEP_2)
	v_cvt_u32_f32_e32 v3, v3
	v_mul_lo_u32 v11, s0, v10
	s_delay_alu instid0(VALU_DEP_2) | instskip(SKIP_1) | instid1(VALU_DEP_2)
	v_mul_hi_u32 v12, s0, v3
	v_mul_lo_u32 v13, s39, v3
	v_add_nc_u32_e32 v11, v12, v11
	v_mul_lo_u32 v12, s0, v3
	s_delay_alu instid0(VALU_DEP_2) | instskip(NEXT) | instid1(VALU_DEP_2)
	v_add_nc_u32_e32 v11, v11, v13
	v_mul_hi_u32 v13, v3, v12
	s_delay_alu instid0(VALU_DEP_2)
	v_mul_lo_u32 v15, v3, v11
	v_mul_hi_u32 v16, v3, v11
	v_mul_hi_u32 v17, v10, v12
	v_mul_lo_u32 v12, v10, v12
	v_mul_hi_u32 v18, v10, v11
	v_mul_lo_u32 v11, v10, v11
	v_add_co_u32 v13, vcc_lo, v13, v15
	v_add_co_ci_u32_e32 v15, vcc_lo, 0, v16, vcc_lo
	s_delay_alu instid0(VALU_DEP_2) | instskip(NEXT) | instid1(VALU_DEP_2)
	v_add_co_u32 v12, vcc_lo, v13, v12
	v_add_co_ci_u32_e32 v12, vcc_lo, v15, v17, vcc_lo
	v_add_co_ci_u32_e32 v13, vcc_lo, 0, v18, vcc_lo
	v_ashrrev_i32_e32 v17, 31, v1
	s_delay_alu instid0(VALU_DEP_3) | instskip(NEXT) | instid1(VALU_DEP_3)
	v_add_co_u32 v11, vcc_lo, v12, v11
	v_add_co_ci_u32_e32 v12, vcc_lo, 0, v13, vcc_lo
	s_delay_alu instid0(VALU_DEP_2) | instskip(NEXT) | instid1(VALU_DEP_2)
	v_add_co_u32 v3, vcc_lo, v3, v11
	v_add_co_ci_u32_e32 v10, vcc_lo, v10, v12, vcc_lo
	s_delay_alu instid0(VALU_DEP_2) | instskip(SKIP_1) | instid1(VALU_DEP_3)
	v_mul_hi_u32 v11, s0, v3
	v_mul_lo_u32 v13, s39, v3
	v_mul_lo_u32 v12, s0, v10
	s_delay_alu instid0(VALU_DEP_1) | instskip(SKIP_1) | instid1(VALU_DEP_2)
	v_add_nc_u32_e32 v11, v11, v12
	v_mul_lo_u32 v12, s0, v3
	v_add_nc_u32_e32 v11, v11, v13
	s_delay_alu instid0(VALU_DEP_2) | instskip(NEXT) | instid1(VALU_DEP_2)
	v_mul_hi_u32 v13, v3, v12
	v_mul_lo_u32 v15, v3, v11
	v_mul_hi_u32 v16, v3, v11
	v_mul_hi_u32 v18, v10, v12
	v_mul_lo_u32 v12, v10, v12
	v_mul_hi_u32 v19, v10, v11
	v_mul_lo_u32 v11, v10, v11
	v_add_co_u32 v13, vcc_lo, v13, v15
	v_add_co_ci_u32_e32 v15, vcc_lo, 0, v16, vcc_lo
	s_delay_alu instid0(VALU_DEP_2) | instskip(NEXT) | instid1(VALU_DEP_2)
	v_add_co_u32 v12, vcc_lo, v13, v12
	v_add_co_ci_u32_e32 v12, vcc_lo, v15, v18, vcc_lo
	v_add_co_ci_u32_e32 v13, vcc_lo, 0, v19, vcc_lo
	v_add_co_u32 v15, vcc_lo, v0, v17
	v_add_co_ci_u32_e32 v16, vcc_lo, v1, v17, vcc_lo
	s_delay_alu instid0(VALU_DEP_4) | instskip(NEXT) | instid1(VALU_DEP_4)
	v_add_co_u32 v11, vcc_lo, v12, v11
	v_add_co_ci_u32_e32 v12, vcc_lo, 0, v13, vcc_lo
	s_delay_alu instid0(VALU_DEP_4) | instskip(NEXT) | instid1(VALU_DEP_3)
	v_xor_b32_e32 v18, v15, v17
	v_add_co_u32 v3, vcc_lo, v3, v11
	s_delay_alu instid0(VALU_DEP_3) | instskip(SKIP_1) | instid1(VALU_DEP_3)
	v_add_co_ci_u32_e32 v19, vcc_lo, v10, v12, vcc_lo
	v_xor_b32_e32 v20, v16, v17
	v_mul_hi_u32 v21, v18, v3
	s_delay_alu instid0(VALU_DEP_3) | instskip(NEXT) | instid1(VALU_DEP_3)
	v_mad_u64_u32 v[10:11], null, v18, v19, 0
	v_mad_u64_u32 v[12:13], null, v20, v3, 0
	;; [unrolled: 1-line block ×3, first 2 shown]
	s_delay_alu instid0(VALU_DEP_3) | instskip(NEXT) | instid1(VALU_DEP_4)
	v_add_co_u32 v3, vcc_lo, v21, v10
	v_add_co_ci_u32_e32 v10, vcc_lo, 0, v11, vcc_lo
	s_delay_alu instid0(VALU_DEP_2) | instskip(NEXT) | instid1(VALU_DEP_2)
	v_add_co_u32 v3, vcc_lo, v3, v12
	v_add_co_ci_u32_e32 v3, vcc_lo, v10, v13, vcc_lo
	v_add_co_ci_u32_e32 v10, vcc_lo, 0, v16, vcc_lo
	s_delay_alu instid0(VALU_DEP_2) | instskip(NEXT) | instid1(VALU_DEP_2)
	v_add_co_u32 v3, vcc_lo, v3, v15
	v_add_co_ci_u32_e32 v12, vcc_lo, 0, v10, vcc_lo
	s_delay_alu instid0(VALU_DEP_2) | instskip(SKIP_1) | instid1(VALU_DEP_3)
	v_mul_lo_u32 v13, s41, v3
	v_mad_u64_u32 v[10:11], null, s40, v3, 0
	v_mul_lo_u32 v15, s40, v12
	s_delay_alu instid0(VALU_DEP_2) | instskip(NEXT) | instid1(VALU_DEP_2)
	v_sub_co_u32 v10, vcc_lo, v18, v10
	v_add3_u32 v11, v11, v15, v13
	s_delay_alu instid0(VALU_DEP_1) | instskip(NEXT) | instid1(VALU_DEP_1)
	v_sub_nc_u32_e32 v13, v20, v11
	v_subrev_co_ci_u32_e64 v13, s0, s41, v13, vcc_lo
	v_add_co_u32 v15, s0, v3, 2
	s_delay_alu instid0(VALU_DEP_1) | instskip(SKIP_3) | instid1(VALU_DEP_3)
	v_add_co_ci_u32_e64 v16, s0, 0, v12, s0
	v_sub_co_u32 v18, s0, v10, s40
	v_sub_co_ci_u32_e32 v11, vcc_lo, v20, v11, vcc_lo
	v_subrev_co_ci_u32_e64 v13, s0, 0, v13, s0
	v_cmp_le_u32_e32 vcc_lo, s40, v18
	s_delay_alu instid0(VALU_DEP_3) | instskip(SKIP_1) | instid1(VALU_DEP_4)
	v_cmp_eq_u32_e64 s0, s41, v11
	v_cndmask_b32_e64 v18, 0, -1, vcc_lo
	v_cmp_le_u32_e32 vcc_lo, s41, v13
	v_cndmask_b32_e64 v19, 0, -1, vcc_lo
	v_cmp_le_u32_e32 vcc_lo, s40, v10
	;; [unrolled: 2-line block ×3, first 2 shown]
	v_cndmask_b32_e64 v20, 0, -1, vcc_lo
	v_cmp_eq_u32_e32 vcc_lo, s41, v13
	s_delay_alu instid0(VALU_DEP_2) | instskip(SKIP_3) | instid1(VALU_DEP_3)
	v_cndmask_b32_e64 v10, v20, v10, s0
	v_cndmask_b32_e32 v13, v19, v18, vcc_lo
	v_add_co_u32 v18, vcc_lo, v3, 1
	v_add_co_ci_u32_e32 v19, vcc_lo, 0, v12, vcc_lo
	v_cmp_ne_u32_e32 vcc_lo, 0, v13
	s_delay_alu instid0(VALU_DEP_2) | instskip(NEXT) | instid1(VALU_DEP_4)
	v_cndmask_b32_e32 v11, v19, v16, vcc_lo
	v_cndmask_b32_e32 v13, v18, v15, vcc_lo
	v_cmp_ne_u32_e32 vcc_lo, 0, v10
	v_xor_b32_e32 v15, s38, v17
	s_delay_alu instid0(VALU_DEP_3) | instskip(NEXT) | instid1(VALU_DEP_1)
	v_dual_cndmask_b32 v3, v3, v13 :: v_dual_cndmask_b32 v10, v12, v11
	v_xor_b32_e32 v3, v3, v15
	s_delay_alu instid0(VALU_DEP_2) | instskip(NEXT) | instid1(VALU_DEP_2)
	v_xor_b32_e32 v11, v10, v15
	v_sub_co_u32 v10, vcc_lo, v3, v15
	s_delay_alu instid0(VALU_DEP_2)
	v_sub_co_ci_u32_e32 v11, vcc_lo, v11, v15, vcc_lo
.LBB82_18:                              ;   in Loop: Header=BB82_16 Depth=2
	s_and_not1_saveexec_b32 s0, s27
	s_cbranch_execz .LBB82_15
; %bb.19:                               ;   in Loop: Header=BB82_16 Depth=2
	v_cvt_f32_u32_e32 v3, s36
	s_sub_i32 s27, 0, s36
	s_delay_alu instid0(VALU_DEP_1) | instskip(SKIP_2) | instid1(VALU_DEP_1)
	v_rcp_iflag_f32_e32 v3, v3
	s_waitcnt_depctr 0xfff
	v_mul_f32_e32 v3, 0x4f7ffffe, v3
	v_cvt_u32_f32_e32 v3, v3
	s_delay_alu instid0(VALU_DEP_1) | instskip(NEXT) | instid1(VALU_DEP_1)
	v_mul_lo_u32 v10, s27, v3
	v_mul_hi_u32 v10, v3, v10
	s_delay_alu instid0(VALU_DEP_1) | instskip(NEXT) | instid1(VALU_DEP_1)
	v_add_nc_u32_e32 v3, v3, v10
	v_mul_hi_u32 v3, v0, v3
	s_delay_alu instid0(VALU_DEP_1) | instskip(SKIP_1) | instid1(VALU_DEP_2)
	v_mul_lo_u32 v10, v3, s36
	v_add_nc_u32_e32 v11, 1, v3
	v_sub_nc_u32_e32 v10, v0, v10
	s_delay_alu instid0(VALU_DEP_1) | instskip(SKIP_1) | instid1(VALU_DEP_2)
	v_subrev_nc_u32_e32 v12, s36, v10
	v_cmp_le_u32_e32 vcc_lo, s36, v10
	v_dual_cndmask_b32 v10, v10, v12 :: v_dual_cndmask_b32 v3, v3, v11
	s_delay_alu instid0(VALU_DEP_1) | instskip(NEXT) | instid1(VALU_DEP_2)
	v_cmp_le_u32_e32 vcc_lo, s36, v10
	v_add_nc_u32_e32 v11, 1, v3
	s_delay_alu instid0(VALU_DEP_1)
	v_dual_cndmask_b32 v10, v3, v11 :: v_dual_mov_b32 v11, v2
	s_branch .LBB82_15
.LBB82_20:
	s_nop 0
	s_sendmsg sendmsg(MSG_DEALLOC_VGPRS)
	s_endpgm
	.section	.rodata,"a",@progbits
	.p2align	6, 0x0
	.amdhsa_kernel _ZN2at6native16triu_tril_kernelIN3c107complexIdEElLb1ELi1ELb1EEEvNS_4cuda6detail10TensorInfoIT_T0_EENS7_IKS8_S9_EEllS9_
		.amdhsa_group_segment_fixed_size 0
		.amdhsa_private_segment_fixed_size 0
		.amdhsa_kernarg_size 1112
		.amdhsa_user_sgpr_count 15
		.amdhsa_user_sgpr_dispatch_ptr 0
		.amdhsa_user_sgpr_queue_ptr 0
		.amdhsa_user_sgpr_kernarg_segment_ptr 1
		.amdhsa_user_sgpr_dispatch_id 0
		.amdhsa_user_sgpr_private_segment_size 0
		.amdhsa_wavefront_size32 1
		.amdhsa_uses_dynamic_stack 0
		.amdhsa_enable_private_segment 0
		.amdhsa_system_sgpr_workgroup_id_x 1
		.amdhsa_system_sgpr_workgroup_id_y 0
		.amdhsa_system_sgpr_workgroup_id_z 0
		.amdhsa_system_sgpr_workgroup_info 0
		.amdhsa_system_vgpr_workitem_id 0
		.amdhsa_next_free_vgpr 22
		.amdhsa_next_free_sgpr 43
		.amdhsa_reserve_vcc 1
		.amdhsa_float_round_mode_32 0
		.amdhsa_float_round_mode_16_64 0
		.amdhsa_float_denorm_mode_32 3
		.amdhsa_float_denorm_mode_16_64 3
		.amdhsa_dx10_clamp 1
		.amdhsa_ieee_mode 1
		.amdhsa_fp16_overflow 0
		.amdhsa_workgroup_processor_mode 1
		.amdhsa_memory_ordered 1
		.amdhsa_forward_progress 0
		.amdhsa_shared_vgpr_count 0
		.amdhsa_exception_fp_ieee_invalid_op 0
		.amdhsa_exception_fp_denorm_src 0
		.amdhsa_exception_fp_ieee_div_zero 0
		.amdhsa_exception_fp_ieee_overflow 0
		.amdhsa_exception_fp_ieee_underflow 0
		.amdhsa_exception_fp_ieee_inexact 0
		.amdhsa_exception_int_div_zero 0
	.end_amdhsa_kernel
	.section	.text._ZN2at6native16triu_tril_kernelIN3c107complexIdEElLb1ELi1ELb1EEEvNS_4cuda6detail10TensorInfoIT_T0_EENS7_IKS8_S9_EEllS9_,"axG",@progbits,_ZN2at6native16triu_tril_kernelIN3c107complexIdEElLb1ELi1ELb1EEEvNS_4cuda6detail10TensorInfoIT_T0_EENS7_IKS8_S9_EEllS9_,comdat
.Lfunc_end82:
	.size	_ZN2at6native16triu_tril_kernelIN3c107complexIdEElLb1ELi1ELb1EEEvNS_4cuda6detail10TensorInfoIT_T0_EENS7_IKS8_S9_EEllS9_, .Lfunc_end82-_ZN2at6native16triu_tril_kernelIN3c107complexIdEElLb1ELi1ELb1EEEvNS_4cuda6detail10TensorInfoIT_T0_EENS7_IKS8_S9_EEllS9_
                                        ; -- End function
	.section	.AMDGPU.csdata,"",@progbits
; Kernel info:
; codeLenInByte = 3796
; NumSgprs: 45
; NumVgprs: 22
; ScratchSize: 0
; MemoryBound: 0
; FloatMode: 240
; IeeeMode: 1
; LDSByteSize: 0 bytes/workgroup (compile time only)
; SGPRBlocks: 5
; VGPRBlocks: 2
; NumSGPRsForWavesPerEU: 45
; NumVGPRsForWavesPerEU: 22
; Occupancy: 16
; WaveLimiterHint : 0
; COMPUTE_PGM_RSRC2:SCRATCH_EN: 0
; COMPUTE_PGM_RSRC2:USER_SGPR: 15
; COMPUTE_PGM_RSRC2:TRAP_HANDLER: 0
; COMPUTE_PGM_RSRC2:TGID_X_EN: 1
; COMPUTE_PGM_RSRC2:TGID_Y_EN: 0
; COMPUTE_PGM_RSRC2:TGID_Z_EN: 0
; COMPUTE_PGM_RSRC2:TIDIG_COMP_CNT: 0
	.section	.text._ZN2at6native16triu_tril_kernelIN3c107complexIdEElLb1ELi1ELb0EEEvNS_4cuda6detail10TensorInfoIT_T0_EENS7_IKS8_S9_EEllS9_,"axG",@progbits,_ZN2at6native16triu_tril_kernelIN3c107complexIdEElLb1ELi1ELb0EEEvNS_4cuda6detail10TensorInfoIT_T0_EENS7_IKS8_S9_EEllS9_,comdat
	.protected	_ZN2at6native16triu_tril_kernelIN3c107complexIdEElLb1ELi1ELb0EEEvNS_4cuda6detail10TensorInfoIT_T0_EENS7_IKS8_S9_EEllS9_ ; -- Begin function _ZN2at6native16triu_tril_kernelIN3c107complexIdEElLb1ELi1ELb0EEEvNS_4cuda6detail10TensorInfoIT_T0_EENS7_IKS8_S9_EEllS9_
	.globl	_ZN2at6native16triu_tril_kernelIN3c107complexIdEElLb1ELi1ELb0EEEvNS_4cuda6detail10TensorInfoIT_T0_EENS7_IKS8_S9_EEllS9_
	.p2align	8
	.type	_ZN2at6native16triu_tril_kernelIN3c107complexIdEElLb1ELi1ELb0EEEvNS_4cuda6detail10TensorInfoIT_T0_EENS7_IKS8_S9_EEllS9_,@function
_ZN2at6native16triu_tril_kernelIN3c107complexIdEElLb1ELi1ELb0EEEvNS_4cuda6detail10TensorInfoIT_T0_EENS7_IKS8_S9_EEllS9_: ; @_ZN2at6native16triu_tril_kernelIN3c107complexIdEElLb1ELi1ELb0EEEvNS_4cuda6detail10TensorInfoIT_T0_EENS7_IKS8_S9_EEllS9_
; %bb.0:
	s_clause 0x1
	s_load_b32 s2, s[0:1], 0x364
	s_load_b128 s[4:7], s[0:1], 0x340
	v_mov_b32_e32 v4, 0
	s_add_u32 s8, s0, 0x358
	s_addc_u32 s9, s1, 0
	s_delay_alu instid0(VALU_DEP_1) | instskip(SKIP_3) | instid1(VALU_DEP_1)
	v_mov_b32_e32 v1, v4
	s_waitcnt lgkmcnt(0)
	s_and_b32 s24, s2, 0xffff
	s_mov_b32 s2, exec_lo
	v_mad_u64_u32 v[6:7], null, s24, s15, v[0:1]
	s_delay_alu instid0(VALU_DEP_1)
	v_cmpx_gt_i64_e64 s[6:7], v[6:7]
	s_cbranch_execz .LBB83_23
; %bb.1:
	s_clause 0x1
	s_load_b32 s26, s[0:1], 0x338
	s_load_b64 s[2:3], s[0:1], 0x350
	s_add_u32 s10, s0, 0x1a0
	s_addc_u32 s11, s1, 0
	s_load_b32 s25, s[8:9], 0x0
	s_clause 0x1
	s_load_b64 s[20:21], s[0:1], 0x1a0
	s_load_b64 s[22:23], s[0:1], 0x0
	s_mov_b32 s46, 0
	s_waitcnt lgkmcnt(0)
	s_ashr_i32 s27, s26, 31
	s_add_u32 s30, s0, 0x1a8
	s_addc_u32 s31, s1, 0
	s_lshl_b64 s[8:9], s[26:27], 3
	v_cvt_f32_u32_e32 v0, s2
	s_add_u32 s14, s8, -16
	s_addc_u32 s15, s9, -1
	s_add_u32 s8, s30, s14
	s_addc_u32 s9, s31, s15
	s_add_u32 s12, s10, s14
	s_addc_u32 s13, s11, s15
	s_add_u32 s34, s0, 0xd0
	s_addc_u32 s35, s1, 0
	s_add_u32 s0, s34, s14
	s_addc_u32 s1, s35, s15
	s_clause 0x2
	s_load_b128 s[8:11], s[8:9], 0x0
	s_load_b128 s[12:15], s[12:13], 0xd0
	;; [unrolled: 1-line block ×3, first 2 shown]
	v_rcp_iflag_f32_e32 v0, v0
	s_add_i32 s28, s26, -3
	v_cmp_gt_i64_e64 s1, s[26:27], 2
	s_ashr_i32 s29, s28, 31
	s_mul_i32 s33, s25, s24
	s_lshl_b64 s[26:27], s[28:29], 3
	s_delay_alu instid0(SALU_CYCLE_1)
	s_add_u32 s24, s34, s26
	s_addc_u32 s25, s35, s27
	s_add_u32 s26, s30, s26
	s_waitcnt_depctr 0xfff
	v_mul_f32_e32 v0, 0x4f7ffffe, v0
	s_addc_u32 s27, s31, s27
	s_add_u32 s28, s28, 1
	s_addc_u32 s29, s29, 0
	s_ashr_i32 s30, s3, 31
	v_cvt_u32_f32_e32 v18, v0
	s_branch .LBB83_3
.LBB83_2:                               ;   in Loop: Header=BB83_3 Depth=1
	s_or_b32 exec_lo, exec_lo, s0
	v_add_co_u32 v6, vcc_lo, v6, s33
	v_add_co_ci_u32_e32 v7, vcc_lo, 0, v7, vcc_lo
	s_delay_alu instid0(VALU_DEP_1) | instskip(SKIP_1) | instid1(SALU_CYCLE_1)
	v_cmp_le_i64_e32 vcc_lo, s[6:7], v[6:7]
	s_or_b32 s46, vcc_lo, s46
	s_and_not1_b32 exec_lo, exec_lo, s46
	s_cbranch_execz .LBB83_23
.LBB83_3:                               ; =>This Loop Header: Depth=1
                                        ;     Child Loop BB83_19 Depth 2
	v_or_b32_e32 v5, s3, v7
                                        ; implicit-def: $vgpr2_vgpr3
	s_mov_b32 s0, exec_lo
	s_delay_alu instid0(VALU_DEP_1)
	v_cmpx_ne_u64_e32 0, v[4:5]
	s_xor_b32 s36, exec_lo, s0
	s_cbranch_execz .LBB83_5
; %bb.4:                                ;   in Loop: Header=BB83_3 Depth=1
	s_add_u32 s34, s2, s30
	s_mov_b32 s31, s30
	s_addc_u32 s35, s3, s30
	s_delay_alu instid0(SALU_CYCLE_1) | instskip(NEXT) | instid1(SALU_CYCLE_1)
	s_xor_b64 s[34:35], s[34:35], s[30:31]
	v_cvt_f32_u32_e32 v0, s34
	v_cvt_f32_u32_e32 v1, s35
	s_sub_u32 s0, 0, s34
	s_subb_u32 s31, 0, s35
	s_delay_alu instid0(VALU_DEP_1) | instskip(NEXT) | instid1(VALU_DEP_1)
	v_fmac_f32_e32 v0, 0x4f800000, v1
	v_rcp_f32_e32 v0, v0
	s_waitcnt_depctr 0xfff
	v_mul_f32_e32 v0, 0x5f7ffffc, v0
	s_delay_alu instid0(VALU_DEP_1) | instskip(NEXT) | instid1(VALU_DEP_1)
	v_mul_f32_e32 v1, 0x2f800000, v0
	v_trunc_f32_e32 v1, v1
	s_delay_alu instid0(VALU_DEP_1) | instskip(SKIP_1) | instid1(VALU_DEP_2)
	v_fmac_f32_e32 v0, 0xcf800000, v1
	v_cvt_u32_f32_e32 v1, v1
	v_cvt_u32_f32_e32 v0, v0
	s_delay_alu instid0(VALU_DEP_2) | instskip(NEXT) | instid1(VALU_DEP_2)
	v_mul_lo_u32 v2, s0, v1
	v_mul_hi_u32 v3, s0, v0
	v_mul_lo_u32 v5, s31, v0
	s_delay_alu instid0(VALU_DEP_2) | instskip(SKIP_1) | instid1(VALU_DEP_2)
	v_add_nc_u32_e32 v2, v3, v2
	v_mul_lo_u32 v3, s0, v0
	v_add_nc_u32_e32 v2, v2, v5
	s_delay_alu instid0(VALU_DEP_2) | instskip(NEXT) | instid1(VALU_DEP_2)
	v_mul_hi_u32 v5, v0, v3
	v_mul_lo_u32 v8, v0, v2
	v_mul_hi_u32 v9, v0, v2
	v_mul_hi_u32 v10, v1, v3
	v_mul_lo_u32 v3, v1, v3
	v_mul_hi_u32 v11, v1, v2
	v_mul_lo_u32 v2, v1, v2
	v_add_co_u32 v5, vcc_lo, v5, v8
	v_add_co_ci_u32_e32 v8, vcc_lo, 0, v9, vcc_lo
	s_delay_alu instid0(VALU_DEP_2) | instskip(NEXT) | instid1(VALU_DEP_2)
	v_add_co_u32 v3, vcc_lo, v5, v3
	v_add_co_ci_u32_e32 v3, vcc_lo, v8, v10, vcc_lo
	v_add_co_ci_u32_e32 v5, vcc_lo, 0, v11, vcc_lo
	v_ashrrev_i32_e32 v10, 31, v7
	s_delay_alu instid0(VALU_DEP_3) | instskip(NEXT) | instid1(VALU_DEP_3)
	v_add_co_u32 v2, vcc_lo, v3, v2
	v_add_co_ci_u32_e32 v3, vcc_lo, 0, v5, vcc_lo
	s_delay_alu instid0(VALU_DEP_2) | instskip(NEXT) | instid1(VALU_DEP_2)
	v_add_co_u32 v0, vcc_lo, v0, v2
	v_add_co_ci_u32_e32 v1, vcc_lo, v1, v3, vcc_lo
	s_delay_alu instid0(VALU_DEP_2) | instskip(SKIP_1) | instid1(VALU_DEP_3)
	v_mul_hi_u32 v2, s0, v0
	v_mul_lo_u32 v5, s31, v0
	v_mul_lo_u32 v3, s0, v1
	s_delay_alu instid0(VALU_DEP_1) | instskip(SKIP_1) | instid1(VALU_DEP_2)
	v_add_nc_u32_e32 v2, v2, v3
	v_mul_lo_u32 v3, s0, v0
	v_add_nc_u32_e32 v2, v2, v5
	s_delay_alu instid0(VALU_DEP_2) | instskip(NEXT) | instid1(VALU_DEP_2)
	v_mul_hi_u32 v5, v0, v3
	v_mul_lo_u32 v8, v0, v2
	v_mul_hi_u32 v9, v0, v2
	v_mul_hi_u32 v11, v1, v3
	v_mul_lo_u32 v3, v1, v3
	v_mul_hi_u32 v12, v1, v2
	v_mul_lo_u32 v2, v1, v2
	v_add_co_u32 v5, vcc_lo, v5, v8
	v_add_co_ci_u32_e32 v8, vcc_lo, 0, v9, vcc_lo
	s_delay_alu instid0(VALU_DEP_2) | instskip(NEXT) | instid1(VALU_DEP_2)
	v_add_co_u32 v3, vcc_lo, v5, v3
	v_add_co_ci_u32_e32 v3, vcc_lo, v8, v11, vcc_lo
	v_add_co_ci_u32_e32 v5, vcc_lo, 0, v12, vcc_lo
	v_add_co_u32 v8, vcc_lo, v6, v10
	v_add_co_ci_u32_e32 v9, vcc_lo, v7, v10, vcc_lo
	s_delay_alu instid0(VALU_DEP_4) | instskip(NEXT) | instid1(VALU_DEP_4)
	v_add_co_u32 v2, vcc_lo, v3, v2
	v_add_co_ci_u32_e32 v3, vcc_lo, 0, v5, vcc_lo
	s_delay_alu instid0(VALU_DEP_4) | instskip(NEXT) | instid1(VALU_DEP_3)
	v_xor_b32_e32 v5, v8, v10
	v_add_co_u32 v8, vcc_lo, v0, v2
	s_delay_alu instid0(VALU_DEP_3) | instskip(SKIP_1) | instid1(VALU_DEP_3)
	v_add_co_ci_u32_e32 v11, vcc_lo, v1, v3, vcc_lo
	v_xor_b32_e32 v12, v9, v10
	v_mul_hi_u32 v13, v5, v8
	s_delay_alu instid0(VALU_DEP_3) | instskip(NEXT) | instid1(VALU_DEP_3)
	v_mad_u64_u32 v[0:1], null, v5, v11, 0
	v_mad_u64_u32 v[2:3], null, v12, v8, 0
	;; [unrolled: 1-line block ×3, first 2 shown]
	s_delay_alu instid0(VALU_DEP_3) | instskip(NEXT) | instid1(VALU_DEP_4)
	v_add_co_u32 v0, vcc_lo, v13, v0
	v_add_co_ci_u32_e32 v1, vcc_lo, 0, v1, vcc_lo
	s_delay_alu instid0(VALU_DEP_2) | instskip(NEXT) | instid1(VALU_DEP_2)
	v_add_co_u32 v0, vcc_lo, v0, v2
	v_add_co_ci_u32_e32 v0, vcc_lo, v1, v3, vcc_lo
	v_add_co_ci_u32_e32 v1, vcc_lo, 0, v9, vcc_lo
	s_delay_alu instid0(VALU_DEP_2) | instskip(NEXT) | instid1(VALU_DEP_2)
	v_add_co_u32 v2, vcc_lo, v0, v8
	v_add_co_ci_u32_e32 v3, vcc_lo, 0, v1, vcc_lo
	s_delay_alu instid0(VALU_DEP_2) | instskip(SKIP_1) | instid1(VALU_DEP_3)
	v_mul_lo_u32 v8, s35, v2
	v_mad_u64_u32 v[0:1], null, s34, v2, 0
	v_mul_lo_u32 v9, s34, v3
	s_delay_alu instid0(VALU_DEP_2) | instskip(NEXT) | instid1(VALU_DEP_2)
	v_sub_co_u32 v0, vcc_lo, v5, v0
	v_add3_u32 v1, v1, v9, v8
	s_delay_alu instid0(VALU_DEP_1) | instskip(NEXT) | instid1(VALU_DEP_1)
	v_sub_nc_u32_e32 v8, v12, v1
	v_subrev_co_ci_u32_e64 v5, s0, s35, v8, vcc_lo
	v_add_co_u32 v8, s0, v2, 2
	s_delay_alu instid0(VALU_DEP_1) | instskip(SKIP_3) | instid1(VALU_DEP_3)
	v_add_co_ci_u32_e64 v9, s0, 0, v3, s0
	v_sub_co_u32 v11, s0, v0, s34
	v_sub_co_ci_u32_e32 v1, vcc_lo, v12, v1, vcc_lo
	v_subrev_co_ci_u32_e64 v5, s0, 0, v5, s0
	v_cmp_le_u32_e32 vcc_lo, s34, v11
	s_delay_alu instid0(VALU_DEP_3) | instskip(SKIP_1) | instid1(VALU_DEP_4)
	v_cmp_eq_u32_e64 s0, s35, v1
	v_cndmask_b32_e64 v11, 0, -1, vcc_lo
	v_cmp_le_u32_e32 vcc_lo, s35, v5
	v_cndmask_b32_e64 v12, 0, -1, vcc_lo
	v_cmp_le_u32_e32 vcc_lo, s34, v0
	v_cndmask_b32_e64 v0, 0, -1, vcc_lo
	v_cmp_le_u32_e32 vcc_lo, s35, v1
	v_cndmask_b32_e64 v13, 0, -1, vcc_lo
	v_cmp_eq_u32_e32 vcc_lo, s35, v5
	s_delay_alu instid0(VALU_DEP_2) | instskip(SKIP_3) | instid1(VALU_DEP_3)
	v_cndmask_b32_e64 v0, v13, v0, s0
	v_cndmask_b32_e32 v5, v12, v11, vcc_lo
	v_add_co_u32 v11, vcc_lo, v2, 1
	v_add_co_ci_u32_e32 v12, vcc_lo, 0, v3, vcc_lo
	v_cmp_ne_u32_e32 vcc_lo, 0, v5
	s_delay_alu instid0(VALU_DEP_2) | instskip(NEXT) | instid1(VALU_DEP_4)
	v_cndmask_b32_e32 v1, v12, v9, vcc_lo
	v_cndmask_b32_e32 v5, v11, v8, vcc_lo
	v_cmp_ne_u32_e32 vcc_lo, 0, v0
	v_xor_b32_e32 v0, s30, v10
	s_delay_alu instid0(VALU_DEP_4) | instskip(NEXT) | instid1(VALU_DEP_4)
	v_cndmask_b32_e32 v1, v3, v1, vcc_lo
	v_cndmask_b32_e32 v2, v2, v5, vcc_lo
	s_delay_alu instid0(VALU_DEP_2) | instskip(NEXT) | instid1(VALU_DEP_2)
	v_xor_b32_e32 v1, v1, v0
	v_xor_b32_e32 v2, v2, v0
	s_delay_alu instid0(VALU_DEP_1) | instskip(NEXT) | instid1(VALU_DEP_3)
	v_sub_co_u32 v2, vcc_lo, v2, v0
	v_sub_co_ci_u32_e32 v3, vcc_lo, v1, v0, vcc_lo
.LBB83_5:                               ;   in Loop: Header=BB83_3 Depth=1
	s_and_not1_saveexec_b32 s0, s36
	s_cbranch_execz .LBB83_7
; %bb.6:                                ;   in Loop: Header=BB83_3 Depth=1
	s_sub_i32 s31, 0, s2
	s_delay_alu instid0(SALU_CYCLE_1) | instskip(NEXT) | instid1(VALU_DEP_1)
	v_mul_lo_u32 v0, s31, v18
	v_mul_hi_u32 v0, v18, v0
	s_delay_alu instid0(VALU_DEP_1) | instskip(NEXT) | instid1(VALU_DEP_1)
	v_add_nc_u32_e32 v0, v18, v0
	v_mul_hi_u32 v0, v6, v0
	s_delay_alu instid0(VALU_DEP_1) | instskip(SKIP_1) | instid1(VALU_DEP_2)
	v_mul_lo_u32 v1, v0, s2
	v_add_nc_u32_e32 v2, 1, v0
	v_sub_nc_u32_e32 v1, v6, v1
	s_delay_alu instid0(VALU_DEP_1) | instskip(SKIP_1) | instid1(VALU_DEP_2)
	v_subrev_nc_u32_e32 v3, s2, v1
	v_cmp_le_u32_e32 vcc_lo, s2, v1
	v_cndmask_b32_e32 v1, v1, v3, vcc_lo
	v_mov_b32_e32 v3, v4
	v_cndmask_b32_e32 v0, v0, v2, vcc_lo
	s_delay_alu instid0(VALU_DEP_3) | instskip(NEXT) | instid1(VALU_DEP_2)
	v_cmp_le_u32_e32 vcc_lo, s2, v1
	v_add_nc_u32_e32 v2, 1, v0
	s_delay_alu instid0(VALU_DEP_1)
	v_cndmask_b32_e32 v2, v0, v2, vcc_lo
.LBB83_7:                               ;   in Loop: Header=BB83_3 Depth=1
	s_or_b32 exec_lo, exec_lo, s0
	s_waitcnt lgkmcnt(0)
	v_or_b32_e32 v5, s9, v3
                                        ; implicit-def: $vgpr0_vgpr1
	s_mov_b32 s0, exec_lo
	s_delay_alu instid0(VALU_DEP_1)
	v_cmpx_ne_u64_e32 0, v[4:5]
	s_xor_b32 s31, exec_lo, s0
	s_cbranch_execz .LBB83_9
; %bb.8:                                ;   in Loop: Header=BB83_3 Depth=1
	s_ashr_i32 s34, s9, 31
	s_delay_alu instid0(SALU_CYCLE_1) | instskip(SKIP_2) | instid1(SALU_CYCLE_1)
	s_add_u32 s36, s8, s34
	s_mov_b32 s35, s34
	s_addc_u32 s37, s9, s34
	s_xor_b64 s[36:37], s[36:37], s[34:35]
	s_delay_alu instid0(SALU_CYCLE_1) | instskip(SKIP_3) | instid1(VALU_DEP_1)
	v_cvt_f32_u32_e32 v0, s36
	v_cvt_f32_u32_e32 v1, s37
	s_sub_u32 s0, 0, s36
	s_subb_u32 s35, 0, s37
	v_fmac_f32_e32 v0, 0x4f800000, v1
	s_delay_alu instid0(VALU_DEP_1) | instskip(SKIP_2) | instid1(VALU_DEP_1)
	v_rcp_f32_e32 v0, v0
	s_waitcnt_depctr 0xfff
	v_mul_f32_e32 v0, 0x5f7ffffc, v0
	v_mul_f32_e32 v1, 0x2f800000, v0
	s_delay_alu instid0(VALU_DEP_1) | instskip(NEXT) | instid1(VALU_DEP_1)
	v_trunc_f32_e32 v1, v1
	v_fmac_f32_e32 v0, 0xcf800000, v1
	v_cvt_u32_f32_e32 v1, v1
	s_delay_alu instid0(VALU_DEP_2) | instskip(NEXT) | instid1(VALU_DEP_2)
	v_cvt_u32_f32_e32 v0, v0
	v_mul_lo_u32 v5, s0, v1
	s_delay_alu instid0(VALU_DEP_2) | instskip(SKIP_1) | instid1(VALU_DEP_2)
	v_mul_hi_u32 v8, s0, v0
	v_mul_lo_u32 v9, s35, v0
	v_add_nc_u32_e32 v5, v8, v5
	v_mul_lo_u32 v8, s0, v0
	s_delay_alu instid0(VALU_DEP_2) | instskip(NEXT) | instid1(VALU_DEP_2)
	v_add_nc_u32_e32 v5, v5, v9
	v_mul_hi_u32 v9, v0, v8
	s_delay_alu instid0(VALU_DEP_2)
	v_mul_lo_u32 v10, v0, v5
	v_mul_hi_u32 v11, v0, v5
	v_mul_hi_u32 v12, v1, v8
	v_mul_lo_u32 v8, v1, v8
	v_mul_hi_u32 v13, v1, v5
	v_mul_lo_u32 v5, v1, v5
	v_add_co_u32 v9, vcc_lo, v9, v10
	v_add_co_ci_u32_e32 v10, vcc_lo, 0, v11, vcc_lo
	s_delay_alu instid0(VALU_DEP_2) | instskip(NEXT) | instid1(VALU_DEP_2)
	v_add_co_u32 v8, vcc_lo, v9, v8
	v_add_co_ci_u32_e32 v8, vcc_lo, v10, v12, vcc_lo
	v_add_co_ci_u32_e32 v9, vcc_lo, 0, v13, vcc_lo
	v_ashrrev_i32_e32 v12, 31, v3
	s_delay_alu instid0(VALU_DEP_3) | instskip(NEXT) | instid1(VALU_DEP_3)
	v_add_co_u32 v5, vcc_lo, v8, v5
	v_add_co_ci_u32_e32 v8, vcc_lo, 0, v9, vcc_lo
	s_delay_alu instid0(VALU_DEP_2) | instskip(NEXT) | instid1(VALU_DEP_2)
	v_add_co_u32 v0, vcc_lo, v0, v5
	v_add_co_ci_u32_e32 v1, vcc_lo, v1, v8, vcc_lo
	s_delay_alu instid0(VALU_DEP_2) | instskip(SKIP_1) | instid1(VALU_DEP_3)
	v_mul_hi_u32 v5, s0, v0
	v_mul_lo_u32 v9, s35, v0
	v_mul_lo_u32 v8, s0, v1
	s_delay_alu instid0(VALU_DEP_1) | instskip(SKIP_1) | instid1(VALU_DEP_2)
	v_add_nc_u32_e32 v5, v5, v8
	v_mul_lo_u32 v8, s0, v0
	v_add_nc_u32_e32 v5, v5, v9
	s_delay_alu instid0(VALU_DEP_2) | instskip(NEXT) | instid1(VALU_DEP_2)
	v_mul_hi_u32 v9, v0, v8
	v_mul_lo_u32 v10, v0, v5
	v_mul_hi_u32 v11, v0, v5
	v_mul_hi_u32 v13, v1, v8
	v_mul_lo_u32 v8, v1, v8
	v_mul_hi_u32 v14, v1, v5
	v_mul_lo_u32 v5, v1, v5
	v_add_co_u32 v9, vcc_lo, v9, v10
	v_add_co_ci_u32_e32 v10, vcc_lo, 0, v11, vcc_lo
	s_delay_alu instid0(VALU_DEP_2) | instskip(NEXT) | instid1(VALU_DEP_2)
	v_add_co_u32 v8, vcc_lo, v9, v8
	v_add_co_ci_u32_e32 v8, vcc_lo, v10, v13, vcc_lo
	v_add_co_ci_u32_e32 v9, vcc_lo, 0, v14, vcc_lo
	v_add_co_u32 v10, vcc_lo, v2, v12
	v_add_co_ci_u32_e32 v11, vcc_lo, v3, v12, vcc_lo
	s_delay_alu instid0(VALU_DEP_4) | instskip(NEXT) | instid1(VALU_DEP_4)
	v_add_co_u32 v5, vcc_lo, v8, v5
	v_add_co_ci_u32_e32 v8, vcc_lo, 0, v9, vcc_lo
	s_delay_alu instid0(VALU_DEP_4) | instskip(NEXT) | instid1(VALU_DEP_3)
	v_xor_b32_e32 v13, v10, v12
	v_add_co_u32 v5, vcc_lo, v0, v5
	s_delay_alu instid0(VALU_DEP_3) | instskip(SKIP_1) | instid1(VALU_DEP_3)
	v_add_co_ci_u32_e32 v14, vcc_lo, v1, v8, vcc_lo
	v_xor_b32_e32 v15, v11, v12
	v_mul_hi_u32 v16, v13, v5
	s_delay_alu instid0(VALU_DEP_3) | instskip(NEXT) | instid1(VALU_DEP_3)
	v_mad_u64_u32 v[0:1], null, v13, v14, 0
	v_mad_u64_u32 v[8:9], null, v15, v5, 0
	;; [unrolled: 1-line block ×3, first 2 shown]
	s_delay_alu instid0(VALU_DEP_3) | instskip(NEXT) | instid1(VALU_DEP_4)
	v_add_co_u32 v0, vcc_lo, v16, v0
	v_add_co_ci_u32_e32 v1, vcc_lo, 0, v1, vcc_lo
	s_delay_alu instid0(VALU_DEP_2) | instskip(NEXT) | instid1(VALU_DEP_2)
	v_add_co_u32 v0, vcc_lo, v0, v8
	v_add_co_ci_u32_e32 v0, vcc_lo, v1, v9, vcc_lo
	v_add_co_ci_u32_e32 v1, vcc_lo, 0, v11, vcc_lo
	s_delay_alu instid0(VALU_DEP_2) | instskip(NEXT) | instid1(VALU_DEP_2)
	v_add_co_u32 v5, vcc_lo, v0, v10
	v_add_co_ci_u32_e32 v8, vcc_lo, 0, v1, vcc_lo
	s_delay_alu instid0(VALU_DEP_2) | instskip(SKIP_1) | instid1(VALU_DEP_3)
	v_mul_lo_u32 v9, s37, v5
	v_mad_u64_u32 v[0:1], null, s36, v5, 0
	v_mul_lo_u32 v10, s36, v8
	s_delay_alu instid0(VALU_DEP_2) | instskip(NEXT) | instid1(VALU_DEP_2)
	v_sub_co_u32 v0, vcc_lo, v13, v0
	v_add3_u32 v1, v1, v10, v9
	s_delay_alu instid0(VALU_DEP_1) | instskip(NEXT) | instid1(VALU_DEP_1)
	v_sub_nc_u32_e32 v9, v15, v1
	v_subrev_co_ci_u32_e64 v9, s0, s37, v9, vcc_lo
	v_add_co_u32 v10, s0, v5, 2
	s_delay_alu instid0(VALU_DEP_1) | instskip(SKIP_3) | instid1(VALU_DEP_3)
	v_add_co_ci_u32_e64 v11, s0, 0, v8, s0
	v_sub_co_u32 v13, s0, v0, s36
	v_sub_co_ci_u32_e32 v1, vcc_lo, v15, v1, vcc_lo
	v_subrev_co_ci_u32_e64 v9, s0, 0, v9, s0
	v_cmp_le_u32_e32 vcc_lo, s36, v13
	s_delay_alu instid0(VALU_DEP_3) | instskip(SKIP_1) | instid1(VALU_DEP_4)
	v_cmp_eq_u32_e64 s0, s37, v1
	v_cndmask_b32_e64 v13, 0, -1, vcc_lo
	v_cmp_le_u32_e32 vcc_lo, s37, v9
	v_cndmask_b32_e64 v14, 0, -1, vcc_lo
	v_cmp_le_u32_e32 vcc_lo, s36, v0
	;; [unrolled: 2-line block ×3, first 2 shown]
	v_cndmask_b32_e64 v15, 0, -1, vcc_lo
	v_cmp_eq_u32_e32 vcc_lo, s37, v9
	s_delay_alu instid0(VALU_DEP_2) | instskip(SKIP_3) | instid1(VALU_DEP_3)
	v_cndmask_b32_e64 v0, v15, v0, s0
	v_cndmask_b32_e32 v9, v14, v13, vcc_lo
	v_add_co_u32 v13, vcc_lo, v5, 1
	v_add_co_ci_u32_e32 v14, vcc_lo, 0, v8, vcc_lo
	v_cmp_ne_u32_e32 vcc_lo, 0, v9
	s_delay_alu instid0(VALU_DEP_2) | instskip(NEXT) | instid1(VALU_DEP_4)
	v_cndmask_b32_e32 v1, v14, v11, vcc_lo
	v_cndmask_b32_e32 v9, v13, v10, vcc_lo
	v_cmp_ne_u32_e32 vcc_lo, 0, v0
	v_xor_b32_e32 v10, s34, v12
	s_delay_alu instid0(VALU_DEP_4) | instskip(NEXT) | instid1(VALU_DEP_4)
	v_cndmask_b32_e32 v0, v8, v1, vcc_lo
	v_cndmask_b32_e32 v1, v5, v9, vcc_lo
	s_delay_alu instid0(VALU_DEP_2) | instskip(NEXT) | instid1(VALU_DEP_2)
	v_xor_b32_e32 v5, v0, v10
	v_xor_b32_e32 v1, v1, v10
	s_delay_alu instid0(VALU_DEP_1) | instskip(NEXT) | instid1(VALU_DEP_3)
	v_sub_co_u32 v0, vcc_lo, v1, v10
	v_sub_co_ci_u32_e32 v1, vcc_lo, v5, v10, vcc_lo
.LBB83_9:                               ;   in Loop: Header=BB83_3 Depth=1
	s_and_not1_saveexec_b32 s0, s31
	s_cbranch_execz .LBB83_11
; %bb.10:                               ;   in Loop: Header=BB83_3 Depth=1
	v_cvt_f32_u32_e32 v0, s8
	s_sub_i32 s31, 0, s8
	s_delay_alu instid0(VALU_DEP_1) | instskip(SKIP_2) | instid1(VALU_DEP_1)
	v_rcp_iflag_f32_e32 v0, v0
	s_waitcnt_depctr 0xfff
	v_mul_f32_e32 v0, 0x4f7ffffe, v0
	v_cvt_u32_f32_e32 v0, v0
	s_delay_alu instid0(VALU_DEP_1) | instskip(NEXT) | instid1(VALU_DEP_1)
	v_mul_lo_u32 v1, s31, v0
	v_mul_hi_u32 v1, v0, v1
	s_delay_alu instid0(VALU_DEP_1) | instskip(NEXT) | instid1(VALU_DEP_1)
	v_add_nc_u32_e32 v0, v0, v1
	v_mul_hi_u32 v0, v2, v0
	s_delay_alu instid0(VALU_DEP_1) | instskip(SKIP_1) | instid1(VALU_DEP_2)
	v_mul_lo_u32 v1, v0, s8
	v_add_nc_u32_e32 v5, 1, v0
	v_sub_nc_u32_e32 v1, v2, v1
	s_delay_alu instid0(VALU_DEP_1) | instskip(SKIP_1) | instid1(VALU_DEP_2)
	v_subrev_nc_u32_e32 v8, s8, v1
	v_cmp_le_u32_e32 vcc_lo, s8, v1
	v_dual_cndmask_b32 v1, v1, v8 :: v_dual_cndmask_b32 v0, v0, v5
	s_delay_alu instid0(VALU_DEP_1) | instskip(NEXT) | instid1(VALU_DEP_2)
	v_cmp_le_u32_e32 vcc_lo, s8, v1
	v_add_nc_u32_e32 v5, 1, v0
	v_mov_b32_e32 v1, v4
	s_delay_alu instid0(VALU_DEP_2)
	v_cndmask_b32_e32 v0, v0, v5, vcc_lo
.LBB83_11:                              ;   in Loop: Header=BB83_3 Depth=1
	s_or_b32 exec_lo, exec_lo, s0
	v_mul_lo_u32 v5, v3, s2
	v_mul_lo_u32 v12, v2, s3
	v_mad_u64_u32 v[8:9], null, v2, s2, 0
	v_mul_lo_u32 v13, v1, s8
	v_mul_lo_u32 v14, v0, s9
	v_mad_u64_u32 v[10:11], null, v0, s8, 0
	s_mov_b64 s[34:35], s[28:29]
	s_mov_b64 s[36:37], s[26:27]
	s_delay_alu instid0(VALU_DEP_4) | instskip(SKIP_2) | instid1(VALU_DEP_2)
	v_add3_u32 v5, v9, v12, v5
	v_sub_co_u32 v8, vcc_lo, v6, v8
	s_mov_b64 s[38:39], s[24:25]
	v_sub_co_ci_u32_e32 v9, vcc_lo, v7, v5, vcc_lo
	s_delay_alu instid0(VALU_DEP_4) | instskip(NEXT) | instid1(VALU_DEP_3)
	v_add3_u32 v5, v11, v14, v13
	v_mul_lo_u32 v11, s15, v8
	v_mul_lo_u32 v12, s19, v8
	s_delay_alu instid0(VALU_DEP_4)
	v_mul_lo_u32 v13, s14, v9
	v_mul_lo_u32 v16, s18, v9
	v_mad_u64_u32 v[14:15], null, s18, v8, 0
	v_mad_u64_u32 v[21:22], null, s14, v8, 0
	v_sub_co_u32 v19, vcc_lo, v2, v10
	v_sub_co_ci_u32_e32 v20, vcc_lo, v3, v5, vcc_lo
	s_delay_alu instid0(VALU_DEP_4) | instskip(NEXT) | instid1(VALU_DEP_3)
	v_add3_u32 v15, v15, v16, v12
	v_mul_lo_u32 v2, s13, v19
	v_add3_u32 v22, v22, v13, v11
	s_delay_alu instid0(VALU_DEP_4)
	v_mul_lo_u32 v3, s12, v20
	v_mul_lo_u32 v5, s16, v20
	v_mad_u64_u32 v[12:13], null, s16, v19, v[14:15]
	v_mul_lo_u32 v10, s17, v19
	v_mad_u64_u32 v[16:17], null, s12, v19, v[21:22]
	s_and_b32 vcc_lo, exec_lo, s1
	s_delay_alu instid0(VALU_DEP_2) | instskip(NEXT) | instid1(VALU_DEP_2)
	v_add3_u32 v13, v10, v13, v5
	v_add3_u32 v17, v2, v17, v3
	v_mov_b32_e32 v2, v12
	s_delay_alu instid0(VALU_DEP_3) | instskip(NEXT) | instid1(VALU_DEP_3)
	v_dual_mov_b32 v10, v16 :: v_dual_mov_b32 v3, v13
	v_mov_b32_e32 v11, v17
	s_cbranch_vccnz .LBB83_19
.LBB83_12:                              ;   in Loop: Header=BB83_3 Depth=1
	v_sub_co_u32 v10, vcc_lo, v8, v19
	v_sub_co_ci_u32_e32 v11, vcc_lo, v9, v20, vcc_lo
	v_mov_b32_e32 v2, 0
	s_delay_alu instid0(VALU_DEP_3) | instskip(NEXT) | instid1(VALU_DEP_3)
	v_add_co_u32 v0, vcc_lo, v10, 1
	v_add_co_ci_u32_e32 v1, vcc_lo, 0, v11, vcc_lo
	v_mov_b32_e32 v3, 0
	s_delay_alu instid0(VALU_DEP_2) | instskip(NEXT) | instid1(VALU_DEP_2)
	v_cmp_le_i64_e32 vcc_lo, s[4:5], v[0:1]
	v_dual_mov_b32 v0, v2 :: v_dual_mov_b32 v1, v3
	s_and_saveexec_b32 s0, vcc_lo
	s_cbranch_execz .LBB83_16
; %bb.13:                               ;   in Loop: Header=BB83_3 Depth=1
	v_mov_b32_e32 v0, 0
	v_mov_b32_e32 v1, 0
	s_mov_b32 s31, exec_lo
	s_delay_alu instid0(VALU_DEP_1)
	v_dual_mov_b32 v3, v1 :: v_dual_mov_b32 v2, v0
	v_cmpx_gt_i64_e64 s[10:11], v[8:9]
	s_cbranch_execz .LBB83_15
; %bb.14:                               ;   in Loop: Header=BB83_3 Depth=1
	v_lshlrev_b64 v[0:1], 4, v[16:17]
	s_delay_alu instid0(VALU_DEP_1) | instskip(NEXT) | instid1(VALU_DEP_2)
	v_add_co_u32 v0, vcc_lo, s20, v0
	v_add_co_ci_u32_e32 v1, vcc_lo, s21, v1, vcc_lo
	global_load_b128 v[0:3], v[0:1], off
.LBB83_15:                              ;   in Loop: Header=BB83_3 Depth=1
	s_or_b32 exec_lo, exec_lo, s31
	v_cmp_gt_i64_e32 vcc_lo, s[4:5], v[10:11]
	s_waitcnt vmcnt(0)
	v_cndmask_b32_e64 v1, v1, 0, vcc_lo
	v_cndmask_b32_e64 v0, v0, 0, vcc_lo
	;; [unrolled: 1-line block ×4, first 2 shown]
.LBB83_16:                              ;   in Loop: Header=BB83_3 Depth=1
	s_or_b32 exec_lo, exec_lo, s0
	s_delay_alu instid0(SALU_CYCLE_1)
	s_mov_b32 s0, exec_lo
	v_cmpx_gt_i64_e64 s[10:11], v[8:9]
	s_cbranch_execz .LBB83_2
; %bb.17:                               ;   in Loop: Header=BB83_3 Depth=1
	v_lshlrev_b64 v[8:9], 4, v[12:13]
	s_delay_alu instid0(VALU_DEP_1) | instskip(NEXT) | instid1(VALU_DEP_2)
	v_add_co_u32 v8, vcc_lo, s22, v8
	v_add_co_ci_u32_e32 v9, vcc_lo, s23, v9, vcc_lo
	global_store_b128 v[8:9], v[0:3], off
	s_branch .LBB83_2
.LBB83_18:                              ;   in Loop: Header=BB83_19 Depth=2
	s_or_b32 exec_lo, exec_lo, s0
	s_delay_alu instid0(VALU_DEP_1) | instskip(NEXT) | instid1(VALU_DEP_2)
	v_mul_lo_u32 v5, v15, s40
	v_mul_lo_u32 v16, v14, s41
	s_load_b64 s[42:43], s[36:37], 0xc8
	v_mad_u64_u32 v[12:13], null, v14, s40, 0
	s_load_b64 s[40:41], s[38:39], 0x0
	s_add_u32 s38, s38, -8
	s_addc_u32 s39, s39, -1
	s_add_u32 s36, s36, -8
	s_addc_u32 s37, s37, -1
	s_add_u32 s34, s34, -1
	s_delay_alu instid0(VALU_DEP_1) | instskip(SKIP_2) | instid1(VALU_DEP_2)
	v_add3_u32 v5, v13, v16, v5
	v_sub_co_u32 v0, vcc_lo, v0, v12
	s_addc_u32 s35, s35, -1
	v_sub_co_ci_u32_e32 v1, vcc_lo, v1, v5, vcc_lo
	v_cmp_lt_i64_e64 s0, s[34:35], 1
	s_waitcnt lgkmcnt(0)
	s_delay_alu instid0(VALU_DEP_2)
	v_mul_lo_u32 v5, s42, v1
	v_mul_lo_u32 v21, s43, v0
	v_mad_u64_u32 v[16:17], null, s42, v0, v[10:11]
	v_mul_lo_u32 v1, s40, v1
	v_mul_lo_u32 v10, s41, v0
	v_mad_u64_u32 v[12:13], null, s40, v0, v[2:3]
	s_and_b32 vcc_lo, exec_lo, s0
	s_delay_alu instid0(VALU_DEP_4) | instskip(NEXT) | instid1(VALU_DEP_2)
	v_add3_u32 v17, v21, v17, v5
	v_add3_u32 v13, v10, v13, v1
	v_dual_mov_b32 v0, v14 :: v_dual_mov_b32 v1, v15
	s_delay_alu instid0(VALU_DEP_4) | instskip(NEXT) | instid1(VALU_DEP_4)
	v_mov_b32_e32 v2, v12
	v_dual_mov_b32 v10, v16 :: v_dual_mov_b32 v11, v17
	s_delay_alu instid0(VALU_DEP_4)
	v_mov_b32_e32 v3, v13
	s_cbranch_vccnz .LBB83_12
.LBB83_19:                              ;   Parent Loop BB83_3 Depth=1
                                        ; =>  This Inner Loop Header: Depth=2
	s_load_b64 s[40:41], s[36:37], 0x0
                                        ; implicit-def: $vgpr14_vgpr15
	s_mov_b32 s0, exec_lo
	s_waitcnt lgkmcnt(0)
	v_or_b32_e32 v5, s41, v1
	s_delay_alu instid0(VALU_DEP_1)
	v_cmpx_ne_u64_e32 0, v[4:5]
	s_xor_b32 s31, exec_lo, s0
	s_cbranch_execz .LBB83_21
; %bb.20:                               ;   in Loop: Header=BB83_19 Depth=2
	s_ashr_i32 s42, s41, 31
	s_delay_alu instid0(SALU_CYCLE_1) | instskip(SKIP_2) | instid1(SALU_CYCLE_1)
	s_add_u32 s44, s40, s42
	s_mov_b32 s43, s42
	s_addc_u32 s45, s41, s42
	s_xor_b64 s[44:45], s[44:45], s[42:43]
	s_delay_alu instid0(SALU_CYCLE_1) | instskip(SKIP_3) | instid1(VALU_DEP_1)
	v_cvt_f32_u32_e32 v5, s44
	v_cvt_f32_u32_e32 v12, s45
	s_sub_u32 s0, 0, s44
	s_subb_u32 s43, 0, s45
	v_fmac_f32_e32 v5, 0x4f800000, v12
	s_delay_alu instid0(VALU_DEP_1) | instskip(SKIP_2) | instid1(VALU_DEP_1)
	v_rcp_f32_e32 v5, v5
	s_waitcnt_depctr 0xfff
	v_mul_f32_e32 v5, 0x5f7ffffc, v5
	v_mul_f32_e32 v12, 0x2f800000, v5
	s_delay_alu instid0(VALU_DEP_1) | instskip(NEXT) | instid1(VALU_DEP_1)
	v_trunc_f32_e32 v12, v12
	v_fmac_f32_e32 v5, 0xcf800000, v12
	v_cvt_u32_f32_e32 v12, v12
	s_delay_alu instid0(VALU_DEP_2) | instskip(NEXT) | instid1(VALU_DEP_2)
	v_cvt_u32_f32_e32 v5, v5
	v_mul_lo_u32 v13, s0, v12
	s_delay_alu instid0(VALU_DEP_2) | instskip(SKIP_1) | instid1(VALU_DEP_2)
	v_mul_hi_u32 v14, s0, v5
	v_mul_lo_u32 v15, s43, v5
	v_add_nc_u32_e32 v13, v14, v13
	v_mul_lo_u32 v14, s0, v5
	s_delay_alu instid0(VALU_DEP_2) | instskip(NEXT) | instid1(VALU_DEP_2)
	v_add_nc_u32_e32 v13, v13, v15
	v_mul_hi_u32 v15, v5, v14
	s_delay_alu instid0(VALU_DEP_2)
	v_mul_lo_u32 v16, v5, v13
	v_mul_hi_u32 v17, v5, v13
	v_mul_hi_u32 v21, v12, v14
	v_mul_lo_u32 v14, v12, v14
	v_mul_hi_u32 v22, v12, v13
	v_mul_lo_u32 v13, v12, v13
	v_add_co_u32 v15, vcc_lo, v15, v16
	v_add_co_ci_u32_e32 v16, vcc_lo, 0, v17, vcc_lo
	s_delay_alu instid0(VALU_DEP_2) | instskip(NEXT) | instid1(VALU_DEP_2)
	v_add_co_u32 v14, vcc_lo, v15, v14
	v_add_co_ci_u32_e32 v14, vcc_lo, v16, v21, vcc_lo
	v_add_co_ci_u32_e32 v15, vcc_lo, 0, v22, vcc_lo
	v_ashrrev_i32_e32 v21, 31, v1
	s_delay_alu instid0(VALU_DEP_3) | instskip(NEXT) | instid1(VALU_DEP_3)
	v_add_co_u32 v13, vcc_lo, v14, v13
	v_add_co_ci_u32_e32 v14, vcc_lo, 0, v15, vcc_lo
	s_delay_alu instid0(VALU_DEP_2) | instskip(NEXT) | instid1(VALU_DEP_2)
	v_add_co_u32 v5, vcc_lo, v5, v13
	v_add_co_ci_u32_e32 v12, vcc_lo, v12, v14, vcc_lo
	s_delay_alu instid0(VALU_DEP_2) | instskip(SKIP_1) | instid1(VALU_DEP_3)
	v_mul_hi_u32 v13, s0, v5
	v_mul_lo_u32 v15, s43, v5
	v_mul_lo_u32 v14, s0, v12
	s_delay_alu instid0(VALU_DEP_1) | instskip(SKIP_1) | instid1(VALU_DEP_2)
	v_add_nc_u32_e32 v13, v13, v14
	v_mul_lo_u32 v14, s0, v5
	v_add_nc_u32_e32 v13, v13, v15
	s_delay_alu instid0(VALU_DEP_2) | instskip(NEXT) | instid1(VALU_DEP_2)
	v_mul_hi_u32 v15, v5, v14
	v_mul_lo_u32 v16, v5, v13
	v_mul_hi_u32 v17, v5, v13
	v_mul_hi_u32 v22, v12, v14
	v_mul_lo_u32 v14, v12, v14
	v_mul_hi_u32 v23, v12, v13
	v_mul_lo_u32 v13, v12, v13
	v_add_co_u32 v15, vcc_lo, v15, v16
	v_add_co_ci_u32_e32 v16, vcc_lo, 0, v17, vcc_lo
	s_delay_alu instid0(VALU_DEP_2) | instskip(NEXT) | instid1(VALU_DEP_2)
	v_add_co_u32 v14, vcc_lo, v15, v14
	v_add_co_ci_u32_e32 v14, vcc_lo, v16, v22, vcc_lo
	v_add_co_ci_u32_e32 v15, vcc_lo, 0, v23, vcc_lo
	v_add_co_u32 v16, vcc_lo, v0, v21
	v_add_co_ci_u32_e32 v17, vcc_lo, v1, v21, vcc_lo
	s_delay_alu instid0(VALU_DEP_4) | instskip(NEXT) | instid1(VALU_DEP_4)
	v_add_co_u32 v13, vcc_lo, v14, v13
	v_add_co_ci_u32_e32 v14, vcc_lo, 0, v15, vcc_lo
	s_delay_alu instid0(VALU_DEP_4) | instskip(NEXT) | instid1(VALU_DEP_3)
	v_xor_b32_e32 v22, v16, v21
	v_add_co_u32 v5, vcc_lo, v5, v13
	s_delay_alu instid0(VALU_DEP_3) | instskip(SKIP_1) | instid1(VALU_DEP_3)
	v_add_co_ci_u32_e32 v23, vcc_lo, v12, v14, vcc_lo
	v_xor_b32_e32 v24, v17, v21
	v_mul_hi_u32 v25, v22, v5
	s_delay_alu instid0(VALU_DEP_3) | instskip(NEXT) | instid1(VALU_DEP_3)
	v_mad_u64_u32 v[12:13], null, v22, v23, 0
	v_mad_u64_u32 v[14:15], null, v24, v5, 0
	;; [unrolled: 1-line block ×3, first 2 shown]
	s_delay_alu instid0(VALU_DEP_3) | instskip(NEXT) | instid1(VALU_DEP_4)
	v_add_co_u32 v5, vcc_lo, v25, v12
	v_add_co_ci_u32_e32 v12, vcc_lo, 0, v13, vcc_lo
	s_delay_alu instid0(VALU_DEP_2) | instskip(NEXT) | instid1(VALU_DEP_2)
	v_add_co_u32 v5, vcc_lo, v5, v14
	v_add_co_ci_u32_e32 v5, vcc_lo, v12, v15, vcc_lo
	v_add_co_ci_u32_e32 v12, vcc_lo, 0, v17, vcc_lo
	s_delay_alu instid0(VALU_DEP_2) | instskip(NEXT) | instid1(VALU_DEP_2)
	v_add_co_u32 v5, vcc_lo, v5, v16
	v_add_co_ci_u32_e32 v14, vcc_lo, 0, v12, vcc_lo
	s_delay_alu instid0(VALU_DEP_2) | instskip(SKIP_1) | instid1(VALU_DEP_3)
	v_mul_lo_u32 v15, s45, v5
	v_mad_u64_u32 v[12:13], null, s44, v5, 0
	v_mul_lo_u32 v16, s44, v14
	s_delay_alu instid0(VALU_DEP_2) | instskip(NEXT) | instid1(VALU_DEP_2)
	v_sub_co_u32 v12, vcc_lo, v22, v12
	v_add3_u32 v13, v13, v16, v15
	s_delay_alu instid0(VALU_DEP_1) | instskip(NEXT) | instid1(VALU_DEP_1)
	v_sub_nc_u32_e32 v15, v24, v13
	v_subrev_co_ci_u32_e64 v15, s0, s45, v15, vcc_lo
	v_add_co_u32 v16, s0, v5, 2
	s_delay_alu instid0(VALU_DEP_1) | instskip(SKIP_3) | instid1(VALU_DEP_3)
	v_add_co_ci_u32_e64 v17, s0, 0, v14, s0
	v_sub_co_u32 v22, s0, v12, s44
	v_sub_co_ci_u32_e32 v13, vcc_lo, v24, v13, vcc_lo
	v_subrev_co_ci_u32_e64 v15, s0, 0, v15, s0
	v_cmp_le_u32_e32 vcc_lo, s44, v22
	s_delay_alu instid0(VALU_DEP_3) | instskip(SKIP_1) | instid1(VALU_DEP_4)
	v_cmp_eq_u32_e64 s0, s45, v13
	v_cndmask_b32_e64 v22, 0, -1, vcc_lo
	v_cmp_le_u32_e32 vcc_lo, s45, v15
	v_cndmask_b32_e64 v23, 0, -1, vcc_lo
	v_cmp_le_u32_e32 vcc_lo, s44, v12
	v_cndmask_b32_e64 v12, 0, -1, vcc_lo
	v_cmp_le_u32_e32 vcc_lo, s45, v13
	v_cndmask_b32_e64 v24, 0, -1, vcc_lo
	v_cmp_eq_u32_e32 vcc_lo, s45, v15
	s_delay_alu instid0(VALU_DEP_2) | instskip(SKIP_3) | instid1(VALU_DEP_3)
	v_cndmask_b32_e64 v12, v24, v12, s0
	v_cndmask_b32_e32 v15, v23, v22, vcc_lo
	v_add_co_u32 v22, vcc_lo, v5, 1
	v_add_co_ci_u32_e32 v23, vcc_lo, 0, v14, vcc_lo
	v_cmp_ne_u32_e32 vcc_lo, 0, v15
	s_delay_alu instid0(VALU_DEP_2) | instskip(NEXT) | instid1(VALU_DEP_4)
	v_cndmask_b32_e32 v13, v23, v17, vcc_lo
	v_cndmask_b32_e32 v15, v22, v16, vcc_lo
	v_cmp_ne_u32_e32 vcc_lo, 0, v12
	v_xor_b32_e32 v12, s42, v21
	s_delay_alu instid0(VALU_DEP_3) | instskip(SKIP_1) | instid1(VALU_DEP_2)
	v_cndmask_b32_e32 v5, v5, v15, vcc_lo
	v_cndmask_b32_e32 v13, v14, v13, vcc_lo
	v_xor_b32_e32 v5, v5, v12
	s_delay_alu instid0(VALU_DEP_2) | instskip(NEXT) | instid1(VALU_DEP_2)
	v_xor_b32_e32 v13, v13, v12
	v_sub_co_u32 v14, vcc_lo, v5, v12
	s_delay_alu instid0(VALU_DEP_2)
	v_sub_co_ci_u32_e32 v15, vcc_lo, v13, v12, vcc_lo
.LBB83_21:                              ;   in Loop: Header=BB83_19 Depth=2
	s_and_not1_saveexec_b32 s0, s31
	s_cbranch_execz .LBB83_18
; %bb.22:                               ;   in Loop: Header=BB83_19 Depth=2
	v_cvt_f32_u32_e32 v5, s40
	s_sub_i32 s31, 0, s40
	v_mov_b32_e32 v15, v4
	s_delay_alu instid0(VALU_DEP_2) | instskip(SKIP_2) | instid1(VALU_DEP_1)
	v_rcp_iflag_f32_e32 v5, v5
	s_waitcnt_depctr 0xfff
	v_mul_f32_e32 v5, 0x4f7ffffe, v5
	v_cvt_u32_f32_e32 v5, v5
	s_delay_alu instid0(VALU_DEP_1) | instskip(NEXT) | instid1(VALU_DEP_1)
	v_mul_lo_u32 v12, s31, v5
	v_mul_hi_u32 v12, v5, v12
	s_delay_alu instid0(VALU_DEP_1) | instskip(NEXT) | instid1(VALU_DEP_1)
	v_add_nc_u32_e32 v5, v5, v12
	v_mul_hi_u32 v5, v0, v5
	s_delay_alu instid0(VALU_DEP_1) | instskip(SKIP_1) | instid1(VALU_DEP_2)
	v_mul_lo_u32 v12, v5, s40
	v_add_nc_u32_e32 v13, 1, v5
	v_sub_nc_u32_e32 v12, v0, v12
	s_delay_alu instid0(VALU_DEP_1) | instskip(SKIP_1) | instid1(VALU_DEP_2)
	v_subrev_nc_u32_e32 v14, s40, v12
	v_cmp_le_u32_e32 vcc_lo, s40, v12
	v_dual_cndmask_b32 v12, v12, v14 :: v_dual_cndmask_b32 v5, v5, v13
	s_delay_alu instid0(VALU_DEP_1) | instskip(NEXT) | instid1(VALU_DEP_2)
	v_cmp_le_u32_e32 vcc_lo, s40, v12
	v_add_nc_u32_e32 v13, 1, v5
	s_delay_alu instid0(VALU_DEP_1)
	v_cndmask_b32_e32 v14, v5, v13, vcc_lo
	s_branch .LBB83_18
.LBB83_23:
	s_nop 0
	s_sendmsg sendmsg(MSG_DEALLOC_VGPRS)
	s_endpgm
	.section	.rodata,"a",@progbits
	.p2align	6, 0x0
	.amdhsa_kernel _ZN2at6native16triu_tril_kernelIN3c107complexIdEElLb1ELi1ELb0EEEvNS_4cuda6detail10TensorInfoIT_T0_EENS7_IKS8_S9_EEllS9_
		.amdhsa_group_segment_fixed_size 0
		.amdhsa_private_segment_fixed_size 0
		.amdhsa_kernarg_size 1112
		.amdhsa_user_sgpr_count 15
		.amdhsa_user_sgpr_dispatch_ptr 0
		.amdhsa_user_sgpr_queue_ptr 0
		.amdhsa_user_sgpr_kernarg_segment_ptr 1
		.amdhsa_user_sgpr_dispatch_id 0
		.amdhsa_user_sgpr_private_segment_size 0
		.amdhsa_wavefront_size32 1
		.amdhsa_uses_dynamic_stack 0
		.amdhsa_enable_private_segment 0
		.amdhsa_system_sgpr_workgroup_id_x 1
		.amdhsa_system_sgpr_workgroup_id_y 0
		.amdhsa_system_sgpr_workgroup_id_z 0
		.amdhsa_system_sgpr_workgroup_info 0
		.amdhsa_system_vgpr_workitem_id 0
		.amdhsa_next_free_vgpr 26
		.amdhsa_next_free_sgpr 47
		.amdhsa_reserve_vcc 1
		.amdhsa_float_round_mode_32 0
		.amdhsa_float_round_mode_16_64 0
		.amdhsa_float_denorm_mode_32 3
		.amdhsa_float_denorm_mode_16_64 3
		.amdhsa_dx10_clamp 1
		.amdhsa_ieee_mode 1
		.amdhsa_fp16_overflow 0
		.amdhsa_workgroup_processor_mode 1
		.amdhsa_memory_ordered 1
		.amdhsa_forward_progress 0
		.amdhsa_shared_vgpr_count 0
		.amdhsa_exception_fp_ieee_invalid_op 0
		.amdhsa_exception_fp_denorm_src 0
		.amdhsa_exception_fp_ieee_div_zero 0
		.amdhsa_exception_fp_ieee_overflow 0
		.amdhsa_exception_fp_ieee_underflow 0
		.amdhsa_exception_fp_ieee_inexact 0
		.amdhsa_exception_int_div_zero 0
	.end_amdhsa_kernel
	.section	.text._ZN2at6native16triu_tril_kernelIN3c107complexIdEElLb1ELi1ELb0EEEvNS_4cuda6detail10TensorInfoIT_T0_EENS7_IKS8_S9_EEllS9_,"axG",@progbits,_ZN2at6native16triu_tril_kernelIN3c107complexIdEElLb1ELi1ELb0EEEvNS_4cuda6detail10TensorInfoIT_T0_EENS7_IKS8_S9_EEllS9_,comdat
.Lfunc_end83:
	.size	_ZN2at6native16triu_tril_kernelIN3c107complexIdEElLb1ELi1ELb0EEEvNS_4cuda6detail10TensorInfoIT_T0_EENS7_IKS8_S9_EEllS9_, .Lfunc_end83-_ZN2at6native16triu_tril_kernelIN3c107complexIdEElLb1ELi1ELb0EEEvNS_4cuda6detail10TensorInfoIT_T0_EENS7_IKS8_S9_EEllS9_
                                        ; -- End function
	.section	.AMDGPU.csdata,"",@progbits
; Kernel info:
; codeLenInByte = 4076
; NumSgprs: 49
; NumVgprs: 26
; ScratchSize: 0
; MemoryBound: 1
; FloatMode: 240
; IeeeMode: 1
; LDSByteSize: 0 bytes/workgroup (compile time only)
; SGPRBlocks: 6
; VGPRBlocks: 3
; NumSGPRsForWavesPerEU: 49
; NumVGPRsForWavesPerEU: 26
; Occupancy: 16
; WaveLimiterHint : 0
; COMPUTE_PGM_RSRC2:SCRATCH_EN: 0
; COMPUTE_PGM_RSRC2:USER_SGPR: 15
; COMPUTE_PGM_RSRC2:TRAP_HANDLER: 0
; COMPUTE_PGM_RSRC2:TGID_X_EN: 1
; COMPUTE_PGM_RSRC2:TGID_Y_EN: 0
; COMPUTE_PGM_RSRC2:TGID_Z_EN: 0
; COMPUTE_PGM_RSRC2:TIDIG_COMP_CNT: 0
	.section	.text._ZN2at6native16triu_tril_kernelIN3c107complexIfEEiLb1ELi2ELb1EEEvNS_4cuda6detail10TensorInfoIT_T0_EENS7_IKS8_S9_EEllS9_,"axG",@progbits,_ZN2at6native16triu_tril_kernelIN3c107complexIfEEiLb1ELi2ELb1EEEvNS_4cuda6detail10TensorInfoIT_T0_EENS7_IKS8_S9_EEllS9_,comdat
	.protected	_ZN2at6native16triu_tril_kernelIN3c107complexIfEEiLb1ELi2ELb1EEEvNS_4cuda6detail10TensorInfoIT_T0_EENS7_IKS8_S9_EEllS9_ ; -- Begin function _ZN2at6native16triu_tril_kernelIN3c107complexIfEEiLb1ELi2ELb1EEEvNS_4cuda6detail10TensorInfoIT_T0_EENS7_IKS8_S9_EEllS9_
	.globl	_ZN2at6native16triu_tril_kernelIN3c107complexIfEEiLb1ELi2ELb1EEEvNS_4cuda6detail10TensorInfoIT_T0_EENS7_IKS8_S9_EEllS9_
	.p2align	8
	.type	_ZN2at6native16triu_tril_kernelIN3c107complexIfEEiLb1ELi2ELb1EEEvNS_4cuda6detail10TensorInfoIT_T0_EENS7_IKS8_S9_EEllS9_,@function
_ZN2at6native16triu_tril_kernelIN3c107complexIfEEiLb1ELi2ELb1EEEvNS_4cuda6detail10TensorInfoIT_T0_EENS7_IKS8_S9_EEllS9_: ; @_ZN2at6native16triu_tril_kernelIN3c107complexIfEEiLb1ELi2ELb1EEEvNS_4cuda6detail10TensorInfoIT_T0_EENS7_IKS8_S9_EEllS9_
; %bb.0:
	s_clause 0x1
	s_load_b32 s2, s[0:1], 0x1d4
	s_load_b128 s[4:7], s[0:1], 0x1b0
	v_mov_b32_e32 v2, 0
	s_add_u32 s8, s0, 0x1c8
	s_addc_u32 s9, s1, 0
	s_delay_alu instid0(VALU_DEP_1) | instskip(SKIP_3) | instid1(VALU_DEP_1)
	v_mov_b32_e32 v1, v2
	s_waitcnt lgkmcnt(0)
	s_and_b32 s14, s2, 0xffff
	s_mov_b32 s2, exec_lo
	v_mad_u64_u32 v[3:4], null, s14, s15, v[0:1]
	s_delay_alu instid0(VALU_DEP_1) | instskip(NEXT) | instid1(VALU_DEP_1)
	v_lshlrev_b64 v[0:1], 1, v[3:4]
	v_cmpx_gt_i64_e64 s[6:7], v[0:1]
	s_cbranch_execz .LBB84_62
; %bb.1:
	s_clause 0x2
	s_load_b32 s24, s[0:1], 0x1c0
	s_load_b32 s16, s[0:1], 0x1a8
	s_load_b64 s[2:3], s[0:1], 0x0
	s_load_b32 s19, s[8:9], 0x0
	s_mov_b32 s38, 0
	s_waitcnt lgkmcnt(0)
	s_ashr_i32 s25, s24, 31
	s_ashr_i32 s17, s16, 31
	s_add_u32 s26, s0, 0xe0
	s_addc_u32 s27, s1, 0
	s_lshl_b64 s[10:11], s[16:17], 2
	v_cvt_f32_u32_e32 v3, s24
	s_add_u32 s15, s10, -8
	s_addc_u32 s18, s11, -1
	s_add_u32 s12, s26, s15
	s_addc_u32 s13, s27, s18
	v_rcp_iflag_f32_e32 v3, v3
	s_load_b32 s28, s[12:13], 0x0
	s_mul_i32 s19, s19, s14
	v_cmp_gt_i64_e64 s37, s[16:17], 2
	s_waitcnt_depctr 0xfff
	v_mul_f32_e32 v3, 0x4f7ffffe, v3
	s_delay_alu instid0(VALU_DEP_1)
	v_cvt_u32_f32_e32 v3, v3
	s_waitcnt lgkmcnt(0)
	s_ashr_i32 s29, s28, 31
	s_add_u32 s12, s10, -4
	s_addc_u32 s13, s11, -1
	s_add_u32 s30, s0, 0x6c
	s_addc_u32 s1, s1, 0
	s_add_u32 s8, s30, s12
	s_addc_u32 s9, s1, s13
	s_add_u32 s10, s30, s15
	s_addc_u32 s11, s1, s18
	s_add_i32 s31, s16, -3
	s_add_u32 s12, s26, s12
	s_addc_u32 s13, s27, s13
	s_add_i32 s0, s16, 6
	s_lshl_b32 s34, s19, 1
	s_and_b32 s33, s0, 7
	s_mov_b32 s15, 0
	s_cmp_lg_u32 s33, 0
	s_cselect_b32 s35, -1, 0
	s_cmp_gt_u32 s31, 6
	s_cselect_b32 s36, -1, 0
	s_sub_i32 s0, 0, s24
	s_delay_alu instid0(SALU_CYCLE_1) | instskip(NEXT) | instid1(VALU_DEP_1)
	v_mul_lo_u32 v4, s0, v3
	v_mul_hi_u32 v4, v3, v4
	s_delay_alu instid0(VALU_DEP_1)
	v_add_nc_u32_e32 v24, v3, v4
	s_branch .LBB84_3
.LBB84_2:                               ;   in Loop: Header=BB84_3 Depth=1
	s_or_b32 exec_lo, exec_lo, s39
	v_add_co_u32 v0, vcc_lo, v0, s34
	v_add_co_ci_u32_e32 v1, vcc_lo, 0, v1, vcc_lo
	s_delay_alu instid0(VALU_DEP_1) | instskip(SKIP_1) | instid1(SALU_CYCLE_1)
	v_cmp_le_i64_e32 vcc_lo, s[6:7], v[0:1]
	s_or_b32 s38, vcc_lo, s38
	s_and_not1_b32 exec_lo, exec_lo, s38
	s_cbranch_execz .LBB84_62
.LBB84_3:                               ; =>This Loop Header: Depth=1
                                        ;     Child Loop BB84_15 Depth 2
                                        ;     Child Loop BB84_24 Depth 2
	v_or_b32_e32 v3, s25, v1
                                        ; implicit-def: $vgpr4_vgpr5
	s_mov_b32 s0, exec_lo
	s_delay_alu instid0(VALU_DEP_1)
	v_cmpx_ne_u64_e32 0, v[2:3]
	s_xor_b32 s14, exec_lo, s0
	s_cbranch_execz .LBB84_5
; %bb.4:                                ;   in Loop: Header=BB84_3 Depth=1
	s_add_u32 s18, s24, s25
	s_mov_b32 s16, s25
	s_mov_b32 s17, s25
	s_addc_u32 s19, s25, s25
	s_delay_alu instid0(SALU_CYCLE_1) | instskip(NEXT) | instid1(SALU_CYCLE_1)
	s_xor_b64 s[18:19], s[18:19], s[16:17]
	v_cvt_f32_u32_e32 v3, s18
	v_cvt_f32_u32_e32 v4, s19
	s_sub_u32 s0, 0, s18
	s_subb_u32 s20, 0, s19
	s_delay_alu instid0(VALU_DEP_1) | instskip(NEXT) | instid1(VALU_DEP_1)
	v_fmac_f32_e32 v3, 0x4f800000, v4
	v_rcp_f32_e32 v3, v3
	s_waitcnt_depctr 0xfff
	v_mul_f32_e32 v3, 0x5f7ffffc, v3
	s_delay_alu instid0(VALU_DEP_1) | instskip(NEXT) | instid1(VALU_DEP_1)
	v_mul_f32_e32 v4, 0x2f800000, v3
	v_trunc_f32_e32 v4, v4
	s_delay_alu instid0(VALU_DEP_1) | instskip(SKIP_1) | instid1(VALU_DEP_2)
	v_fmac_f32_e32 v3, 0xcf800000, v4
	v_cvt_u32_f32_e32 v4, v4
	v_cvt_u32_f32_e32 v3, v3
	s_delay_alu instid0(VALU_DEP_2) | instskip(NEXT) | instid1(VALU_DEP_2)
	v_mul_lo_u32 v5, s0, v4
	v_mul_hi_u32 v6, s0, v3
	v_mul_lo_u32 v7, s20, v3
	s_delay_alu instid0(VALU_DEP_2) | instskip(SKIP_1) | instid1(VALU_DEP_2)
	v_add_nc_u32_e32 v5, v6, v5
	v_mul_lo_u32 v6, s0, v3
	v_add_nc_u32_e32 v5, v5, v7
	s_delay_alu instid0(VALU_DEP_2) | instskip(NEXT) | instid1(VALU_DEP_2)
	v_mul_hi_u32 v7, v3, v6
	v_mul_lo_u32 v8, v3, v5
	v_mul_hi_u32 v9, v3, v5
	v_mul_hi_u32 v10, v4, v6
	v_mul_lo_u32 v6, v4, v6
	v_mul_hi_u32 v11, v4, v5
	v_mul_lo_u32 v5, v4, v5
	v_add_co_u32 v7, vcc_lo, v7, v8
	v_add_co_ci_u32_e32 v8, vcc_lo, 0, v9, vcc_lo
	s_delay_alu instid0(VALU_DEP_2) | instskip(NEXT) | instid1(VALU_DEP_2)
	v_add_co_u32 v6, vcc_lo, v7, v6
	v_add_co_ci_u32_e32 v6, vcc_lo, v8, v10, vcc_lo
	v_add_co_ci_u32_e32 v7, vcc_lo, 0, v11, vcc_lo
	v_ashrrev_i32_e32 v10, 31, v1
	s_delay_alu instid0(VALU_DEP_3) | instskip(NEXT) | instid1(VALU_DEP_3)
	v_add_co_u32 v5, vcc_lo, v6, v5
	v_add_co_ci_u32_e32 v6, vcc_lo, 0, v7, vcc_lo
	s_delay_alu instid0(VALU_DEP_2) | instskip(NEXT) | instid1(VALU_DEP_2)
	v_add_co_u32 v3, vcc_lo, v3, v5
	v_add_co_ci_u32_e32 v4, vcc_lo, v4, v6, vcc_lo
	s_delay_alu instid0(VALU_DEP_2) | instskip(SKIP_1) | instid1(VALU_DEP_3)
	v_mul_hi_u32 v5, s0, v3
	v_mul_lo_u32 v7, s20, v3
	v_mul_lo_u32 v6, s0, v4
	s_delay_alu instid0(VALU_DEP_1) | instskip(SKIP_1) | instid1(VALU_DEP_2)
	v_add_nc_u32_e32 v5, v5, v6
	v_mul_lo_u32 v6, s0, v3
	v_add_nc_u32_e32 v5, v5, v7
	s_delay_alu instid0(VALU_DEP_2) | instskip(NEXT) | instid1(VALU_DEP_2)
	v_mul_hi_u32 v7, v3, v6
	v_mul_lo_u32 v8, v3, v5
	v_mul_hi_u32 v9, v3, v5
	v_mul_hi_u32 v11, v4, v6
	v_mul_lo_u32 v6, v4, v6
	v_mul_hi_u32 v12, v4, v5
	v_mul_lo_u32 v5, v4, v5
	v_add_co_u32 v7, vcc_lo, v7, v8
	v_add_co_ci_u32_e32 v8, vcc_lo, 0, v9, vcc_lo
	s_delay_alu instid0(VALU_DEP_2) | instskip(NEXT) | instid1(VALU_DEP_2)
	v_add_co_u32 v6, vcc_lo, v7, v6
	v_add_co_ci_u32_e32 v6, vcc_lo, v8, v11, vcc_lo
	v_add_co_ci_u32_e32 v7, vcc_lo, 0, v12, vcc_lo
	v_add_co_u32 v8, vcc_lo, v0, v10
	v_add_co_ci_u32_e32 v9, vcc_lo, v1, v10, vcc_lo
	s_delay_alu instid0(VALU_DEP_4) | instskip(NEXT) | instid1(VALU_DEP_4)
	v_add_co_u32 v5, vcc_lo, v6, v5
	v_add_co_ci_u32_e32 v6, vcc_lo, 0, v7, vcc_lo
	s_delay_alu instid0(VALU_DEP_4) | instskip(NEXT) | instid1(VALU_DEP_3)
	v_xor_b32_e32 v11, v8, v10
	v_add_co_u32 v7, vcc_lo, v3, v5
	s_delay_alu instid0(VALU_DEP_3) | instskip(SKIP_1) | instid1(VALU_DEP_3)
	v_add_co_ci_u32_e32 v12, vcc_lo, v4, v6, vcc_lo
	v_xor_b32_e32 v9, v9, v10
	v_mul_hi_u32 v13, v11, v7
	s_delay_alu instid0(VALU_DEP_3) | instskip(NEXT) | instid1(VALU_DEP_3)
	v_mad_u64_u32 v[3:4], null, v11, v12, 0
	v_mad_u64_u32 v[5:6], null, v9, v7, 0
	;; [unrolled: 1-line block ×3, first 2 shown]
	s_delay_alu instid0(VALU_DEP_3) | instskip(NEXT) | instid1(VALU_DEP_4)
	v_add_co_u32 v3, vcc_lo, v13, v3
	v_add_co_ci_u32_e32 v4, vcc_lo, 0, v4, vcc_lo
	s_delay_alu instid0(VALU_DEP_2) | instskip(NEXT) | instid1(VALU_DEP_2)
	v_add_co_u32 v3, vcc_lo, v3, v5
	v_add_co_ci_u32_e32 v3, vcc_lo, v4, v6, vcc_lo
	v_add_co_ci_u32_e32 v4, vcc_lo, 0, v8, vcc_lo
	s_delay_alu instid0(VALU_DEP_2) | instskip(NEXT) | instid1(VALU_DEP_2)
	v_add_co_u32 v5, vcc_lo, v3, v7
	v_add_co_ci_u32_e32 v6, vcc_lo, 0, v4, vcc_lo
	s_delay_alu instid0(VALU_DEP_2) | instskip(SKIP_1) | instid1(VALU_DEP_3)
	v_mul_lo_u32 v7, s19, v5
	v_mad_u64_u32 v[3:4], null, s18, v5, 0
	v_mul_lo_u32 v8, s18, v6
	s_delay_alu instid0(VALU_DEP_2) | instskip(NEXT) | instid1(VALU_DEP_2)
	v_sub_co_u32 v3, vcc_lo, v11, v3
	v_add3_u32 v4, v4, v8, v7
	s_delay_alu instid0(VALU_DEP_1) | instskip(NEXT) | instid1(VALU_DEP_1)
	v_sub_nc_u32_e32 v7, v9, v4
	v_subrev_co_ci_u32_e64 v7, s0, s19, v7, vcc_lo
	v_add_co_u32 v8, s0, v5, 2
	s_delay_alu instid0(VALU_DEP_1) | instskip(SKIP_3) | instid1(VALU_DEP_3)
	v_add_co_ci_u32_e64 v11, s0, 0, v6, s0
	v_sub_co_u32 v12, s0, v3, s18
	v_sub_co_ci_u32_e32 v4, vcc_lo, v9, v4, vcc_lo
	v_subrev_co_ci_u32_e64 v7, s0, 0, v7, s0
	v_cmp_le_u32_e32 vcc_lo, s18, v12
	s_delay_alu instid0(VALU_DEP_3) | instskip(SKIP_1) | instid1(VALU_DEP_4)
	v_cmp_eq_u32_e64 s0, s19, v4
	v_cndmask_b32_e64 v9, 0, -1, vcc_lo
	v_cmp_le_u32_e32 vcc_lo, s19, v7
	v_cndmask_b32_e64 v12, 0, -1, vcc_lo
	v_cmp_le_u32_e32 vcc_lo, s18, v3
	;; [unrolled: 2-line block ×3, first 2 shown]
	v_cndmask_b32_e64 v13, 0, -1, vcc_lo
	v_cmp_eq_u32_e32 vcc_lo, s19, v7
	s_delay_alu instid0(VALU_DEP_2) | instskip(SKIP_3) | instid1(VALU_DEP_3)
	v_cndmask_b32_e64 v3, v13, v3, s0
	v_cndmask_b32_e32 v7, v12, v9, vcc_lo
	v_add_co_u32 v9, vcc_lo, v5, 1
	v_add_co_ci_u32_e32 v12, vcc_lo, 0, v6, vcc_lo
	v_cmp_ne_u32_e32 vcc_lo, 0, v7
	s_delay_alu instid0(VALU_DEP_2) | instskip(SKIP_2) | instid1(VALU_DEP_3)
	v_dual_cndmask_b32 v4, v12, v11 :: v_dual_cndmask_b32 v7, v9, v8
	v_cmp_ne_u32_e32 vcc_lo, 0, v3
	v_xor_b32_e32 v3, s16, v10
	v_dual_cndmask_b32 v5, v5, v7 :: v_dual_cndmask_b32 v4, v6, v4
	v_xor_b32_e32 v6, s17, v10
	s_delay_alu instid0(VALU_DEP_2) | instskip(NEXT) | instid1(VALU_DEP_2)
	v_xor_b32_e32 v5, v5, v3
	v_xor_b32_e32 v7, v4, v6
	s_delay_alu instid0(VALU_DEP_2) | instskip(NEXT) | instid1(VALU_DEP_2)
	v_sub_co_u32 v4, vcc_lo, v5, v3
	v_sub_co_ci_u32_e32 v5, vcc_lo, v7, v6, vcc_lo
.LBB84_5:                               ;   in Loop: Header=BB84_3 Depth=1
	s_and_not1_saveexec_b32 s0, s14
; %bb.6:                                ;   in Loop: Header=BB84_3 Depth=1
	v_mul_hi_u32 v3, v0, v24
	s_delay_alu instid0(VALU_DEP_1) | instskip(NEXT) | instid1(VALU_DEP_1)
	v_mul_lo_u32 v4, v3, s24
	v_sub_nc_u32_e32 v4, v0, v4
	s_delay_alu instid0(VALU_DEP_1) | instskip(SKIP_1) | instid1(VALU_DEP_2)
	v_subrev_nc_u32_e32 v6, s24, v4
	v_cmp_le_u32_e32 vcc_lo, s24, v4
	v_dual_cndmask_b32 v4, v4, v6 :: v_dual_add_nc_u32 v5, 1, v3
	s_delay_alu instid0(VALU_DEP_1) | instskip(NEXT) | instid1(VALU_DEP_2)
	v_cndmask_b32_e32 v3, v3, v5, vcc_lo
	v_cmp_le_u32_e32 vcc_lo, s24, v4
	s_delay_alu instid0(VALU_DEP_2) | instskip(NEXT) | instid1(VALU_DEP_1)
	v_add_nc_u32_e32 v5, 1, v3
	v_dual_cndmask_b32 v4, v3, v5 :: v_dual_mov_b32 v5, v2
; %bb.7:                                ;   in Loop: Header=BB84_3 Depth=1
	s_or_b32 exec_lo, exec_lo, s0
	s_delay_alu instid0(VALU_DEP_1) | instskip(SKIP_1) | instid1(VALU_DEP_1)
	v_or_b32_e32 v3, s29, v5
                                        ; implicit-def: $vgpr6_vgpr7
	s_mov_b32 s0, exec_lo
	v_cmpx_ne_u64_e32 0, v[2:3]
	s_xor_b32 s14, exec_lo, s0
	s_cbranch_execz .LBB84_9
; %bb.8:                                ;   in Loop: Header=BB84_3 Depth=1
	s_add_u32 s18, s28, s29
	s_mov_b32 s16, s29
	s_mov_b32 s17, s29
	s_addc_u32 s19, s29, s29
	s_delay_alu instid0(SALU_CYCLE_1) | instskip(NEXT) | instid1(SALU_CYCLE_1)
	s_xor_b64 s[18:19], s[18:19], s[16:17]
	v_cvt_f32_u32_e32 v3, s18
	v_cvt_f32_u32_e32 v6, s19
	s_sub_u32 s0, 0, s18
	s_subb_u32 s20, 0, s19
	s_delay_alu instid0(VALU_DEP_1) | instskip(NEXT) | instid1(VALU_DEP_1)
	v_fmac_f32_e32 v3, 0x4f800000, v6
	v_rcp_f32_e32 v3, v3
	s_waitcnt_depctr 0xfff
	v_mul_f32_e32 v3, 0x5f7ffffc, v3
	s_delay_alu instid0(VALU_DEP_1) | instskip(NEXT) | instid1(VALU_DEP_1)
	v_mul_f32_e32 v6, 0x2f800000, v3
	v_trunc_f32_e32 v6, v6
	s_delay_alu instid0(VALU_DEP_1) | instskip(SKIP_1) | instid1(VALU_DEP_2)
	v_fmac_f32_e32 v3, 0xcf800000, v6
	v_cvt_u32_f32_e32 v6, v6
	v_cvt_u32_f32_e32 v3, v3
	s_delay_alu instid0(VALU_DEP_2) | instskip(NEXT) | instid1(VALU_DEP_2)
	v_mul_lo_u32 v7, s0, v6
	v_mul_hi_u32 v8, s0, v3
	v_mul_lo_u32 v9, s20, v3
	s_delay_alu instid0(VALU_DEP_2) | instskip(SKIP_1) | instid1(VALU_DEP_2)
	v_add_nc_u32_e32 v7, v8, v7
	v_mul_lo_u32 v8, s0, v3
	v_add_nc_u32_e32 v7, v7, v9
	s_delay_alu instid0(VALU_DEP_2) | instskip(NEXT) | instid1(VALU_DEP_2)
	v_mul_hi_u32 v9, v3, v8
	v_mul_lo_u32 v10, v3, v7
	v_mul_hi_u32 v11, v3, v7
	v_mul_hi_u32 v12, v6, v8
	v_mul_lo_u32 v8, v6, v8
	v_mul_hi_u32 v13, v6, v7
	v_mul_lo_u32 v7, v6, v7
	v_add_co_u32 v9, vcc_lo, v9, v10
	v_add_co_ci_u32_e32 v10, vcc_lo, 0, v11, vcc_lo
	s_delay_alu instid0(VALU_DEP_2) | instskip(NEXT) | instid1(VALU_DEP_2)
	v_add_co_u32 v8, vcc_lo, v9, v8
	v_add_co_ci_u32_e32 v8, vcc_lo, v10, v12, vcc_lo
	v_add_co_ci_u32_e32 v9, vcc_lo, 0, v13, vcc_lo
	v_ashrrev_i32_e32 v12, 31, v5
	s_delay_alu instid0(VALU_DEP_3) | instskip(NEXT) | instid1(VALU_DEP_3)
	v_add_co_u32 v7, vcc_lo, v8, v7
	v_add_co_ci_u32_e32 v8, vcc_lo, 0, v9, vcc_lo
	s_delay_alu instid0(VALU_DEP_2) | instskip(NEXT) | instid1(VALU_DEP_2)
	v_add_co_u32 v3, vcc_lo, v3, v7
	v_add_co_ci_u32_e32 v6, vcc_lo, v6, v8, vcc_lo
	s_delay_alu instid0(VALU_DEP_2) | instskip(SKIP_1) | instid1(VALU_DEP_3)
	v_mul_hi_u32 v7, s0, v3
	v_mul_lo_u32 v9, s20, v3
	v_mul_lo_u32 v8, s0, v6
	s_delay_alu instid0(VALU_DEP_1) | instskip(SKIP_1) | instid1(VALU_DEP_2)
	v_add_nc_u32_e32 v7, v7, v8
	v_mul_lo_u32 v8, s0, v3
	v_add_nc_u32_e32 v7, v7, v9
	s_delay_alu instid0(VALU_DEP_2) | instskip(NEXT) | instid1(VALU_DEP_2)
	v_mul_hi_u32 v9, v3, v8
	v_mul_lo_u32 v10, v3, v7
	v_mul_hi_u32 v11, v3, v7
	v_mul_hi_u32 v13, v6, v8
	v_mul_lo_u32 v8, v6, v8
	v_mul_hi_u32 v14, v6, v7
	v_mul_lo_u32 v7, v6, v7
	v_add_co_u32 v9, vcc_lo, v9, v10
	v_add_co_ci_u32_e32 v10, vcc_lo, 0, v11, vcc_lo
	s_delay_alu instid0(VALU_DEP_2) | instskip(NEXT) | instid1(VALU_DEP_2)
	v_add_co_u32 v8, vcc_lo, v9, v8
	v_add_co_ci_u32_e32 v8, vcc_lo, v10, v13, vcc_lo
	v_add_co_ci_u32_e32 v9, vcc_lo, 0, v14, vcc_lo
	v_add_co_u32 v10, vcc_lo, v4, v12
	v_add_co_ci_u32_e32 v5, vcc_lo, v5, v12, vcc_lo
	s_delay_alu instid0(VALU_DEP_4) | instskip(NEXT) | instid1(VALU_DEP_4)
	v_add_co_u32 v7, vcc_lo, v8, v7
	v_add_co_ci_u32_e32 v8, vcc_lo, 0, v9, vcc_lo
	s_delay_alu instid0(VALU_DEP_4) | instskip(NEXT) | instid1(VALU_DEP_3)
	v_xor_b32_e32 v11, v10, v12
	v_add_co_u32 v3, vcc_lo, v3, v7
	s_delay_alu instid0(VALU_DEP_3) | instskip(SKIP_1) | instid1(VALU_DEP_3)
	v_add_co_ci_u32_e32 v13, vcc_lo, v6, v8, vcc_lo
	v_xor_b32_e32 v14, v5, v12
	v_mul_hi_u32 v15, v11, v3
	s_delay_alu instid0(VALU_DEP_3) | instskip(NEXT) | instid1(VALU_DEP_3)
	v_mad_u64_u32 v[5:6], null, v11, v13, 0
	v_mad_u64_u32 v[7:8], null, v14, v3, 0
	;; [unrolled: 1-line block ×3, first 2 shown]
	s_delay_alu instid0(VALU_DEP_3) | instskip(NEXT) | instid1(VALU_DEP_4)
	v_add_co_u32 v3, vcc_lo, v15, v5
	v_add_co_ci_u32_e32 v5, vcc_lo, 0, v6, vcc_lo
	s_delay_alu instid0(VALU_DEP_2) | instskip(NEXT) | instid1(VALU_DEP_2)
	v_add_co_u32 v3, vcc_lo, v3, v7
	v_add_co_ci_u32_e32 v3, vcc_lo, v5, v8, vcc_lo
	v_add_co_ci_u32_e32 v5, vcc_lo, 0, v10, vcc_lo
	s_delay_alu instid0(VALU_DEP_2) | instskip(NEXT) | instid1(VALU_DEP_2)
	v_add_co_u32 v3, vcc_lo, v3, v9
	v_add_co_ci_u32_e32 v7, vcc_lo, 0, v5, vcc_lo
	s_delay_alu instid0(VALU_DEP_2) | instskip(SKIP_1) | instid1(VALU_DEP_3)
	v_mul_lo_u32 v8, s19, v3
	v_mad_u64_u32 v[5:6], null, s18, v3, 0
	v_mul_lo_u32 v9, s18, v7
	s_delay_alu instid0(VALU_DEP_2) | instskip(NEXT) | instid1(VALU_DEP_2)
	v_sub_co_u32 v5, vcc_lo, v11, v5
	v_add3_u32 v6, v6, v9, v8
	s_delay_alu instid0(VALU_DEP_1) | instskip(NEXT) | instid1(VALU_DEP_1)
	v_sub_nc_u32_e32 v8, v14, v6
	v_subrev_co_ci_u32_e64 v8, s0, s19, v8, vcc_lo
	v_add_co_u32 v9, s0, v3, 2
	s_delay_alu instid0(VALU_DEP_1) | instskip(SKIP_3) | instid1(VALU_DEP_3)
	v_add_co_ci_u32_e64 v10, s0, 0, v7, s0
	v_sub_co_u32 v11, s0, v5, s18
	v_sub_co_ci_u32_e32 v6, vcc_lo, v14, v6, vcc_lo
	v_subrev_co_ci_u32_e64 v8, s0, 0, v8, s0
	v_cmp_le_u32_e32 vcc_lo, s18, v11
	s_delay_alu instid0(VALU_DEP_3) | instskip(SKIP_1) | instid1(VALU_DEP_4)
	v_cmp_eq_u32_e64 s0, s19, v6
	v_cndmask_b32_e64 v11, 0, -1, vcc_lo
	v_cmp_le_u32_e32 vcc_lo, s19, v8
	v_cndmask_b32_e64 v13, 0, -1, vcc_lo
	v_cmp_le_u32_e32 vcc_lo, s18, v5
	;; [unrolled: 2-line block ×3, first 2 shown]
	v_cndmask_b32_e64 v14, 0, -1, vcc_lo
	v_cmp_eq_u32_e32 vcc_lo, s19, v8
	s_delay_alu instid0(VALU_DEP_2) | instskip(SKIP_3) | instid1(VALU_DEP_3)
	v_cndmask_b32_e64 v5, v14, v5, s0
	v_cndmask_b32_e32 v8, v13, v11, vcc_lo
	v_add_co_u32 v11, vcc_lo, v3, 1
	v_add_co_ci_u32_e32 v13, vcc_lo, 0, v7, vcc_lo
	v_cmp_ne_u32_e32 vcc_lo, 0, v8
	s_delay_alu instid0(VALU_DEP_3) | instskip(NEXT) | instid1(VALU_DEP_3)
	v_cndmask_b32_e32 v8, v11, v9, vcc_lo
	v_cndmask_b32_e32 v6, v13, v10, vcc_lo
	v_cmp_ne_u32_e32 vcc_lo, 0, v5
	v_xor_b32_e32 v5, s16, v12
	s_delay_alu instid0(VALU_DEP_4) | instskip(NEXT) | instid1(VALU_DEP_4)
	v_cndmask_b32_e32 v3, v3, v8, vcc_lo
	v_cndmask_b32_e32 v6, v7, v6, vcc_lo
	v_xor_b32_e32 v7, s17, v12
	s_delay_alu instid0(VALU_DEP_3) | instskip(NEXT) | instid1(VALU_DEP_2)
	v_xor_b32_e32 v3, v3, v5
	v_xor_b32_e32 v8, v6, v7
	s_delay_alu instid0(VALU_DEP_2) | instskip(NEXT) | instid1(VALU_DEP_2)
	v_sub_co_u32 v6, vcc_lo, v3, v5
	v_sub_co_ci_u32_e32 v7, vcc_lo, v8, v7, vcc_lo
.LBB84_9:                               ;   in Loop: Header=BB84_3 Depth=1
	s_and_not1_saveexec_b32 s0, s14
	s_cbranch_execz .LBB84_11
; %bb.10:                               ;   in Loop: Header=BB84_3 Depth=1
	v_cvt_f32_u32_e32 v3, s28
	s_sub_i32 s14, 0, s28
	s_delay_alu instid0(VALU_DEP_1) | instskip(SKIP_2) | instid1(VALU_DEP_1)
	v_rcp_iflag_f32_e32 v3, v3
	s_waitcnt_depctr 0xfff
	v_mul_f32_e32 v3, 0x4f7ffffe, v3
	v_cvt_u32_f32_e32 v3, v3
	s_delay_alu instid0(VALU_DEP_1) | instskip(NEXT) | instid1(VALU_DEP_1)
	v_mul_lo_u32 v5, s14, v3
	v_mul_hi_u32 v5, v3, v5
	s_delay_alu instid0(VALU_DEP_1) | instskip(NEXT) | instid1(VALU_DEP_1)
	v_add_nc_u32_e32 v3, v3, v5
	v_mul_hi_u32 v3, v4, v3
	s_delay_alu instid0(VALU_DEP_1) | instskip(SKIP_1) | instid1(VALU_DEP_2)
	v_mul_lo_u32 v5, v3, s28
	v_add_nc_u32_e32 v6, 1, v3
	v_sub_nc_u32_e32 v5, v4, v5
	s_delay_alu instid0(VALU_DEP_1) | instskip(SKIP_1) | instid1(VALU_DEP_2)
	v_subrev_nc_u32_e32 v7, s28, v5
	v_cmp_le_u32_e32 vcc_lo, s28, v5
	v_cndmask_b32_e32 v5, v5, v7, vcc_lo
	v_mov_b32_e32 v7, v2
	v_cndmask_b32_e32 v3, v3, v6, vcc_lo
	s_delay_alu instid0(VALU_DEP_3) | instskip(NEXT) | instid1(VALU_DEP_2)
	v_cmp_le_u32_e32 vcc_lo, s28, v5
	v_add_nc_u32_e32 v6, 1, v3
	s_delay_alu instid0(VALU_DEP_1)
	v_cndmask_b32_e32 v6, v3, v6, vcc_lo
.LBB84_11:                              ;   in Loop: Header=BB84_3 Depth=1
	s_or_b32 exec_lo, exec_lo, s0
	v_mad_u64_u32 v[8:9], null, v4, s24, 0
	s_delay_alu instid0(VALU_DEP_2) | instskip(SKIP_1) | instid1(VALU_DEP_2)
	v_mad_u64_u32 v[9:10], null, v6, s28, 0
	s_mov_b32 s39, exec_lo
	v_sub_co_u32 v26, null, v0, v8
	s_delay_alu instid0(VALU_DEP_2) | instskip(NEXT) | instid1(VALU_DEP_1)
	v_sub_co_u32 v25, null, v4, v9
	v_sub_nc_u32_e32 v3, v26, v25
	s_delay_alu instid0(VALU_DEP_1) | instskip(NEXT) | instid1(VALU_DEP_1)
	v_ashrrev_i32_e32 v4, 31, v3
	v_cmpx_gt_i64_e64 s[4:5], v[3:4]
	s_cbranch_execz .LBB84_2
; %bb.12:                               ;   in Loop: Header=BB84_3 Depth=1
	s_clause 0x1
	s_load_b32 s40, s[8:9], 0x0
	s_load_b32 s0, s[10:11], 0x0
	s_and_not1_b32 vcc_lo, exec_lo, s37
	s_waitcnt lgkmcnt(0)
	v_mul_lo_u32 v3, s40, v26
	s_delay_alu instid0(VALU_DEP_1)
	v_mad_u64_u32 v[4:5], null, s0, v25, v[3:4]
	s_cbranch_vccnz .LBB84_58
; %bb.13:                               ;   in Loop: Header=BB84_3 Depth=1
	s_and_not1_b32 vcc_lo, exec_lo, s35
	s_cbranch_vccnz .LBB84_21
; %bb.14:                               ;   in Loop: Header=BB84_3 Depth=1
	v_dual_mov_b32 v9, v7 :: v_dual_mov_b32 v8, v6
	s_mov_b32 s22, s33
	s_mov_b32 s14, s31
.LBB84_15:                              ;   Parent Loop BB84_3 Depth=1
                                        ; =>  This Inner Loop Header: Depth=2
	s_delay_alu instid0(SALU_CYCLE_1) | instskip(NEXT) | instid1(SALU_CYCLE_1)
	s_lshl_b64 s[16:17], s[14:15], 2
                                        ; implicit-def: $vgpr6_vgpr7
	s_add_u32 s18, s26, s16
	s_addc_u32 s19, s27, s17
	s_load_b32 s23, s[18:19], 0x0
	s_mov_b32 s18, exec_lo
	s_waitcnt lgkmcnt(0)
	s_ashr_i32 s0, s23, 31
	s_delay_alu instid0(SALU_CYCLE_1) | instskip(NEXT) | instid1(VALU_DEP_1)
	v_or_b32_e32 v3, s0, v9
	v_cmpx_ne_u64_e32 0, v[2:3]
	s_xor_b32 s41, exec_lo, s18
	s_cbranch_execz .LBB84_17
; %bb.16:                               ;   in Loop: Header=BB84_15 Depth=2
	s_add_u32 s20, s23, s0
	s_mov_b32 s18, s0
	s_mov_b32 s19, s0
	s_addc_u32 s21, s0, s0
	s_delay_alu instid0(SALU_CYCLE_1) | instskip(NEXT) | instid1(SALU_CYCLE_1)
	s_xor_b64 s[20:21], s[20:21], s[18:19]
	v_cvt_f32_u32_e32 v3, s20
	v_cvt_f32_u32_e32 v5, s21
	s_sub_u32 s0, 0, s20
	s_subb_u32 s42, 0, s21
	s_delay_alu instid0(VALU_DEP_1) | instskip(NEXT) | instid1(VALU_DEP_1)
	v_fmac_f32_e32 v3, 0x4f800000, v5
	v_rcp_f32_e32 v3, v3
	s_waitcnt_depctr 0xfff
	v_mul_f32_e32 v3, 0x5f7ffffc, v3
	s_delay_alu instid0(VALU_DEP_1) | instskip(NEXT) | instid1(VALU_DEP_1)
	v_mul_f32_e32 v5, 0x2f800000, v3
	v_trunc_f32_e32 v5, v5
	s_delay_alu instid0(VALU_DEP_1) | instskip(SKIP_1) | instid1(VALU_DEP_2)
	v_fmac_f32_e32 v3, 0xcf800000, v5
	v_cvt_u32_f32_e32 v5, v5
	v_cvt_u32_f32_e32 v3, v3
	s_delay_alu instid0(VALU_DEP_2) | instskip(NEXT) | instid1(VALU_DEP_2)
	v_mul_lo_u32 v6, s0, v5
	v_mul_hi_u32 v7, s0, v3
	v_mul_lo_u32 v10, s42, v3
	s_delay_alu instid0(VALU_DEP_2) | instskip(SKIP_1) | instid1(VALU_DEP_2)
	v_add_nc_u32_e32 v6, v7, v6
	v_mul_lo_u32 v7, s0, v3
	v_add_nc_u32_e32 v6, v6, v10
	s_delay_alu instid0(VALU_DEP_2) | instskip(NEXT) | instid1(VALU_DEP_2)
	v_mul_hi_u32 v10, v3, v7
	v_mul_lo_u32 v11, v3, v6
	v_mul_hi_u32 v12, v3, v6
	v_mul_hi_u32 v13, v5, v7
	v_mul_lo_u32 v7, v5, v7
	v_mul_hi_u32 v14, v5, v6
	v_mul_lo_u32 v6, v5, v6
	v_add_co_u32 v10, vcc_lo, v10, v11
	v_add_co_ci_u32_e32 v11, vcc_lo, 0, v12, vcc_lo
	s_delay_alu instid0(VALU_DEP_2) | instskip(NEXT) | instid1(VALU_DEP_2)
	v_add_co_u32 v7, vcc_lo, v10, v7
	v_add_co_ci_u32_e32 v7, vcc_lo, v11, v13, vcc_lo
	v_add_co_ci_u32_e32 v10, vcc_lo, 0, v14, vcc_lo
	v_ashrrev_i32_e32 v13, 31, v9
	s_delay_alu instid0(VALU_DEP_3) | instskip(NEXT) | instid1(VALU_DEP_3)
	v_add_co_u32 v6, vcc_lo, v7, v6
	v_add_co_ci_u32_e32 v7, vcc_lo, 0, v10, vcc_lo
	s_delay_alu instid0(VALU_DEP_2) | instskip(NEXT) | instid1(VALU_DEP_2)
	v_add_co_u32 v3, vcc_lo, v3, v6
	v_add_co_ci_u32_e32 v5, vcc_lo, v5, v7, vcc_lo
	s_delay_alu instid0(VALU_DEP_2) | instskip(SKIP_1) | instid1(VALU_DEP_3)
	v_mul_hi_u32 v6, s0, v3
	v_mul_lo_u32 v10, s42, v3
	v_mul_lo_u32 v7, s0, v5
	s_delay_alu instid0(VALU_DEP_1) | instskip(SKIP_1) | instid1(VALU_DEP_2)
	v_add_nc_u32_e32 v6, v6, v7
	v_mul_lo_u32 v7, s0, v3
	v_add_nc_u32_e32 v6, v6, v10
	s_delay_alu instid0(VALU_DEP_2) | instskip(NEXT) | instid1(VALU_DEP_2)
	v_mul_hi_u32 v10, v3, v7
	v_mul_lo_u32 v11, v3, v6
	v_mul_hi_u32 v12, v3, v6
	v_mul_hi_u32 v14, v5, v7
	v_mul_lo_u32 v7, v5, v7
	v_mul_hi_u32 v15, v5, v6
	v_mul_lo_u32 v6, v5, v6
	v_add_co_u32 v10, vcc_lo, v10, v11
	v_add_co_ci_u32_e32 v11, vcc_lo, 0, v12, vcc_lo
	s_delay_alu instid0(VALU_DEP_2) | instskip(NEXT) | instid1(VALU_DEP_2)
	v_add_co_u32 v7, vcc_lo, v10, v7
	v_add_co_ci_u32_e32 v7, vcc_lo, v11, v14, vcc_lo
	v_add_co_ci_u32_e32 v10, vcc_lo, 0, v15, vcc_lo
	v_add_co_u32 v11, vcc_lo, v8, v13
	v_add_co_ci_u32_e32 v9, vcc_lo, v9, v13, vcc_lo
	s_delay_alu instid0(VALU_DEP_4) | instskip(NEXT) | instid1(VALU_DEP_4)
	v_add_co_u32 v6, vcc_lo, v7, v6
	v_add_co_ci_u32_e32 v7, vcc_lo, 0, v10, vcc_lo
	s_delay_alu instid0(VALU_DEP_4) | instskip(NEXT) | instid1(VALU_DEP_3)
	v_xor_b32_e32 v14, v11, v13
	v_add_co_u32 v3, vcc_lo, v3, v6
	s_delay_alu instid0(VALU_DEP_3) | instskip(SKIP_1) | instid1(VALU_DEP_3)
	v_add_co_ci_u32_e32 v7, vcc_lo, v5, v7, vcc_lo
	v_xor_b32_e32 v15, v9, v13
	v_mul_hi_u32 v16, v14, v3
	s_delay_alu instid0(VALU_DEP_3) | instskip(NEXT) | instid1(VALU_DEP_3)
	v_mad_u64_u32 v[5:6], null, v14, v7, 0
	v_mad_u64_u32 v[9:10], null, v15, v3, 0
	;; [unrolled: 1-line block ×3, first 2 shown]
	s_delay_alu instid0(VALU_DEP_3) | instskip(NEXT) | instid1(VALU_DEP_4)
	v_add_co_u32 v3, vcc_lo, v16, v5
	v_add_co_ci_u32_e32 v5, vcc_lo, 0, v6, vcc_lo
	s_delay_alu instid0(VALU_DEP_2) | instskip(NEXT) | instid1(VALU_DEP_2)
	v_add_co_u32 v3, vcc_lo, v3, v9
	v_add_co_ci_u32_e32 v3, vcc_lo, v5, v10, vcc_lo
	v_add_co_ci_u32_e32 v5, vcc_lo, 0, v12, vcc_lo
	s_delay_alu instid0(VALU_DEP_2) | instskip(NEXT) | instid1(VALU_DEP_2)
	v_add_co_u32 v3, vcc_lo, v3, v11
	v_add_co_ci_u32_e32 v7, vcc_lo, 0, v5, vcc_lo
	s_delay_alu instid0(VALU_DEP_2) | instskip(SKIP_1) | instid1(VALU_DEP_3)
	v_mul_lo_u32 v9, s21, v3
	v_mad_u64_u32 v[5:6], null, s20, v3, 0
	v_mul_lo_u32 v10, s20, v7
	s_delay_alu instid0(VALU_DEP_2) | instskip(NEXT) | instid1(VALU_DEP_2)
	v_sub_co_u32 v5, vcc_lo, v14, v5
	v_add3_u32 v6, v6, v10, v9
	s_delay_alu instid0(VALU_DEP_1) | instskip(NEXT) | instid1(VALU_DEP_1)
	v_sub_nc_u32_e32 v9, v15, v6
	v_subrev_co_ci_u32_e64 v9, s0, s21, v9, vcc_lo
	v_add_co_u32 v10, s0, v3, 2
	s_delay_alu instid0(VALU_DEP_1) | instskip(SKIP_3) | instid1(VALU_DEP_3)
	v_add_co_ci_u32_e64 v11, s0, 0, v7, s0
	v_sub_co_u32 v12, s0, v5, s20
	v_sub_co_ci_u32_e32 v6, vcc_lo, v15, v6, vcc_lo
	v_subrev_co_ci_u32_e64 v9, s0, 0, v9, s0
	v_cmp_le_u32_e32 vcc_lo, s20, v12
	s_delay_alu instid0(VALU_DEP_3) | instskip(SKIP_1) | instid1(VALU_DEP_4)
	v_cmp_eq_u32_e64 s0, s21, v6
	v_cndmask_b32_e64 v12, 0, -1, vcc_lo
	v_cmp_le_u32_e32 vcc_lo, s21, v9
	v_cndmask_b32_e64 v14, 0, -1, vcc_lo
	v_cmp_le_u32_e32 vcc_lo, s20, v5
	;; [unrolled: 2-line block ×3, first 2 shown]
	v_cndmask_b32_e64 v15, 0, -1, vcc_lo
	v_cmp_eq_u32_e32 vcc_lo, s21, v9
	s_delay_alu instid0(VALU_DEP_2) | instskip(SKIP_3) | instid1(VALU_DEP_3)
	v_cndmask_b32_e64 v5, v15, v5, s0
	v_cndmask_b32_e32 v9, v14, v12, vcc_lo
	v_add_co_u32 v12, vcc_lo, v3, 1
	v_add_co_ci_u32_e32 v14, vcc_lo, 0, v7, vcc_lo
	v_cmp_ne_u32_e32 vcc_lo, 0, v9
	s_delay_alu instid0(VALU_DEP_2) | instskip(SKIP_2) | instid1(VALU_DEP_3)
	v_dual_cndmask_b32 v6, v14, v11 :: v_dual_cndmask_b32 v9, v12, v10
	v_cmp_ne_u32_e32 vcc_lo, 0, v5
	v_xor_b32_e32 v5, s18, v13
	v_cndmask_b32_e32 v3, v3, v9, vcc_lo
	s_delay_alu instid0(VALU_DEP_4) | instskip(SKIP_1) | instid1(VALU_DEP_3)
	v_cndmask_b32_e32 v6, v7, v6, vcc_lo
	v_xor_b32_e32 v7, s19, v13
	v_xor_b32_e32 v3, v3, v5
	s_delay_alu instid0(VALU_DEP_2) | instskip(NEXT) | instid1(VALU_DEP_2)
	v_xor_b32_e32 v9, v6, v7
	v_sub_co_u32 v6, vcc_lo, v3, v5
	s_delay_alu instid0(VALU_DEP_2)
	v_sub_co_ci_u32_e32 v7, vcc_lo, v9, v7, vcc_lo
.LBB84_17:                              ;   in Loop: Header=BB84_15 Depth=2
	s_and_not1_saveexec_b32 s0, s41
	s_cbranch_execz .LBB84_19
; %bb.18:                               ;   in Loop: Header=BB84_15 Depth=2
	v_cvt_f32_u32_e32 v3, s23
	s_sub_i32 s18, 0, s23
	s_delay_alu instid0(VALU_DEP_1) | instskip(SKIP_2) | instid1(VALU_DEP_1)
	v_rcp_iflag_f32_e32 v3, v3
	s_waitcnt_depctr 0xfff
	v_mul_f32_e32 v3, 0x4f7ffffe, v3
	v_cvt_u32_f32_e32 v3, v3
	s_delay_alu instid0(VALU_DEP_1) | instskip(NEXT) | instid1(VALU_DEP_1)
	v_mul_lo_u32 v5, s18, v3
	v_mul_hi_u32 v5, v3, v5
	s_delay_alu instid0(VALU_DEP_1) | instskip(NEXT) | instid1(VALU_DEP_1)
	v_add_nc_u32_e32 v3, v3, v5
	v_mul_hi_u32 v3, v8, v3
	s_delay_alu instid0(VALU_DEP_1) | instskip(SKIP_1) | instid1(VALU_DEP_2)
	v_mul_lo_u32 v5, v3, s23
	v_add_nc_u32_e32 v6, 1, v3
	v_sub_nc_u32_e32 v5, v8, v5
	s_delay_alu instid0(VALU_DEP_1) | instskip(SKIP_1) | instid1(VALU_DEP_2)
	v_subrev_nc_u32_e32 v7, s23, v5
	v_cmp_le_u32_e32 vcc_lo, s23, v5
	v_cndmask_b32_e32 v5, v5, v7, vcc_lo
	v_mov_b32_e32 v7, v2
	v_cndmask_b32_e32 v3, v3, v6, vcc_lo
	s_delay_alu instid0(VALU_DEP_3) | instskip(NEXT) | instid1(VALU_DEP_2)
	v_cmp_le_u32_e32 vcc_lo, s23, v5
	v_add_nc_u32_e32 v6, 1, v3
	s_delay_alu instid0(VALU_DEP_1)
	v_cndmask_b32_e32 v6, v3, v6, vcc_lo
.LBB84_19:                              ;   in Loop: Header=BB84_15 Depth=2
	s_or_b32 exec_lo, exec_lo, s0
	s_add_u32 s16, s30, s16
	s_addc_u32 s17, s1, s17
	s_delay_alu instid0(VALU_DEP_1) | instskip(SKIP_4) | instid1(VALU_DEP_1)
	v_mul_lo_u32 v3, v6, s23
	s_load_b32 s0, s[16:17], 0x0
	s_add_i32 s22, s22, -1
	s_add_i32 s14, s14, -1
	s_cmp_lg_u32 s22, 0
	v_sub_nc_u32_e32 v3, v8, v3
	s_waitcnt lgkmcnt(0)
	s_delay_alu instid0(VALU_DEP_1) | instskip(NEXT) | instid1(VALU_DEP_1)
	v_mad_u64_u32 v[8:9], null, s0, v3, v[4:5]
	v_mov_b32_e32 v4, v8
	s_cbranch_scc0 .LBB84_22
; %bb.20:                               ;   in Loop: Header=BB84_15 Depth=2
	v_dual_mov_b32 v9, v7 :: v_dual_mov_b32 v8, v6
	s_branch .LBB84_15
.LBB84_21:                              ;   in Loop: Header=BB84_3 Depth=1
	s_mov_b32 s14, s31
.LBB84_22:                              ;   in Loop: Header=BB84_3 Depth=1
	s_and_not1_b32 vcc_lo, exec_lo, s36
	s_cbranch_vccnz .LBB84_58
; %bb.23:                               ;   in Loop: Header=BB84_3 Depth=1
	s_add_i32 s16, s14, -7
.LBB84_24:                              ;   Parent Loop BB84_3 Depth=1
                                        ; =>  This Inner Loop Header: Depth=2
	s_delay_alu instid0(SALU_CYCLE_1) | instskip(NEXT) | instid1(SALU_CYCLE_1)
	s_add_i32 s14, s16, 7
                                        ; implicit-def: $vgpr8_vgpr9
	s_lshl_b64 s[18:19], s[14:15], 2
	s_mov_b32 s14, exec_lo
	s_add_u32 s20, s26, s18
	s_addc_u32 s21, s27, s19
	s_load_b32 s41, s[20:21], 0x0
	s_waitcnt lgkmcnt(0)
	s_ashr_i32 s0, s41, 31
	s_delay_alu instid0(SALU_CYCLE_1) | instskip(NEXT) | instid1(VALU_DEP_1)
	v_or_b32_e32 v3, s0, v7
	v_cmpx_ne_u64_e32 0, v[2:3]
	s_xor_b32 s14, exec_lo, s14
	s_cbranch_execz .LBB84_26
; %bb.25:                               ;   in Loop: Header=BB84_24 Depth=2
	s_add_u32 s22, s41, s0
	s_mov_b32 s20, s0
	s_mov_b32 s21, s0
	s_addc_u32 s23, s0, s0
	s_delay_alu instid0(SALU_CYCLE_1) | instskip(NEXT) | instid1(SALU_CYCLE_1)
	s_xor_b64 s[22:23], s[22:23], s[20:21]
	v_cvt_f32_u32_e32 v3, s22
	v_cvt_f32_u32_e32 v5, s23
	s_sub_u32 s0, 0, s22
	s_subb_u32 s17, 0, s23
	s_delay_alu instid0(VALU_DEP_1) | instskip(NEXT) | instid1(VALU_DEP_1)
	v_fmac_f32_e32 v3, 0x4f800000, v5
	v_rcp_f32_e32 v3, v3
	s_waitcnt_depctr 0xfff
	v_mul_f32_e32 v3, 0x5f7ffffc, v3
	s_delay_alu instid0(VALU_DEP_1) | instskip(NEXT) | instid1(VALU_DEP_1)
	v_mul_f32_e32 v5, 0x2f800000, v3
	v_trunc_f32_e32 v5, v5
	s_delay_alu instid0(VALU_DEP_1) | instskip(SKIP_1) | instid1(VALU_DEP_2)
	v_fmac_f32_e32 v3, 0xcf800000, v5
	v_cvt_u32_f32_e32 v5, v5
	v_cvt_u32_f32_e32 v3, v3
	s_delay_alu instid0(VALU_DEP_2) | instskip(NEXT) | instid1(VALU_DEP_2)
	v_mul_lo_u32 v8, s0, v5
	v_mul_hi_u32 v9, s0, v3
	v_mul_lo_u32 v10, s17, v3
	s_delay_alu instid0(VALU_DEP_2) | instskip(SKIP_1) | instid1(VALU_DEP_2)
	v_add_nc_u32_e32 v8, v9, v8
	v_mul_lo_u32 v9, s0, v3
	v_add_nc_u32_e32 v8, v8, v10
	s_delay_alu instid0(VALU_DEP_2) | instskip(NEXT) | instid1(VALU_DEP_2)
	v_mul_hi_u32 v10, v3, v9
	v_mul_lo_u32 v11, v3, v8
	v_mul_hi_u32 v12, v3, v8
	v_mul_hi_u32 v13, v5, v9
	v_mul_lo_u32 v9, v5, v9
	v_mul_hi_u32 v14, v5, v8
	v_mul_lo_u32 v8, v5, v8
	v_add_co_u32 v10, vcc_lo, v10, v11
	v_add_co_ci_u32_e32 v11, vcc_lo, 0, v12, vcc_lo
	s_delay_alu instid0(VALU_DEP_2) | instskip(NEXT) | instid1(VALU_DEP_2)
	v_add_co_u32 v9, vcc_lo, v10, v9
	v_add_co_ci_u32_e32 v9, vcc_lo, v11, v13, vcc_lo
	v_add_co_ci_u32_e32 v10, vcc_lo, 0, v14, vcc_lo
	v_ashrrev_i32_e32 v13, 31, v7
	s_delay_alu instid0(VALU_DEP_3) | instskip(NEXT) | instid1(VALU_DEP_3)
	v_add_co_u32 v8, vcc_lo, v9, v8
	v_add_co_ci_u32_e32 v9, vcc_lo, 0, v10, vcc_lo
	s_delay_alu instid0(VALU_DEP_2) | instskip(NEXT) | instid1(VALU_DEP_2)
	v_add_co_u32 v3, vcc_lo, v3, v8
	v_add_co_ci_u32_e32 v5, vcc_lo, v5, v9, vcc_lo
	s_delay_alu instid0(VALU_DEP_2) | instskip(SKIP_1) | instid1(VALU_DEP_3)
	v_mul_hi_u32 v8, s0, v3
	v_mul_lo_u32 v10, s17, v3
	v_mul_lo_u32 v9, s0, v5
	s_delay_alu instid0(VALU_DEP_1) | instskip(SKIP_1) | instid1(VALU_DEP_2)
	v_add_nc_u32_e32 v8, v8, v9
	v_mul_lo_u32 v9, s0, v3
	v_add_nc_u32_e32 v8, v8, v10
	s_delay_alu instid0(VALU_DEP_2) | instskip(NEXT) | instid1(VALU_DEP_2)
	v_mul_hi_u32 v10, v3, v9
	v_mul_lo_u32 v11, v3, v8
	v_mul_hi_u32 v12, v3, v8
	v_mul_hi_u32 v14, v5, v9
	v_mul_lo_u32 v9, v5, v9
	v_mul_hi_u32 v15, v5, v8
	v_mul_lo_u32 v8, v5, v8
	v_add_co_u32 v10, vcc_lo, v10, v11
	v_add_co_ci_u32_e32 v11, vcc_lo, 0, v12, vcc_lo
	s_delay_alu instid0(VALU_DEP_2) | instskip(NEXT) | instid1(VALU_DEP_2)
	v_add_co_u32 v9, vcc_lo, v10, v9
	v_add_co_ci_u32_e32 v9, vcc_lo, v11, v14, vcc_lo
	v_add_co_ci_u32_e32 v10, vcc_lo, 0, v15, vcc_lo
	v_add_co_u32 v11, vcc_lo, v6, v13
	v_add_co_ci_u32_e32 v7, vcc_lo, v7, v13, vcc_lo
	s_delay_alu instid0(VALU_DEP_4) | instskip(NEXT) | instid1(VALU_DEP_4)
	v_add_co_u32 v8, vcc_lo, v9, v8
	v_add_co_ci_u32_e32 v9, vcc_lo, 0, v10, vcc_lo
	s_delay_alu instid0(VALU_DEP_4) | instskip(NEXT) | instid1(VALU_DEP_3)
	v_xor_b32_e32 v14, v11, v13
	v_add_co_u32 v3, vcc_lo, v3, v8
	s_delay_alu instid0(VALU_DEP_3) | instskip(SKIP_1) | instid1(VALU_DEP_3)
	v_add_co_ci_u32_e32 v5, vcc_lo, v5, v9, vcc_lo
	v_xor_b32_e32 v15, v7, v13
	v_mul_hi_u32 v16, v14, v3
	s_delay_alu instid0(VALU_DEP_3) | instskip(NEXT) | instid1(VALU_DEP_3)
	v_mad_u64_u32 v[7:8], null, v14, v5, 0
	v_mad_u64_u32 v[9:10], null, v15, v3, 0
	;; [unrolled: 1-line block ×3, first 2 shown]
	s_delay_alu instid0(VALU_DEP_3) | instskip(NEXT) | instid1(VALU_DEP_4)
	v_add_co_u32 v3, vcc_lo, v16, v7
	v_add_co_ci_u32_e32 v5, vcc_lo, 0, v8, vcc_lo
	s_delay_alu instid0(VALU_DEP_2) | instskip(NEXT) | instid1(VALU_DEP_2)
	v_add_co_u32 v3, vcc_lo, v3, v9
	v_add_co_ci_u32_e32 v3, vcc_lo, v5, v10, vcc_lo
	v_add_co_ci_u32_e32 v5, vcc_lo, 0, v12, vcc_lo
	s_delay_alu instid0(VALU_DEP_2) | instskip(NEXT) | instid1(VALU_DEP_2)
	v_add_co_u32 v3, vcc_lo, v3, v11
	v_add_co_ci_u32_e32 v5, vcc_lo, 0, v5, vcc_lo
	s_delay_alu instid0(VALU_DEP_2) | instskip(SKIP_1) | instid1(VALU_DEP_3)
	v_mul_lo_u32 v9, s23, v3
	v_mad_u64_u32 v[7:8], null, s22, v3, 0
	v_mul_lo_u32 v10, s22, v5
	s_delay_alu instid0(VALU_DEP_2) | instskip(NEXT) | instid1(VALU_DEP_2)
	v_sub_co_u32 v7, vcc_lo, v14, v7
	v_add3_u32 v8, v8, v10, v9
	s_delay_alu instid0(VALU_DEP_1) | instskip(NEXT) | instid1(VALU_DEP_1)
	v_sub_nc_u32_e32 v9, v15, v8
	v_subrev_co_ci_u32_e64 v9, s0, s23, v9, vcc_lo
	v_add_co_u32 v10, s0, v3, 2
	s_delay_alu instid0(VALU_DEP_1) | instskip(SKIP_3) | instid1(VALU_DEP_3)
	v_add_co_ci_u32_e64 v11, s0, 0, v5, s0
	v_sub_co_u32 v12, s0, v7, s22
	v_sub_co_ci_u32_e32 v8, vcc_lo, v15, v8, vcc_lo
	v_subrev_co_ci_u32_e64 v9, s0, 0, v9, s0
	v_cmp_le_u32_e32 vcc_lo, s22, v12
	s_delay_alu instid0(VALU_DEP_3) | instskip(SKIP_1) | instid1(VALU_DEP_4)
	v_cmp_eq_u32_e64 s0, s23, v8
	v_cndmask_b32_e64 v12, 0, -1, vcc_lo
	v_cmp_le_u32_e32 vcc_lo, s23, v9
	v_cndmask_b32_e64 v14, 0, -1, vcc_lo
	v_cmp_le_u32_e32 vcc_lo, s22, v7
	;; [unrolled: 2-line block ×3, first 2 shown]
	v_cndmask_b32_e64 v15, 0, -1, vcc_lo
	v_cmp_eq_u32_e32 vcc_lo, s23, v9
	s_delay_alu instid0(VALU_DEP_2) | instskip(SKIP_3) | instid1(VALU_DEP_3)
	v_cndmask_b32_e64 v7, v15, v7, s0
	v_cndmask_b32_e32 v9, v14, v12, vcc_lo
	v_add_co_u32 v12, vcc_lo, v3, 1
	v_add_co_ci_u32_e32 v14, vcc_lo, 0, v5, vcc_lo
	v_cmp_ne_u32_e32 vcc_lo, 0, v9
	s_delay_alu instid0(VALU_DEP_2) | instskip(SKIP_2) | instid1(VALU_DEP_3)
	v_dual_cndmask_b32 v8, v14, v11 :: v_dual_cndmask_b32 v9, v12, v10
	v_cmp_ne_u32_e32 vcc_lo, 0, v7
	v_xor_b32_e32 v7, s20, v13
	v_cndmask_b32_e32 v3, v3, v9, vcc_lo
	s_delay_alu instid0(VALU_DEP_4) | instskip(SKIP_1) | instid1(VALU_DEP_3)
	v_cndmask_b32_e32 v5, v5, v8, vcc_lo
	v_xor_b32_e32 v9, s21, v13
	v_xor_b32_e32 v3, v3, v7
	s_delay_alu instid0(VALU_DEP_2) | instskip(NEXT) | instid1(VALU_DEP_2)
	v_xor_b32_e32 v5, v5, v9
	v_sub_co_u32 v8, vcc_lo, v3, v7
	s_delay_alu instid0(VALU_DEP_2)
	v_sub_co_ci_u32_e32 v9, vcc_lo, v5, v9, vcc_lo
.LBB84_26:                              ;   in Loop: Header=BB84_24 Depth=2
	s_and_not1_saveexec_b32 s0, s14
	s_cbranch_execz .LBB84_28
; %bb.27:                               ;   in Loop: Header=BB84_24 Depth=2
	v_cvt_f32_u32_e32 v3, s41
	s_sub_i32 s14, 0, s41
	v_mov_b32_e32 v9, v2
	s_delay_alu instid0(VALU_DEP_2) | instskip(SKIP_2) | instid1(VALU_DEP_1)
	v_rcp_iflag_f32_e32 v3, v3
	s_waitcnt_depctr 0xfff
	v_mul_f32_e32 v3, 0x4f7ffffe, v3
	v_cvt_u32_f32_e32 v3, v3
	s_delay_alu instid0(VALU_DEP_1) | instskip(NEXT) | instid1(VALU_DEP_1)
	v_mul_lo_u32 v5, s14, v3
	v_mul_hi_u32 v5, v3, v5
	s_delay_alu instid0(VALU_DEP_1) | instskip(NEXT) | instid1(VALU_DEP_1)
	v_add_nc_u32_e32 v3, v3, v5
	v_mul_hi_u32 v3, v6, v3
	s_delay_alu instid0(VALU_DEP_1) | instskip(SKIP_1) | instid1(VALU_DEP_2)
	v_mul_lo_u32 v5, v3, s41
	v_add_nc_u32_e32 v7, 1, v3
	v_sub_nc_u32_e32 v5, v6, v5
	s_delay_alu instid0(VALU_DEP_1) | instskip(SKIP_1) | instid1(VALU_DEP_4)
	v_cmp_le_u32_e32 vcc_lo, s41, v5
	v_subrev_nc_u32_e32 v8, s41, v5
	v_cndmask_b32_e32 v3, v3, v7, vcc_lo
	s_delay_alu instid0(VALU_DEP_1) | instskip(NEXT) | instid1(VALU_DEP_3)
	v_add_nc_u32_e32 v7, 1, v3
	v_cndmask_b32_e32 v5, v5, v8, vcc_lo
	s_delay_alu instid0(VALU_DEP_1) | instskip(NEXT) | instid1(VALU_DEP_3)
	v_cmp_le_u32_e32 vcc_lo, s41, v5
	v_cndmask_b32_e32 v8, v3, v7, vcc_lo
.LBB84_28:                              ;   in Loop: Header=BB84_24 Depth=2
	s_or_b32 exec_lo, exec_lo, s0
	s_add_u32 s20, s30, s18
	s_addc_u32 s21, s1, s19
	s_add_i32 s14, s16, 6
                                        ; implicit-def: $vgpr10_vgpr11
	s_delay_alu instid0(SALU_CYCLE_1)
	s_lshl_b64 s[18:19], s[14:15], 2
	s_mov_b32 s14, exec_lo
	s_add_u32 s22, s26, s18
	s_addc_u32 s23, s27, s19
	s_clause 0x1
	s_load_b32 s43, s[22:23], 0x0
	s_load_b32 s42, s[20:21], 0x0
	s_waitcnt lgkmcnt(0)
	s_ashr_i32 s0, s43, 31
	s_delay_alu instid0(SALU_CYCLE_1) | instskip(NEXT) | instid1(VALU_DEP_1)
	v_or_b32_e32 v3, s0, v9
	v_cmpx_ne_u64_e32 0, v[2:3]
	s_xor_b32 s14, exec_lo, s14
	s_cbranch_execz .LBB84_30
; %bb.29:                               ;   in Loop: Header=BB84_24 Depth=2
	s_add_u32 s22, s43, s0
	s_mov_b32 s20, s0
	s_mov_b32 s21, s0
	s_addc_u32 s23, s0, s0
	s_delay_alu instid0(SALU_CYCLE_1) | instskip(NEXT) | instid1(SALU_CYCLE_1)
	s_xor_b64 s[22:23], s[22:23], s[20:21]
	v_cvt_f32_u32_e32 v3, s22
	v_cvt_f32_u32_e32 v5, s23
	s_sub_u32 s0, 0, s22
	s_subb_u32 s17, 0, s23
	s_delay_alu instid0(VALU_DEP_1) | instskip(NEXT) | instid1(VALU_DEP_1)
	v_fmac_f32_e32 v3, 0x4f800000, v5
	v_rcp_f32_e32 v3, v3
	s_waitcnt_depctr 0xfff
	v_mul_f32_e32 v3, 0x5f7ffffc, v3
	s_delay_alu instid0(VALU_DEP_1) | instskip(NEXT) | instid1(VALU_DEP_1)
	v_mul_f32_e32 v5, 0x2f800000, v3
	v_trunc_f32_e32 v5, v5
	s_delay_alu instid0(VALU_DEP_1) | instskip(SKIP_1) | instid1(VALU_DEP_2)
	v_fmac_f32_e32 v3, 0xcf800000, v5
	v_cvt_u32_f32_e32 v5, v5
	v_cvt_u32_f32_e32 v3, v3
	s_delay_alu instid0(VALU_DEP_2) | instskip(NEXT) | instid1(VALU_DEP_2)
	v_mul_lo_u32 v7, s0, v5
	v_mul_hi_u32 v10, s0, v3
	v_mul_lo_u32 v11, s17, v3
	s_delay_alu instid0(VALU_DEP_2) | instskip(SKIP_1) | instid1(VALU_DEP_2)
	v_add_nc_u32_e32 v7, v10, v7
	v_mul_lo_u32 v10, s0, v3
	v_add_nc_u32_e32 v7, v7, v11
	s_delay_alu instid0(VALU_DEP_2) | instskip(NEXT) | instid1(VALU_DEP_2)
	v_mul_hi_u32 v11, v3, v10
	v_mul_lo_u32 v12, v3, v7
	v_mul_hi_u32 v13, v3, v7
	v_mul_hi_u32 v14, v5, v10
	v_mul_lo_u32 v10, v5, v10
	v_mul_hi_u32 v15, v5, v7
	v_mul_lo_u32 v7, v5, v7
	v_add_co_u32 v11, vcc_lo, v11, v12
	v_add_co_ci_u32_e32 v12, vcc_lo, 0, v13, vcc_lo
	s_delay_alu instid0(VALU_DEP_2) | instskip(NEXT) | instid1(VALU_DEP_2)
	v_add_co_u32 v10, vcc_lo, v11, v10
	v_add_co_ci_u32_e32 v10, vcc_lo, v12, v14, vcc_lo
	v_add_co_ci_u32_e32 v11, vcc_lo, 0, v15, vcc_lo
	v_ashrrev_i32_e32 v15, 31, v9
	s_delay_alu instid0(VALU_DEP_3) | instskip(NEXT) | instid1(VALU_DEP_3)
	v_add_co_u32 v7, vcc_lo, v10, v7
	v_add_co_ci_u32_e32 v10, vcc_lo, 0, v11, vcc_lo
	s_delay_alu instid0(VALU_DEP_2) | instskip(NEXT) | instid1(VALU_DEP_2)
	v_add_co_u32 v3, vcc_lo, v3, v7
	v_add_co_ci_u32_e32 v5, vcc_lo, v5, v10, vcc_lo
	s_delay_alu instid0(VALU_DEP_2) | instskip(SKIP_1) | instid1(VALU_DEP_3)
	v_mul_hi_u32 v7, s0, v3
	v_mul_lo_u32 v11, s17, v3
	v_mul_lo_u32 v10, s0, v5
	s_delay_alu instid0(VALU_DEP_1) | instskip(SKIP_1) | instid1(VALU_DEP_2)
	v_add_nc_u32_e32 v7, v7, v10
	v_mul_lo_u32 v10, s0, v3
	v_add_nc_u32_e32 v7, v7, v11
	s_delay_alu instid0(VALU_DEP_2) | instskip(NEXT) | instid1(VALU_DEP_2)
	v_mul_hi_u32 v11, v3, v10
	v_mul_lo_u32 v12, v3, v7
	v_mul_hi_u32 v13, v3, v7
	v_mul_hi_u32 v14, v5, v10
	v_mul_lo_u32 v10, v5, v10
	v_mul_hi_u32 v16, v5, v7
	v_mul_lo_u32 v7, v5, v7
	v_add_co_u32 v11, vcc_lo, v11, v12
	v_add_co_ci_u32_e32 v12, vcc_lo, 0, v13, vcc_lo
	s_delay_alu instid0(VALU_DEP_2) | instskip(NEXT) | instid1(VALU_DEP_2)
	v_add_co_u32 v10, vcc_lo, v11, v10
	v_add_co_ci_u32_e32 v10, vcc_lo, v12, v14, vcc_lo
	v_add_co_ci_u32_e32 v11, vcc_lo, 0, v16, vcc_lo
	v_add_co_u32 v12, vcc_lo, v8, v15
	v_add_co_ci_u32_e32 v9, vcc_lo, v9, v15, vcc_lo
	s_delay_alu instid0(VALU_DEP_4) | instskip(NEXT) | instid1(VALU_DEP_4)
	v_add_co_u32 v7, vcc_lo, v10, v7
	v_add_co_ci_u32_e32 v10, vcc_lo, 0, v11, vcc_lo
	s_delay_alu instid0(VALU_DEP_4) | instskip(NEXT) | instid1(VALU_DEP_3)
	v_xor_b32_e32 v16, v12, v15
	v_add_co_u32 v3, vcc_lo, v3, v7
	s_delay_alu instid0(VALU_DEP_3) | instskip(SKIP_1) | instid1(VALU_DEP_3)
	v_add_co_ci_u32_e32 v5, vcc_lo, v5, v10, vcc_lo
	v_xor_b32_e32 v7, v9, v15
	v_mul_hi_u32 v17, v16, v3
	s_delay_alu instid0(VALU_DEP_3) | instskip(NEXT) | instid1(VALU_DEP_3)
	v_mad_u64_u32 v[9:10], null, v16, v5, 0
	v_mad_u64_u32 v[11:12], null, v7, v3, 0
	v_mad_u64_u32 v[13:14], null, v7, v5, 0
	s_delay_alu instid0(VALU_DEP_3) | instskip(NEXT) | instid1(VALU_DEP_4)
	v_add_co_u32 v3, vcc_lo, v17, v9
	v_add_co_ci_u32_e32 v5, vcc_lo, 0, v10, vcc_lo
	s_delay_alu instid0(VALU_DEP_2) | instskip(NEXT) | instid1(VALU_DEP_2)
	v_add_co_u32 v3, vcc_lo, v3, v11
	v_add_co_ci_u32_e32 v3, vcc_lo, v5, v12, vcc_lo
	v_add_co_ci_u32_e32 v5, vcc_lo, 0, v14, vcc_lo
	s_delay_alu instid0(VALU_DEP_2) | instskip(NEXT) | instid1(VALU_DEP_2)
	v_add_co_u32 v3, vcc_lo, v3, v13
	v_add_co_ci_u32_e32 v5, vcc_lo, 0, v5, vcc_lo
	s_delay_alu instid0(VALU_DEP_2) | instskip(SKIP_1) | instid1(VALU_DEP_3)
	v_mul_lo_u32 v11, s23, v3
	v_mad_u64_u32 v[9:10], null, s22, v3, 0
	v_mul_lo_u32 v12, s22, v5
	s_delay_alu instid0(VALU_DEP_2) | instskip(NEXT) | instid1(VALU_DEP_2)
	v_sub_co_u32 v9, vcc_lo, v16, v9
	v_add3_u32 v10, v10, v12, v11
	s_delay_alu instid0(VALU_DEP_1) | instskip(NEXT) | instid1(VALU_DEP_1)
	v_sub_nc_u32_e32 v11, v7, v10
	v_subrev_co_ci_u32_e64 v11, s0, s23, v11, vcc_lo
	v_add_co_u32 v12, s0, v3, 2
	s_delay_alu instid0(VALU_DEP_1) | instskip(SKIP_3) | instid1(VALU_DEP_3)
	v_add_co_ci_u32_e64 v13, s0, 0, v5, s0
	v_sub_co_u32 v14, s0, v9, s22
	v_sub_co_ci_u32_e32 v7, vcc_lo, v7, v10, vcc_lo
	v_subrev_co_ci_u32_e64 v11, s0, 0, v11, s0
	v_cmp_le_u32_e32 vcc_lo, s22, v14
	s_delay_alu instid0(VALU_DEP_3) | instskip(SKIP_1) | instid1(VALU_DEP_4)
	v_cmp_eq_u32_e64 s0, s23, v7
	v_cndmask_b32_e64 v10, 0, -1, vcc_lo
	v_cmp_le_u32_e32 vcc_lo, s23, v11
	v_cndmask_b32_e64 v14, 0, -1, vcc_lo
	v_cmp_le_u32_e32 vcc_lo, s22, v9
	;; [unrolled: 2-line block ×3, first 2 shown]
	v_cndmask_b32_e64 v16, 0, -1, vcc_lo
	v_cmp_eq_u32_e32 vcc_lo, s23, v11
	s_delay_alu instid0(VALU_DEP_2) | instskip(SKIP_3) | instid1(VALU_DEP_3)
	v_cndmask_b32_e64 v7, v16, v9, s0
	v_cndmask_b32_e32 v10, v14, v10, vcc_lo
	v_add_co_u32 v11, vcc_lo, v3, 1
	v_add_co_ci_u32_e32 v14, vcc_lo, 0, v5, vcc_lo
	v_cmp_ne_u32_e32 vcc_lo, 0, v10
	s_delay_alu instid0(VALU_DEP_2) | instskip(SKIP_2) | instid1(VALU_DEP_3)
	v_dual_cndmask_b32 v10, v11, v12 :: v_dual_cndmask_b32 v9, v14, v13
	v_cmp_ne_u32_e32 vcc_lo, 0, v7
	v_xor_b32_e32 v7, s20, v15
	v_cndmask_b32_e32 v3, v3, v10, vcc_lo
	s_delay_alu instid0(VALU_DEP_4) | instskip(SKIP_1) | instid1(VALU_DEP_3)
	v_cndmask_b32_e32 v5, v5, v9, vcc_lo
	v_xor_b32_e32 v9, s21, v15
	v_xor_b32_e32 v3, v3, v7
	s_delay_alu instid0(VALU_DEP_2) | instskip(NEXT) | instid1(VALU_DEP_2)
	v_xor_b32_e32 v5, v5, v9
	v_sub_co_u32 v10, vcc_lo, v3, v7
	s_delay_alu instid0(VALU_DEP_2)
	v_sub_co_ci_u32_e32 v11, vcc_lo, v5, v9, vcc_lo
.LBB84_30:                              ;   in Loop: Header=BB84_24 Depth=2
	s_and_not1_saveexec_b32 s0, s14
	s_cbranch_execz .LBB84_32
; %bb.31:                               ;   in Loop: Header=BB84_24 Depth=2
	v_cvt_f32_u32_e32 v3, s43
	s_sub_i32 s14, 0, s43
	v_mov_b32_e32 v11, v2
	s_delay_alu instid0(VALU_DEP_2) | instskip(SKIP_2) | instid1(VALU_DEP_1)
	v_rcp_iflag_f32_e32 v3, v3
	s_waitcnt_depctr 0xfff
	v_mul_f32_e32 v3, 0x4f7ffffe, v3
	v_cvt_u32_f32_e32 v3, v3
	s_delay_alu instid0(VALU_DEP_1) | instskip(NEXT) | instid1(VALU_DEP_1)
	v_mul_lo_u32 v5, s14, v3
	v_mul_hi_u32 v5, v3, v5
	s_delay_alu instid0(VALU_DEP_1) | instskip(NEXT) | instid1(VALU_DEP_1)
	v_add_nc_u32_e32 v3, v3, v5
	v_mul_hi_u32 v3, v8, v3
	s_delay_alu instid0(VALU_DEP_1) | instskip(SKIP_1) | instid1(VALU_DEP_2)
	v_mul_lo_u32 v5, v3, s43
	v_add_nc_u32_e32 v7, 1, v3
	v_sub_nc_u32_e32 v5, v8, v5
	s_delay_alu instid0(VALU_DEP_1) | instskip(SKIP_1) | instid1(VALU_DEP_4)
	v_cmp_le_u32_e32 vcc_lo, s43, v5
	v_subrev_nc_u32_e32 v9, s43, v5
	v_cndmask_b32_e32 v3, v3, v7, vcc_lo
	s_delay_alu instid0(VALU_DEP_1) | instskip(NEXT) | instid1(VALU_DEP_3)
	v_add_nc_u32_e32 v7, 1, v3
	v_cndmask_b32_e32 v5, v5, v9, vcc_lo
	s_delay_alu instid0(VALU_DEP_1) | instskip(NEXT) | instid1(VALU_DEP_3)
	v_cmp_le_u32_e32 vcc_lo, s43, v5
	v_cndmask_b32_e32 v10, v3, v7, vcc_lo
.LBB84_32:                              ;   in Loop: Header=BB84_24 Depth=2
	s_or_b32 exec_lo, exec_lo, s0
	s_add_u32 s20, s30, s18
	s_addc_u32 s21, s1, s19
	s_add_i32 s14, s16, 5
                                        ; implicit-def: $vgpr12_vgpr13
	s_delay_alu instid0(SALU_CYCLE_1)
	s_lshl_b64 s[18:19], s[14:15], 2
	s_mov_b32 s14, exec_lo
	s_add_u32 s22, s26, s18
	s_addc_u32 s23, s27, s19
	s_clause 0x1
	s_load_b32 s45, s[22:23], 0x0
	s_load_b32 s44, s[20:21], 0x0
	s_waitcnt lgkmcnt(0)
	s_ashr_i32 s0, s45, 31
	s_delay_alu instid0(SALU_CYCLE_1) | instskip(NEXT) | instid1(VALU_DEP_1)
	v_or_b32_e32 v3, s0, v11
	v_cmpx_ne_u64_e32 0, v[2:3]
	s_xor_b32 s14, exec_lo, s14
	s_cbranch_execz .LBB84_34
; %bb.33:                               ;   in Loop: Header=BB84_24 Depth=2
	s_add_u32 s22, s45, s0
	s_mov_b32 s20, s0
	s_mov_b32 s21, s0
	s_addc_u32 s23, s0, s0
	v_ashrrev_i32_e32 v17, 31, v11
	s_xor_b64 s[22:23], s[22:23], s[20:21]
	s_delay_alu instid0(SALU_CYCLE_1) | instskip(SKIP_3) | instid1(VALU_DEP_1)
	v_cvt_f32_u32_e32 v3, s22
	v_cvt_f32_u32_e32 v5, s23
	s_sub_u32 s0, 0, s22
	s_subb_u32 s17, 0, s23
	v_fmac_f32_e32 v3, 0x4f800000, v5
	s_delay_alu instid0(VALU_DEP_1) | instskip(SKIP_2) | instid1(VALU_DEP_1)
	v_rcp_f32_e32 v3, v3
	s_waitcnt_depctr 0xfff
	v_mul_f32_e32 v3, 0x5f7ffffc, v3
	v_mul_f32_e32 v5, 0x2f800000, v3
	s_delay_alu instid0(VALU_DEP_1) | instskip(NEXT) | instid1(VALU_DEP_1)
	v_trunc_f32_e32 v5, v5
	v_fmac_f32_e32 v3, 0xcf800000, v5
	v_cvt_u32_f32_e32 v5, v5
	s_delay_alu instid0(VALU_DEP_2) | instskip(NEXT) | instid1(VALU_DEP_2)
	v_cvt_u32_f32_e32 v3, v3
	v_mul_lo_u32 v7, s0, v5
	s_delay_alu instid0(VALU_DEP_2) | instskip(SKIP_1) | instid1(VALU_DEP_2)
	v_mul_hi_u32 v9, s0, v3
	v_mul_lo_u32 v12, s17, v3
	v_add_nc_u32_e32 v7, v9, v7
	v_mul_lo_u32 v9, s0, v3
	s_delay_alu instid0(VALU_DEP_2) | instskip(NEXT) | instid1(VALU_DEP_2)
	v_add_nc_u32_e32 v7, v7, v12
	v_mul_hi_u32 v12, v3, v9
	s_delay_alu instid0(VALU_DEP_2)
	v_mul_lo_u32 v13, v3, v7
	v_mul_hi_u32 v14, v3, v7
	v_mul_hi_u32 v15, v5, v9
	v_mul_lo_u32 v9, v5, v9
	v_mul_hi_u32 v16, v5, v7
	v_mul_lo_u32 v7, v5, v7
	v_add_co_u32 v12, vcc_lo, v12, v13
	v_add_co_ci_u32_e32 v13, vcc_lo, 0, v14, vcc_lo
	s_delay_alu instid0(VALU_DEP_2) | instskip(NEXT) | instid1(VALU_DEP_2)
	v_add_co_u32 v9, vcc_lo, v12, v9
	v_add_co_ci_u32_e32 v9, vcc_lo, v13, v15, vcc_lo
	v_add_co_ci_u32_e32 v12, vcc_lo, 0, v16, vcc_lo
	s_delay_alu instid0(VALU_DEP_2) | instskip(NEXT) | instid1(VALU_DEP_2)
	v_add_co_u32 v7, vcc_lo, v9, v7
	v_add_co_ci_u32_e32 v9, vcc_lo, 0, v12, vcc_lo
	s_delay_alu instid0(VALU_DEP_2) | instskip(NEXT) | instid1(VALU_DEP_2)
	v_add_co_u32 v3, vcc_lo, v3, v7
	v_add_co_ci_u32_e32 v5, vcc_lo, v5, v9, vcc_lo
	s_delay_alu instid0(VALU_DEP_2) | instskip(SKIP_1) | instid1(VALU_DEP_3)
	v_mul_hi_u32 v7, s0, v3
	v_mul_lo_u32 v12, s17, v3
	v_mul_lo_u32 v9, s0, v5
	s_delay_alu instid0(VALU_DEP_1) | instskip(SKIP_1) | instid1(VALU_DEP_2)
	v_add_nc_u32_e32 v7, v7, v9
	v_mul_lo_u32 v9, s0, v3
	v_add_nc_u32_e32 v7, v7, v12
	s_delay_alu instid0(VALU_DEP_2) | instskip(NEXT) | instid1(VALU_DEP_2)
	v_mul_hi_u32 v12, v3, v9
	v_mul_lo_u32 v13, v3, v7
	v_mul_hi_u32 v14, v3, v7
	v_mul_hi_u32 v15, v5, v9
	v_mul_lo_u32 v9, v5, v9
	v_mul_hi_u32 v16, v5, v7
	v_mul_lo_u32 v7, v5, v7
	v_add_co_u32 v12, vcc_lo, v12, v13
	v_add_co_ci_u32_e32 v13, vcc_lo, 0, v14, vcc_lo
	s_delay_alu instid0(VALU_DEP_2) | instskip(NEXT) | instid1(VALU_DEP_2)
	v_add_co_u32 v9, vcc_lo, v12, v9
	v_add_co_ci_u32_e32 v9, vcc_lo, v13, v15, vcc_lo
	v_add_co_ci_u32_e32 v12, vcc_lo, 0, v16, vcc_lo
	v_add_co_u32 v13, vcc_lo, v10, v17
	v_add_co_ci_u32_e32 v11, vcc_lo, v11, v17, vcc_lo
	s_delay_alu instid0(VALU_DEP_4) | instskip(NEXT) | instid1(VALU_DEP_4)
	v_add_co_u32 v7, vcc_lo, v9, v7
	v_add_co_ci_u32_e32 v9, vcc_lo, 0, v12, vcc_lo
	s_delay_alu instid0(VALU_DEP_4) | instskip(NEXT) | instid1(VALU_DEP_3)
	v_xor_b32_e32 v18, v13, v17
	v_add_co_u32 v3, vcc_lo, v3, v7
	s_delay_alu instid0(VALU_DEP_3) | instskip(SKIP_1) | instid1(VALU_DEP_3)
	v_add_co_ci_u32_e32 v5, vcc_lo, v5, v9, vcc_lo
	v_xor_b32_e32 v7, v11, v17
	v_mul_hi_u32 v9, v18, v3
	s_delay_alu instid0(VALU_DEP_3) | instskip(NEXT) | instid1(VALU_DEP_3)
	v_mad_u64_u32 v[11:12], null, v18, v5, 0
	v_mad_u64_u32 v[13:14], null, v7, v3, 0
	v_mad_u64_u32 v[15:16], null, v7, v5, 0
	s_delay_alu instid0(VALU_DEP_3) | instskip(NEXT) | instid1(VALU_DEP_4)
	v_add_co_u32 v3, vcc_lo, v9, v11
	v_add_co_ci_u32_e32 v5, vcc_lo, 0, v12, vcc_lo
	s_delay_alu instid0(VALU_DEP_2) | instskip(NEXT) | instid1(VALU_DEP_2)
	v_add_co_u32 v3, vcc_lo, v3, v13
	v_add_co_ci_u32_e32 v3, vcc_lo, v5, v14, vcc_lo
	v_add_co_ci_u32_e32 v5, vcc_lo, 0, v16, vcc_lo
	s_delay_alu instid0(VALU_DEP_2) | instskip(NEXT) | instid1(VALU_DEP_2)
	v_add_co_u32 v3, vcc_lo, v3, v15
	v_add_co_ci_u32_e32 v5, vcc_lo, 0, v5, vcc_lo
	s_delay_alu instid0(VALU_DEP_2) | instskip(SKIP_1) | instid1(VALU_DEP_3)
	v_mul_lo_u32 v9, s23, v3
	v_mad_u64_u32 v[11:12], null, s22, v3, 0
	v_mul_lo_u32 v13, s22, v5
	s_delay_alu instid0(VALU_DEP_2) | instskip(NEXT) | instid1(VALU_DEP_2)
	v_sub_co_u32 v11, vcc_lo, v18, v11
	v_add3_u32 v9, v12, v13, v9
	s_delay_alu instid0(VALU_DEP_1) | instskip(NEXT) | instid1(VALU_DEP_1)
	v_sub_nc_u32_e32 v12, v7, v9
	v_subrev_co_ci_u32_e64 v12, s0, s23, v12, vcc_lo
	v_add_co_u32 v13, s0, v3, 2
	s_delay_alu instid0(VALU_DEP_1) | instskip(SKIP_3) | instid1(VALU_DEP_3)
	v_add_co_ci_u32_e64 v14, s0, 0, v5, s0
	v_sub_co_u32 v15, s0, v11, s22
	v_sub_co_ci_u32_e32 v7, vcc_lo, v7, v9, vcc_lo
	v_subrev_co_ci_u32_e64 v12, s0, 0, v12, s0
	v_cmp_le_u32_e32 vcc_lo, s22, v15
	s_delay_alu instid0(VALU_DEP_3) | instskip(SKIP_1) | instid1(VALU_DEP_4)
	v_cmp_eq_u32_e64 s0, s23, v7
	v_cndmask_b32_e64 v9, 0, -1, vcc_lo
	v_cmp_le_u32_e32 vcc_lo, s23, v12
	v_cndmask_b32_e64 v15, 0, -1, vcc_lo
	v_cmp_le_u32_e32 vcc_lo, s22, v11
	;; [unrolled: 2-line block ×3, first 2 shown]
	v_cndmask_b32_e64 v16, 0, -1, vcc_lo
	v_cmp_eq_u32_e32 vcc_lo, s23, v12
	s_delay_alu instid0(VALU_DEP_2) | instskip(SKIP_3) | instid1(VALU_DEP_3)
	v_cndmask_b32_e64 v7, v16, v11, s0
	v_cndmask_b32_e32 v9, v15, v9, vcc_lo
	v_add_co_u32 v12, vcc_lo, v3, 1
	v_add_co_ci_u32_e32 v15, vcc_lo, 0, v5, vcc_lo
	v_cmp_ne_u32_e32 vcc_lo, 0, v9
	s_delay_alu instid0(VALU_DEP_2) | instskip(NEXT) | instid1(VALU_DEP_4)
	v_cndmask_b32_e32 v9, v15, v14, vcc_lo
	v_cndmask_b32_e32 v11, v12, v13, vcc_lo
	v_cmp_ne_u32_e32 vcc_lo, 0, v7
	v_xor_b32_e32 v7, s20, v17
	s_delay_alu instid0(VALU_DEP_3) | instskip(SKIP_2) | instid1(VALU_DEP_3)
	v_cndmask_b32_e32 v3, v3, v11, vcc_lo
	v_cndmask_b32_e32 v5, v5, v9, vcc_lo
	v_xor_b32_e32 v9, s21, v17
	v_xor_b32_e32 v3, v3, v7
	s_delay_alu instid0(VALU_DEP_2) | instskip(NEXT) | instid1(VALU_DEP_2)
	v_xor_b32_e32 v5, v5, v9
	v_sub_co_u32 v12, vcc_lo, v3, v7
	s_delay_alu instid0(VALU_DEP_2)
	v_sub_co_ci_u32_e32 v13, vcc_lo, v5, v9, vcc_lo
.LBB84_34:                              ;   in Loop: Header=BB84_24 Depth=2
	s_and_not1_saveexec_b32 s0, s14
	s_cbranch_execz .LBB84_36
; %bb.35:                               ;   in Loop: Header=BB84_24 Depth=2
	v_cvt_f32_u32_e32 v3, s45
	s_sub_i32 s14, 0, s45
	v_mov_b32_e32 v13, v2
	s_delay_alu instid0(VALU_DEP_2) | instskip(SKIP_2) | instid1(VALU_DEP_1)
	v_rcp_iflag_f32_e32 v3, v3
	s_waitcnt_depctr 0xfff
	v_mul_f32_e32 v3, 0x4f7ffffe, v3
	v_cvt_u32_f32_e32 v3, v3
	s_delay_alu instid0(VALU_DEP_1) | instskip(NEXT) | instid1(VALU_DEP_1)
	v_mul_lo_u32 v5, s14, v3
	v_mul_hi_u32 v5, v3, v5
	s_delay_alu instid0(VALU_DEP_1) | instskip(NEXT) | instid1(VALU_DEP_1)
	v_add_nc_u32_e32 v3, v3, v5
	v_mul_hi_u32 v3, v10, v3
	s_delay_alu instid0(VALU_DEP_1) | instskip(SKIP_1) | instid1(VALU_DEP_2)
	v_mul_lo_u32 v5, v3, s45
	v_add_nc_u32_e32 v7, 1, v3
	v_sub_nc_u32_e32 v5, v10, v5
	s_delay_alu instid0(VALU_DEP_1) | instskip(SKIP_1) | instid1(VALU_DEP_4)
	v_cmp_le_u32_e32 vcc_lo, s45, v5
	v_subrev_nc_u32_e32 v9, s45, v5
	v_cndmask_b32_e32 v3, v3, v7, vcc_lo
	s_delay_alu instid0(VALU_DEP_1) | instskip(NEXT) | instid1(VALU_DEP_3)
	v_add_nc_u32_e32 v7, 1, v3
	v_cndmask_b32_e32 v5, v5, v9, vcc_lo
	s_delay_alu instid0(VALU_DEP_1) | instskip(NEXT) | instid1(VALU_DEP_3)
	v_cmp_le_u32_e32 vcc_lo, s45, v5
	v_cndmask_b32_e32 v12, v3, v7, vcc_lo
.LBB84_36:                              ;   in Loop: Header=BB84_24 Depth=2
	s_or_b32 exec_lo, exec_lo, s0
	s_add_u32 s20, s30, s18
	s_addc_u32 s21, s1, s19
	s_add_i32 s14, s16, 4
                                        ; implicit-def: $vgpr14_vgpr15
	s_delay_alu instid0(SALU_CYCLE_1)
	s_lshl_b64 s[18:19], s[14:15], 2
	s_mov_b32 s14, exec_lo
	s_add_u32 s22, s26, s18
	s_addc_u32 s23, s27, s19
	s_clause 0x1
	s_load_b32 s47, s[22:23], 0x0
	s_load_b32 s46, s[20:21], 0x0
	s_waitcnt lgkmcnt(0)
	s_ashr_i32 s0, s47, 31
	s_delay_alu instid0(SALU_CYCLE_1) | instskip(NEXT) | instid1(VALU_DEP_1)
	v_or_b32_e32 v3, s0, v13
	v_cmpx_ne_u64_e32 0, v[2:3]
	s_xor_b32 s14, exec_lo, s14
	s_cbranch_execz .LBB84_38
; %bb.37:                               ;   in Loop: Header=BB84_24 Depth=2
	s_add_u32 s22, s47, s0
	s_mov_b32 s20, s0
	s_mov_b32 s21, s0
	s_addc_u32 s23, s0, s0
	v_ashrrev_i32_e32 v19, 31, v13
	s_xor_b64 s[22:23], s[22:23], s[20:21]
	s_delay_alu instid0(SALU_CYCLE_1) | instskip(SKIP_3) | instid1(VALU_DEP_1)
	v_cvt_f32_u32_e32 v3, s22
	v_cvt_f32_u32_e32 v5, s23
	s_sub_u32 s0, 0, s22
	s_subb_u32 s17, 0, s23
	v_fmac_f32_e32 v3, 0x4f800000, v5
	s_delay_alu instid0(VALU_DEP_1) | instskip(SKIP_2) | instid1(VALU_DEP_1)
	v_rcp_f32_e32 v3, v3
	s_waitcnt_depctr 0xfff
	v_mul_f32_e32 v3, 0x5f7ffffc, v3
	v_mul_f32_e32 v5, 0x2f800000, v3
	s_delay_alu instid0(VALU_DEP_1) | instskip(NEXT) | instid1(VALU_DEP_1)
	v_trunc_f32_e32 v5, v5
	v_fmac_f32_e32 v3, 0xcf800000, v5
	v_cvt_u32_f32_e32 v5, v5
	s_delay_alu instid0(VALU_DEP_2) | instskip(NEXT) | instid1(VALU_DEP_2)
	v_cvt_u32_f32_e32 v3, v3
	v_mul_lo_u32 v7, s0, v5
	s_delay_alu instid0(VALU_DEP_2) | instskip(SKIP_1) | instid1(VALU_DEP_2)
	v_mul_hi_u32 v9, s0, v3
	v_mul_lo_u32 v11, s17, v3
	v_add_nc_u32_e32 v7, v9, v7
	v_mul_lo_u32 v9, s0, v3
	s_delay_alu instid0(VALU_DEP_2) | instskip(NEXT) | instid1(VALU_DEP_2)
	v_add_nc_u32_e32 v7, v7, v11
	v_mul_hi_u32 v11, v3, v9
	s_delay_alu instid0(VALU_DEP_2)
	v_mul_lo_u32 v14, v3, v7
	v_mul_hi_u32 v15, v3, v7
	v_mul_hi_u32 v16, v5, v9
	v_mul_lo_u32 v9, v5, v9
	v_mul_hi_u32 v17, v5, v7
	v_mul_lo_u32 v7, v5, v7
	v_add_co_u32 v11, vcc_lo, v11, v14
	v_add_co_ci_u32_e32 v14, vcc_lo, 0, v15, vcc_lo
	s_delay_alu instid0(VALU_DEP_2) | instskip(NEXT) | instid1(VALU_DEP_2)
	v_add_co_u32 v9, vcc_lo, v11, v9
	v_add_co_ci_u32_e32 v9, vcc_lo, v14, v16, vcc_lo
	v_add_co_ci_u32_e32 v11, vcc_lo, 0, v17, vcc_lo
	s_delay_alu instid0(VALU_DEP_2) | instskip(NEXT) | instid1(VALU_DEP_2)
	v_add_co_u32 v7, vcc_lo, v9, v7
	v_add_co_ci_u32_e32 v9, vcc_lo, 0, v11, vcc_lo
	s_delay_alu instid0(VALU_DEP_2) | instskip(NEXT) | instid1(VALU_DEP_2)
	v_add_co_u32 v3, vcc_lo, v3, v7
	v_add_co_ci_u32_e32 v5, vcc_lo, v5, v9, vcc_lo
	s_delay_alu instid0(VALU_DEP_2) | instskip(SKIP_1) | instid1(VALU_DEP_3)
	v_mul_hi_u32 v7, s0, v3
	v_mul_lo_u32 v11, s17, v3
	v_mul_lo_u32 v9, s0, v5
	s_delay_alu instid0(VALU_DEP_1) | instskip(SKIP_1) | instid1(VALU_DEP_2)
	v_add_nc_u32_e32 v7, v7, v9
	v_mul_lo_u32 v9, s0, v3
	v_add_nc_u32_e32 v7, v7, v11
	s_delay_alu instid0(VALU_DEP_2) | instskip(NEXT) | instid1(VALU_DEP_2)
	v_mul_hi_u32 v11, v3, v9
	v_mul_lo_u32 v14, v3, v7
	v_mul_hi_u32 v15, v3, v7
	v_mul_hi_u32 v16, v5, v9
	v_mul_lo_u32 v9, v5, v9
	v_mul_hi_u32 v17, v5, v7
	v_mul_lo_u32 v7, v5, v7
	v_add_co_u32 v11, vcc_lo, v11, v14
	v_add_co_ci_u32_e32 v14, vcc_lo, 0, v15, vcc_lo
	s_delay_alu instid0(VALU_DEP_2) | instskip(NEXT) | instid1(VALU_DEP_2)
	v_add_co_u32 v9, vcc_lo, v11, v9
	v_add_co_ci_u32_e32 v9, vcc_lo, v14, v16, vcc_lo
	v_add_co_ci_u32_e32 v11, vcc_lo, 0, v17, vcc_lo
	v_add_co_u32 v14, vcc_lo, v12, v19
	v_add_co_ci_u32_e32 v13, vcc_lo, v13, v19, vcc_lo
	s_delay_alu instid0(VALU_DEP_4) | instskip(NEXT) | instid1(VALU_DEP_4)
	v_add_co_u32 v7, vcc_lo, v9, v7
	v_add_co_ci_u32_e32 v9, vcc_lo, 0, v11, vcc_lo
	s_delay_alu instid0(VALU_DEP_4) | instskip(NEXT) | instid1(VALU_DEP_3)
	v_xor_b32_e32 v11, v14, v19
	v_add_co_u32 v3, vcc_lo, v3, v7
	s_delay_alu instid0(VALU_DEP_3) | instskip(SKIP_1) | instid1(VALU_DEP_3)
	v_add_co_ci_u32_e32 v5, vcc_lo, v5, v9, vcc_lo
	v_xor_b32_e32 v7, v13, v19
	v_mul_hi_u32 v9, v11, v3
	s_delay_alu instid0(VALU_DEP_3) | instskip(NEXT) | instid1(VALU_DEP_3)
	v_mad_u64_u32 v[13:14], null, v11, v5, 0
	v_mad_u64_u32 v[15:16], null, v7, v3, 0
	;; [unrolled: 1-line block ×3, first 2 shown]
	s_delay_alu instid0(VALU_DEP_3) | instskip(NEXT) | instid1(VALU_DEP_4)
	v_add_co_u32 v3, vcc_lo, v9, v13
	v_add_co_ci_u32_e32 v5, vcc_lo, 0, v14, vcc_lo
	s_delay_alu instid0(VALU_DEP_2) | instskip(NEXT) | instid1(VALU_DEP_2)
	v_add_co_u32 v3, vcc_lo, v3, v15
	v_add_co_ci_u32_e32 v3, vcc_lo, v5, v16, vcc_lo
	v_add_co_ci_u32_e32 v5, vcc_lo, 0, v18, vcc_lo
	s_delay_alu instid0(VALU_DEP_2) | instskip(NEXT) | instid1(VALU_DEP_2)
	v_add_co_u32 v3, vcc_lo, v3, v17
	v_add_co_ci_u32_e32 v5, vcc_lo, 0, v5, vcc_lo
	s_delay_alu instid0(VALU_DEP_2) | instskip(SKIP_1) | instid1(VALU_DEP_3)
	v_mul_lo_u32 v9, s23, v3
	v_mad_u64_u32 v[13:14], null, s22, v3, 0
	v_mul_lo_u32 v15, s22, v5
	s_delay_alu instid0(VALU_DEP_2) | instskip(NEXT) | instid1(VALU_DEP_2)
	v_sub_co_u32 v11, vcc_lo, v11, v13
	v_add3_u32 v9, v14, v15, v9
	s_delay_alu instid0(VALU_DEP_1) | instskip(NEXT) | instid1(VALU_DEP_1)
	v_sub_nc_u32_e32 v14, v7, v9
	v_subrev_co_ci_u32_e64 v13, s0, s23, v14, vcc_lo
	v_add_co_u32 v14, s0, v3, 2
	s_delay_alu instid0(VALU_DEP_1) | instskip(SKIP_3) | instid1(VALU_DEP_3)
	v_add_co_ci_u32_e64 v15, s0, 0, v5, s0
	v_sub_co_u32 v16, s0, v11, s22
	v_sub_co_ci_u32_e32 v7, vcc_lo, v7, v9, vcc_lo
	v_subrev_co_ci_u32_e64 v13, s0, 0, v13, s0
	v_cmp_le_u32_e32 vcc_lo, s22, v16
	s_delay_alu instid0(VALU_DEP_3) | instskip(SKIP_1) | instid1(VALU_DEP_4)
	v_cmp_eq_u32_e64 s0, s23, v7
	v_cndmask_b32_e64 v9, 0, -1, vcc_lo
	v_cmp_le_u32_e32 vcc_lo, s23, v13
	v_cndmask_b32_e64 v16, 0, -1, vcc_lo
	v_cmp_le_u32_e32 vcc_lo, s22, v11
	;; [unrolled: 2-line block ×3, first 2 shown]
	v_cndmask_b32_e64 v17, 0, -1, vcc_lo
	v_cmp_eq_u32_e32 vcc_lo, s23, v13
	s_delay_alu instid0(VALU_DEP_2) | instskip(SKIP_3) | instid1(VALU_DEP_3)
	v_cndmask_b32_e64 v7, v17, v11, s0
	v_cndmask_b32_e32 v9, v16, v9, vcc_lo
	v_add_co_u32 v13, vcc_lo, v3, 1
	v_add_co_ci_u32_e32 v16, vcc_lo, 0, v5, vcc_lo
	v_cmp_ne_u32_e32 vcc_lo, 0, v9
	s_delay_alu instid0(VALU_DEP_2) | instskip(NEXT) | instid1(VALU_DEP_4)
	v_cndmask_b32_e32 v9, v16, v15, vcc_lo
	v_cndmask_b32_e32 v11, v13, v14, vcc_lo
	v_cmp_ne_u32_e32 vcc_lo, 0, v7
	v_xor_b32_e32 v7, s20, v19
	s_delay_alu instid0(VALU_DEP_3) | instskip(SKIP_2) | instid1(VALU_DEP_3)
	v_cndmask_b32_e32 v3, v3, v11, vcc_lo
	v_cndmask_b32_e32 v5, v5, v9, vcc_lo
	v_xor_b32_e32 v9, s21, v19
	v_xor_b32_e32 v3, v3, v7
	s_delay_alu instid0(VALU_DEP_2) | instskip(NEXT) | instid1(VALU_DEP_2)
	v_xor_b32_e32 v5, v5, v9
	v_sub_co_u32 v14, vcc_lo, v3, v7
	s_delay_alu instid0(VALU_DEP_2)
	v_sub_co_ci_u32_e32 v15, vcc_lo, v5, v9, vcc_lo
.LBB84_38:                              ;   in Loop: Header=BB84_24 Depth=2
	s_and_not1_saveexec_b32 s0, s14
	s_cbranch_execz .LBB84_40
; %bb.39:                               ;   in Loop: Header=BB84_24 Depth=2
	v_cvt_f32_u32_e32 v3, s47
	s_sub_i32 s14, 0, s47
	v_mov_b32_e32 v15, v2
	s_delay_alu instid0(VALU_DEP_2) | instskip(SKIP_2) | instid1(VALU_DEP_1)
	v_rcp_iflag_f32_e32 v3, v3
	s_waitcnt_depctr 0xfff
	v_mul_f32_e32 v3, 0x4f7ffffe, v3
	v_cvt_u32_f32_e32 v3, v3
	s_delay_alu instid0(VALU_DEP_1) | instskip(NEXT) | instid1(VALU_DEP_1)
	v_mul_lo_u32 v5, s14, v3
	v_mul_hi_u32 v5, v3, v5
	s_delay_alu instid0(VALU_DEP_1) | instskip(NEXT) | instid1(VALU_DEP_1)
	v_add_nc_u32_e32 v3, v3, v5
	v_mul_hi_u32 v3, v12, v3
	s_delay_alu instid0(VALU_DEP_1) | instskip(SKIP_1) | instid1(VALU_DEP_2)
	v_mul_lo_u32 v5, v3, s47
	v_add_nc_u32_e32 v7, 1, v3
	v_sub_nc_u32_e32 v5, v12, v5
	s_delay_alu instid0(VALU_DEP_1) | instskip(SKIP_1) | instid1(VALU_DEP_4)
	v_cmp_le_u32_e32 vcc_lo, s47, v5
	v_subrev_nc_u32_e32 v9, s47, v5
	v_cndmask_b32_e32 v3, v3, v7, vcc_lo
	s_delay_alu instid0(VALU_DEP_1) | instskip(NEXT) | instid1(VALU_DEP_3)
	v_add_nc_u32_e32 v7, 1, v3
	v_cndmask_b32_e32 v5, v5, v9, vcc_lo
	s_delay_alu instid0(VALU_DEP_1) | instskip(NEXT) | instid1(VALU_DEP_3)
	v_cmp_le_u32_e32 vcc_lo, s47, v5
	v_cndmask_b32_e32 v14, v3, v7, vcc_lo
.LBB84_40:                              ;   in Loop: Header=BB84_24 Depth=2
	s_or_b32 exec_lo, exec_lo, s0
	s_add_u32 s20, s30, s18
	s_addc_u32 s21, s1, s19
	s_add_i32 s14, s16, 3
                                        ; implicit-def: $vgpr16_vgpr17
	s_delay_alu instid0(SALU_CYCLE_1)
	s_lshl_b64 s[18:19], s[14:15], 2
	s_mov_b32 s14, exec_lo
	s_add_u32 s22, s26, s18
	s_addc_u32 s23, s27, s19
	s_clause 0x1
	s_load_b32 s49, s[22:23], 0x0
	s_load_b32 s48, s[20:21], 0x0
	s_waitcnt lgkmcnt(0)
	s_ashr_i32 s0, s49, 31
	s_delay_alu instid0(SALU_CYCLE_1) | instskip(NEXT) | instid1(VALU_DEP_1)
	v_or_b32_e32 v3, s0, v15
	v_cmpx_ne_u64_e32 0, v[2:3]
	s_xor_b32 s14, exec_lo, s14
	s_cbranch_execz .LBB84_42
; %bb.41:                               ;   in Loop: Header=BB84_24 Depth=2
	s_add_u32 s22, s49, s0
	s_mov_b32 s20, s0
	s_mov_b32 s21, s0
	s_addc_u32 s23, s0, s0
	v_ashrrev_i32_e32 v21, 31, v15
	s_xor_b64 s[22:23], s[22:23], s[20:21]
	s_delay_alu instid0(SALU_CYCLE_1) | instskip(SKIP_3) | instid1(VALU_DEP_1)
	v_cvt_f32_u32_e32 v3, s22
	v_cvt_f32_u32_e32 v5, s23
	s_sub_u32 s0, 0, s22
	s_subb_u32 s17, 0, s23
	v_fmac_f32_e32 v3, 0x4f800000, v5
	s_delay_alu instid0(VALU_DEP_1) | instskip(SKIP_2) | instid1(VALU_DEP_1)
	v_rcp_f32_e32 v3, v3
	s_waitcnt_depctr 0xfff
	v_mul_f32_e32 v3, 0x5f7ffffc, v3
	v_mul_f32_e32 v5, 0x2f800000, v3
	s_delay_alu instid0(VALU_DEP_1) | instskip(NEXT) | instid1(VALU_DEP_1)
	v_trunc_f32_e32 v5, v5
	v_fmac_f32_e32 v3, 0xcf800000, v5
	v_cvt_u32_f32_e32 v5, v5
	s_delay_alu instid0(VALU_DEP_2) | instskip(NEXT) | instid1(VALU_DEP_2)
	v_cvt_u32_f32_e32 v3, v3
	v_mul_lo_u32 v7, s0, v5
	s_delay_alu instid0(VALU_DEP_2) | instskip(SKIP_1) | instid1(VALU_DEP_2)
	v_mul_hi_u32 v9, s0, v3
	v_mul_lo_u32 v11, s17, v3
	v_add_nc_u32_e32 v7, v9, v7
	v_mul_lo_u32 v9, s0, v3
	s_delay_alu instid0(VALU_DEP_2) | instskip(NEXT) | instid1(VALU_DEP_2)
	v_add_nc_u32_e32 v7, v7, v11
	v_mul_hi_u32 v11, v3, v9
	s_delay_alu instid0(VALU_DEP_2)
	v_mul_lo_u32 v13, v3, v7
	v_mul_hi_u32 v16, v3, v7
	v_mul_hi_u32 v17, v5, v9
	v_mul_lo_u32 v9, v5, v9
	v_mul_hi_u32 v18, v5, v7
	v_mul_lo_u32 v7, v5, v7
	v_add_co_u32 v11, vcc_lo, v11, v13
	v_add_co_ci_u32_e32 v13, vcc_lo, 0, v16, vcc_lo
	s_delay_alu instid0(VALU_DEP_2) | instskip(NEXT) | instid1(VALU_DEP_2)
	v_add_co_u32 v9, vcc_lo, v11, v9
	v_add_co_ci_u32_e32 v9, vcc_lo, v13, v17, vcc_lo
	v_add_co_ci_u32_e32 v11, vcc_lo, 0, v18, vcc_lo
	s_delay_alu instid0(VALU_DEP_2) | instskip(NEXT) | instid1(VALU_DEP_2)
	v_add_co_u32 v7, vcc_lo, v9, v7
	v_add_co_ci_u32_e32 v9, vcc_lo, 0, v11, vcc_lo
	s_delay_alu instid0(VALU_DEP_2) | instskip(NEXT) | instid1(VALU_DEP_2)
	v_add_co_u32 v3, vcc_lo, v3, v7
	v_add_co_ci_u32_e32 v5, vcc_lo, v5, v9, vcc_lo
	s_delay_alu instid0(VALU_DEP_2) | instskip(SKIP_1) | instid1(VALU_DEP_3)
	v_mul_hi_u32 v7, s0, v3
	v_mul_lo_u32 v11, s17, v3
	v_mul_lo_u32 v9, s0, v5
	s_delay_alu instid0(VALU_DEP_1) | instskip(SKIP_1) | instid1(VALU_DEP_2)
	v_add_nc_u32_e32 v7, v7, v9
	v_mul_lo_u32 v9, s0, v3
	v_add_nc_u32_e32 v7, v7, v11
	s_delay_alu instid0(VALU_DEP_2) | instskip(NEXT) | instid1(VALU_DEP_2)
	v_mul_hi_u32 v11, v3, v9
	v_mul_lo_u32 v13, v3, v7
	v_mul_hi_u32 v16, v3, v7
	v_mul_hi_u32 v17, v5, v9
	v_mul_lo_u32 v9, v5, v9
	v_mul_hi_u32 v18, v5, v7
	v_mul_lo_u32 v7, v5, v7
	v_add_co_u32 v11, vcc_lo, v11, v13
	v_add_co_ci_u32_e32 v13, vcc_lo, 0, v16, vcc_lo
	s_delay_alu instid0(VALU_DEP_2) | instskip(NEXT) | instid1(VALU_DEP_2)
	v_add_co_u32 v9, vcc_lo, v11, v9
	v_add_co_ci_u32_e32 v9, vcc_lo, v13, v17, vcc_lo
	v_add_co_ci_u32_e32 v11, vcc_lo, 0, v18, vcc_lo
	v_add_co_u32 v13, vcc_lo, v14, v21
	v_add_co_ci_u32_e32 v15, vcc_lo, v15, v21, vcc_lo
	s_delay_alu instid0(VALU_DEP_4) | instskip(NEXT) | instid1(VALU_DEP_4)
	v_add_co_u32 v7, vcc_lo, v9, v7
	v_add_co_ci_u32_e32 v9, vcc_lo, 0, v11, vcc_lo
	s_delay_alu instid0(VALU_DEP_4) | instskip(NEXT) | instid1(VALU_DEP_3)
	v_xor_b32_e32 v11, v13, v21
	v_add_co_u32 v3, vcc_lo, v3, v7
	s_delay_alu instid0(VALU_DEP_3) | instskip(SKIP_1) | instid1(VALU_DEP_3)
	v_add_co_ci_u32_e32 v5, vcc_lo, v5, v9, vcc_lo
	v_xor_b32_e32 v7, v15, v21
	v_mul_hi_u32 v9, v11, v3
	s_delay_alu instid0(VALU_DEP_3) | instskip(NEXT) | instid1(VALU_DEP_3)
	v_mad_u64_u32 v[15:16], null, v11, v5, 0
	v_mad_u64_u32 v[17:18], null, v7, v3, 0
	;; [unrolled: 1-line block ×3, first 2 shown]
	s_delay_alu instid0(VALU_DEP_3) | instskip(NEXT) | instid1(VALU_DEP_4)
	v_add_co_u32 v3, vcc_lo, v9, v15
	v_add_co_ci_u32_e32 v5, vcc_lo, 0, v16, vcc_lo
	s_delay_alu instid0(VALU_DEP_2) | instskip(NEXT) | instid1(VALU_DEP_2)
	v_add_co_u32 v3, vcc_lo, v3, v17
	v_add_co_ci_u32_e32 v3, vcc_lo, v5, v18, vcc_lo
	v_add_co_ci_u32_e32 v5, vcc_lo, 0, v20, vcc_lo
	s_delay_alu instid0(VALU_DEP_2) | instskip(NEXT) | instid1(VALU_DEP_2)
	v_add_co_u32 v3, vcc_lo, v3, v19
	v_add_co_ci_u32_e32 v5, vcc_lo, 0, v5, vcc_lo
	s_delay_alu instid0(VALU_DEP_2) | instskip(SKIP_1) | instid1(VALU_DEP_3)
	v_mul_lo_u32 v9, s23, v3
	v_mad_u64_u32 v[15:16], null, s22, v3, 0
	v_mul_lo_u32 v13, s22, v5
	s_delay_alu instid0(VALU_DEP_2) | instskip(NEXT) | instid1(VALU_DEP_2)
	v_sub_co_u32 v11, vcc_lo, v11, v15
	v_add3_u32 v9, v16, v13, v9
	s_delay_alu instid0(VALU_DEP_1) | instskip(NEXT) | instid1(VALU_DEP_1)
	v_sub_nc_u32_e32 v13, v7, v9
	v_subrev_co_ci_u32_e64 v13, s0, s23, v13, vcc_lo
	v_add_co_u32 v15, s0, v3, 2
	s_delay_alu instid0(VALU_DEP_1) | instskip(SKIP_3) | instid1(VALU_DEP_3)
	v_add_co_ci_u32_e64 v16, s0, 0, v5, s0
	v_sub_co_u32 v17, s0, v11, s22
	v_sub_co_ci_u32_e32 v7, vcc_lo, v7, v9, vcc_lo
	v_subrev_co_ci_u32_e64 v13, s0, 0, v13, s0
	v_cmp_le_u32_e32 vcc_lo, s22, v17
	s_delay_alu instid0(VALU_DEP_3) | instskip(SKIP_1) | instid1(VALU_DEP_4)
	v_cmp_eq_u32_e64 s0, s23, v7
	v_cndmask_b32_e64 v9, 0, -1, vcc_lo
	v_cmp_le_u32_e32 vcc_lo, s23, v13
	v_cndmask_b32_e64 v17, 0, -1, vcc_lo
	v_cmp_le_u32_e32 vcc_lo, s22, v11
	;; [unrolled: 2-line block ×3, first 2 shown]
	v_cndmask_b32_e64 v18, 0, -1, vcc_lo
	v_cmp_eq_u32_e32 vcc_lo, s23, v13
	s_delay_alu instid0(VALU_DEP_2) | instskip(SKIP_3) | instid1(VALU_DEP_3)
	v_cndmask_b32_e64 v7, v18, v11, s0
	v_cndmask_b32_e32 v9, v17, v9, vcc_lo
	v_add_co_u32 v13, vcc_lo, v3, 1
	v_add_co_ci_u32_e32 v17, vcc_lo, 0, v5, vcc_lo
	v_cmp_ne_u32_e32 vcc_lo, 0, v9
	s_delay_alu instid0(VALU_DEP_2) | instskip(NEXT) | instid1(VALU_DEP_4)
	v_cndmask_b32_e32 v9, v17, v16, vcc_lo
	v_cndmask_b32_e32 v11, v13, v15, vcc_lo
	v_cmp_ne_u32_e32 vcc_lo, 0, v7
	v_xor_b32_e32 v7, s20, v21
	s_delay_alu instid0(VALU_DEP_3) | instskip(SKIP_2) | instid1(VALU_DEP_3)
	v_cndmask_b32_e32 v3, v3, v11, vcc_lo
	v_cndmask_b32_e32 v5, v5, v9, vcc_lo
	v_xor_b32_e32 v9, s21, v21
	v_xor_b32_e32 v3, v3, v7
	s_delay_alu instid0(VALU_DEP_2) | instskip(NEXT) | instid1(VALU_DEP_2)
	v_xor_b32_e32 v5, v5, v9
	v_sub_co_u32 v16, vcc_lo, v3, v7
	s_delay_alu instid0(VALU_DEP_2)
	v_sub_co_ci_u32_e32 v17, vcc_lo, v5, v9, vcc_lo
.LBB84_42:                              ;   in Loop: Header=BB84_24 Depth=2
	s_and_not1_saveexec_b32 s0, s14
	s_cbranch_execz .LBB84_44
; %bb.43:                               ;   in Loop: Header=BB84_24 Depth=2
	v_cvt_f32_u32_e32 v3, s49
	s_sub_i32 s14, 0, s49
	v_mov_b32_e32 v17, v2
	s_delay_alu instid0(VALU_DEP_2) | instskip(SKIP_2) | instid1(VALU_DEP_1)
	v_rcp_iflag_f32_e32 v3, v3
	s_waitcnt_depctr 0xfff
	v_mul_f32_e32 v3, 0x4f7ffffe, v3
	v_cvt_u32_f32_e32 v3, v3
	s_delay_alu instid0(VALU_DEP_1) | instskip(NEXT) | instid1(VALU_DEP_1)
	v_mul_lo_u32 v5, s14, v3
	v_mul_hi_u32 v5, v3, v5
	s_delay_alu instid0(VALU_DEP_1) | instskip(NEXT) | instid1(VALU_DEP_1)
	v_add_nc_u32_e32 v3, v3, v5
	v_mul_hi_u32 v3, v14, v3
	s_delay_alu instid0(VALU_DEP_1) | instskip(SKIP_1) | instid1(VALU_DEP_2)
	v_mul_lo_u32 v5, v3, s49
	v_add_nc_u32_e32 v7, 1, v3
	v_sub_nc_u32_e32 v5, v14, v5
	s_delay_alu instid0(VALU_DEP_1) | instskip(SKIP_1) | instid1(VALU_DEP_4)
	v_cmp_le_u32_e32 vcc_lo, s49, v5
	v_subrev_nc_u32_e32 v9, s49, v5
	v_cndmask_b32_e32 v3, v3, v7, vcc_lo
	s_delay_alu instid0(VALU_DEP_1) | instskip(NEXT) | instid1(VALU_DEP_3)
	v_add_nc_u32_e32 v7, 1, v3
	v_cndmask_b32_e32 v5, v5, v9, vcc_lo
	s_delay_alu instid0(VALU_DEP_1) | instskip(NEXT) | instid1(VALU_DEP_3)
	v_cmp_le_u32_e32 vcc_lo, s49, v5
	v_cndmask_b32_e32 v16, v3, v7, vcc_lo
.LBB84_44:                              ;   in Loop: Header=BB84_24 Depth=2
	s_or_b32 exec_lo, exec_lo, s0
	s_add_u32 s20, s30, s18
	s_addc_u32 s21, s1, s19
	s_add_i32 s14, s16, 2
                                        ; implicit-def: $vgpr18_vgpr19
	s_delay_alu instid0(SALU_CYCLE_1)
	s_lshl_b64 s[18:19], s[14:15], 2
	s_mov_b32 s14, exec_lo
	s_add_u32 s22, s26, s18
	s_addc_u32 s23, s27, s19
	s_clause 0x1
	s_load_b32 s51, s[22:23], 0x0
	s_load_b32 s50, s[20:21], 0x0
	s_waitcnt lgkmcnt(0)
	s_ashr_i32 s0, s51, 31
	s_delay_alu instid0(SALU_CYCLE_1) | instskip(NEXT) | instid1(VALU_DEP_1)
	v_or_b32_e32 v3, s0, v17
	v_cmpx_ne_u64_e32 0, v[2:3]
	s_xor_b32 s14, exec_lo, s14
	s_cbranch_execz .LBB84_46
; %bb.45:                               ;   in Loop: Header=BB84_24 Depth=2
	s_add_u32 s22, s51, s0
	s_mov_b32 s20, s0
	s_mov_b32 s21, s0
	s_addc_u32 s23, s0, s0
	v_ashrrev_i32_e32 v23, 31, v17
	s_xor_b64 s[22:23], s[22:23], s[20:21]
	s_delay_alu instid0(SALU_CYCLE_1) | instskip(SKIP_3) | instid1(VALU_DEP_1)
	v_cvt_f32_u32_e32 v3, s22
	v_cvt_f32_u32_e32 v5, s23
	s_sub_u32 s0, 0, s22
	s_subb_u32 s17, 0, s23
	v_fmac_f32_e32 v3, 0x4f800000, v5
	s_delay_alu instid0(VALU_DEP_1) | instskip(SKIP_2) | instid1(VALU_DEP_1)
	v_rcp_f32_e32 v3, v3
	s_waitcnt_depctr 0xfff
	v_mul_f32_e32 v3, 0x5f7ffffc, v3
	v_mul_f32_e32 v5, 0x2f800000, v3
	s_delay_alu instid0(VALU_DEP_1) | instskip(NEXT) | instid1(VALU_DEP_1)
	v_trunc_f32_e32 v5, v5
	v_fmac_f32_e32 v3, 0xcf800000, v5
	v_cvt_u32_f32_e32 v5, v5
	s_delay_alu instid0(VALU_DEP_2) | instskip(NEXT) | instid1(VALU_DEP_2)
	v_cvt_u32_f32_e32 v3, v3
	v_mul_lo_u32 v7, s0, v5
	s_delay_alu instid0(VALU_DEP_2) | instskip(SKIP_1) | instid1(VALU_DEP_2)
	v_mul_hi_u32 v9, s0, v3
	v_mul_lo_u32 v11, s17, v3
	v_add_nc_u32_e32 v7, v9, v7
	v_mul_lo_u32 v9, s0, v3
	s_delay_alu instid0(VALU_DEP_2) | instskip(NEXT) | instid1(VALU_DEP_2)
	v_add_nc_u32_e32 v7, v7, v11
	v_mul_hi_u32 v11, v3, v9
	s_delay_alu instid0(VALU_DEP_2)
	v_mul_lo_u32 v13, v3, v7
	v_mul_hi_u32 v15, v3, v7
	v_mul_hi_u32 v18, v5, v9
	v_mul_lo_u32 v9, v5, v9
	v_mul_hi_u32 v19, v5, v7
	v_mul_lo_u32 v7, v5, v7
	v_add_co_u32 v11, vcc_lo, v11, v13
	v_add_co_ci_u32_e32 v13, vcc_lo, 0, v15, vcc_lo
	s_delay_alu instid0(VALU_DEP_2) | instskip(NEXT) | instid1(VALU_DEP_2)
	v_add_co_u32 v9, vcc_lo, v11, v9
	v_add_co_ci_u32_e32 v9, vcc_lo, v13, v18, vcc_lo
	v_add_co_ci_u32_e32 v11, vcc_lo, 0, v19, vcc_lo
	s_delay_alu instid0(VALU_DEP_2) | instskip(NEXT) | instid1(VALU_DEP_2)
	v_add_co_u32 v7, vcc_lo, v9, v7
	v_add_co_ci_u32_e32 v9, vcc_lo, 0, v11, vcc_lo
	s_delay_alu instid0(VALU_DEP_2) | instskip(NEXT) | instid1(VALU_DEP_2)
	v_add_co_u32 v3, vcc_lo, v3, v7
	v_add_co_ci_u32_e32 v5, vcc_lo, v5, v9, vcc_lo
	s_delay_alu instid0(VALU_DEP_2) | instskip(SKIP_1) | instid1(VALU_DEP_3)
	v_mul_hi_u32 v7, s0, v3
	v_mul_lo_u32 v11, s17, v3
	v_mul_lo_u32 v9, s0, v5
	s_delay_alu instid0(VALU_DEP_1) | instskip(SKIP_1) | instid1(VALU_DEP_2)
	v_add_nc_u32_e32 v7, v7, v9
	v_mul_lo_u32 v9, s0, v3
	v_add_nc_u32_e32 v7, v7, v11
	s_delay_alu instid0(VALU_DEP_2) | instskip(NEXT) | instid1(VALU_DEP_2)
	v_mul_hi_u32 v11, v3, v9
	v_mul_lo_u32 v13, v3, v7
	v_mul_hi_u32 v15, v3, v7
	v_mul_hi_u32 v18, v5, v9
	v_mul_lo_u32 v9, v5, v9
	v_mul_hi_u32 v19, v5, v7
	v_mul_lo_u32 v7, v5, v7
	v_add_co_u32 v11, vcc_lo, v11, v13
	v_add_co_ci_u32_e32 v13, vcc_lo, 0, v15, vcc_lo
	s_delay_alu instid0(VALU_DEP_2) | instskip(NEXT) | instid1(VALU_DEP_2)
	v_add_co_u32 v9, vcc_lo, v11, v9
	v_add_co_ci_u32_e32 v9, vcc_lo, v13, v18, vcc_lo
	v_add_co_ci_u32_e32 v11, vcc_lo, 0, v19, vcc_lo
	v_add_co_u32 v13, vcc_lo, v16, v23
	v_add_co_ci_u32_e32 v15, vcc_lo, v17, v23, vcc_lo
	s_delay_alu instid0(VALU_DEP_4) | instskip(NEXT) | instid1(VALU_DEP_4)
	v_add_co_u32 v7, vcc_lo, v9, v7
	v_add_co_ci_u32_e32 v9, vcc_lo, 0, v11, vcc_lo
	s_delay_alu instid0(VALU_DEP_4) | instskip(NEXT) | instid1(VALU_DEP_3)
	v_xor_b32_e32 v11, v13, v23
	v_add_co_u32 v3, vcc_lo, v3, v7
	s_delay_alu instid0(VALU_DEP_3) | instskip(SKIP_1) | instid1(VALU_DEP_3)
	v_add_co_ci_u32_e32 v5, vcc_lo, v5, v9, vcc_lo
	v_xor_b32_e32 v7, v15, v23
	v_mul_hi_u32 v9, v11, v3
	s_delay_alu instid0(VALU_DEP_3) | instskip(NEXT) | instid1(VALU_DEP_3)
	v_mad_u64_u32 v[17:18], null, v11, v5, 0
	v_mad_u64_u32 v[19:20], null, v7, v3, 0
	;; [unrolled: 1-line block ×3, first 2 shown]
	s_delay_alu instid0(VALU_DEP_3) | instskip(NEXT) | instid1(VALU_DEP_4)
	v_add_co_u32 v3, vcc_lo, v9, v17
	v_add_co_ci_u32_e32 v5, vcc_lo, 0, v18, vcc_lo
	s_delay_alu instid0(VALU_DEP_2) | instskip(NEXT) | instid1(VALU_DEP_2)
	v_add_co_u32 v3, vcc_lo, v3, v19
	v_add_co_ci_u32_e32 v3, vcc_lo, v5, v20, vcc_lo
	v_add_co_ci_u32_e32 v5, vcc_lo, 0, v22, vcc_lo
	s_delay_alu instid0(VALU_DEP_2) | instskip(NEXT) | instid1(VALU_DEP_2)
	v_add_co_u32 v3, vcc_lo, v3, v21
	v_add_co_ci_u32_e32 v5, vcc_lo, 0, v5, vcc_lo
	s_delay_alu instid0(VALU_DEP_2) | instskip(SKIP_1) | instid1(VALU_DEP_3)
	v_mul_lo_u32 v9, s23, v3
	v_mad_u64_u32 v[17:18], null, s22, v3, 0
	v_mul_lo_u32 v13, s22, v5
	s_delay_alu instid0(VALU_DEP_2) | instskip(NEXT) | instid1(VALU_DEP_2)
	v_sub_co_u32 v11, vcc_lo, v11, v17
	v_add3_u32 v9, v18, v13, v9
	s_delay_alu instid0(VALU_DEP_1) | instskip(NEXT) | instid1(VALU_DEP_1)
	v_sub_nc_u32_e32 v13, v7, v9
	v_subrev_co_ci_u32_e64 v13, s0, s23, v13, vcc_lo
	v_add_co_u32 v15, s0, v3, 2
	s_delay_alu instid0(VALU_DEP_1) | instskip(SKIP_3) | instid1(VALU_DEP_3)
	v_add_co_ci_u32_e64 v17, s0, 0, v5, s0
	v_sub_co_u32 v18, s0, v11, s22
	v_sub_co_ci_u32_e32 v7, vcc_lo, v7, v9, vcc_lo
	v_subrev_co_ci_u32_e64 v13, s0, 0, v13, s0
	v_cmp_le_u32_e32 vcc_lo, s22, v18
	s_delay_alu instid0(VALU_DEP_3) | instskip(SKIP_1) | instid1(VALU_DEP_4)
	v_cmp_eq_u32_e64 s0, s23, v7
	v_cndmask_b32_e64 v9, 0, -1, vcc_lo
	v_cmp_le_u32_e32 vcc_lo, s23, v13
	v_cndmask_b32_e64 v18, 0, -1, vcc_lo
	v_cmp_le_u32_e32 vcc_lo, s22, v11
	v_cndmask_b32_e64 v11, 0, -1, vcc_lo
	v_cmp_le_u32_e32 vcc_lo, s23, v7
	v_cndmask_b32_e64 v19, 0, -1, vcc_lo
	v_cmp_eq_u32_e32 vcc_lo, s23, v13
	s_delay_alu instid0(VALU_DEP_2) | instskip(SKIP_3) | instid1(VALU_DEP_3)
	v_cndmask_b32_e64 v7, v19, v11, s0
	v_cndmask_b32_e32 v9, v18, v9, vcc_lo
	v_add_co_u32 v13, vcc_lo, v3, 1
	v_add_co_ci_u32_e32 v18, vcc_lo, 0, v5, vcc_lo
	v_cmp_ne_u32_e32 vcc_lo, 0, v9
	s_delay_alu instid0(VALU_DEP_2) | instskip(NEXT) | instid1(VALU_DEP_4)
	v_cndmask_b32_e32 v9, v18, v17, vcc_lo
	v_cndmask_b32_e32 v11, v13, v15, vcc_lo
	v_cmp_ne_u32_e32 vcc_lo, 0, v7
	v_xor_b32_e32 v7, s20, v23
	s_delay_alu instid0(VALU_DEP_3) | instskip(SKIP_2) | instid1(VALU_DEP_3)
	v_cndmask_b32_e32 v3, v3, v11, vcc_lo
	v_cndmask_b32_e32 v5, v5, v9, vcc_lo
	v_xor_b32_e32 v9, s21, v23
	v_xor_b32_e32 v3, v3, v7
	s_delay_alu instid0(VALU_DEP_2) | instskip(NEXT) | instid1(VALU_DEP_2)
	v_xor_b32_e32 v5, v5, v9
	v_sub_co_u32 v18, vcc_lo, v3, v7
	s_delay_alu instid0(VALU_DEP_2)
	v_sub_co_ci_u32_e32 v19, vcc_lo, v5, v9, vcc_lo
.LBB84_46:                              ;   in Loop: Header=BB84_24 Depth=2
	s_and_not1_saveexec_b32 s0, s14
	s_cbranch_execz .LBB84_48
; %bb.47:                               ;   in Loop: Header=BB84_24 Depth=2
	v_cvt_f32_u32_e32 v3, s51
	s_sub_i32 s14, 0, s51
	v_mov_b32_e32 v19, v2
	s_delay_alu instid0(VALU_DEP_2) | instskip(SKIP_2) | instid1(VALU_DEP_1)
	v_rcp_iflag_f32_e32 v3, v3
	s_waitcnt_depctr 0xfff
	v_mul_f32_e32 v3, 0x4f7ffffe, v3
	v_cvt_u32_f32_e32 v3, v3
	s_delay_alu instid0(VALU_DEP_1) | instskip(NEXT) | instid1(VALU_DEP_1)
	v_mul_lo_u32 v5, s14, v3
	v_mul_hi_u32 v5, v3, v5
	s_delay_alu instid0(VALU_DEP_1) | instskip(NEXT) | instid1(VALU_DEP_1)
	v_add_nc_u32_e32 v3, v3, v5
	v_mul_hi_u32 v3, v16, v3
	s_delay_alu instid0(VALU_DEP_1) | instskip(SKIP_1) | instid1(VALU_DEP_2)
	v_mul_lo_u32 v5, v3, s51
	v_add_nc_u32_e32 v7, 1, v3
	v_sub_nc_u32_e32 v5, v16, v5
	s_delay_alu instid0(VALU_DEP_1) | instskip(SKIP_1) | instid1(VALU_DEP_4)
	v_cmp_le_u32_e32 vcc_lo, s51, v5
	v_subrev_nc_u32_e32 v9, s51, v5
	v_cndmask_b32_e32 v3, v3, v7, vcc_lo
	s_delay_alu instid0(VALU_DEP_1) | instskip(NEXT) | instid1(VALU_DEP_3)
	v_add_nc_u32_e32 v7, 1, v3
	v_cndmask_b32_e32 v5, v5, v9, vcc_lo
	s_delay_alu instid0(VALU_DEP_1) | instskip(NEXT) | instid1(VALU_DEP_3)
	v_cmp_le_u32_e32 vcc_lo, s51, v5
	v_cndmask_b32_e32 v18, v3, v7, vcc_lo
.LBB84_48:                              ;   in Loop: Header=BB84_24 Depth=2
	s_or_b32 exec_lo, exec_lo, s0
	s_add_u32 s20, s30, s18
	s_addc_u32 s21, s1, s19
	s_add_i32 s14, s16, 1
	s_mov_b32 s17, exec_lo
	s_lshl_b64 s[18:19], s[14:15], 2
                                        ; implicit-def: $vgpr20_vgpr21
	s_delay_alu instid0(SALU_CYCLE_1)
	s_add_u32 s22, s26, s18
	s_addc_u32 s23, s27, s19
	s_clause 0x1
	s_load_b32 s52, s[22:23], 0x0
	s_load_b32 s14, s[20:21], 0x0
	s_waitcnt lgkmcnt(0)
	s_ashr_i32 s0, s52, 31
	s_delay_alu instid0(SALU_CYCLE_1) | instskip(NEXT) | instid1(VALU_DEP_1)
	v_or_b32_e32 v3, s0, v19
	v_cmpx_ne_u64_e32 0, v[2:3]
	s_xor_b32 s17, exec_lo, s17
	s_cbranch_execz .LBB84_50
; %bb.49:                               ;   in Loop: Header=BB84_24 Depth=2
	s_add_u32 s22, s52, s0
	s_mov_b32 s20, s0
	s_mov_b32 s21, s0
	s_addc_u32 s23, s0, s0
	s_delay_alu instid0(SALU_CYCLE_1) | instskip(NEXT) | instid1(SALU_CYCLE_1)
	s_xor_b64 s[22:23], s[22:23], s[20:21]
	v_cvt_f32_u32_e32 v3, s22
	v_cvt_f32_u32_e32 v5, s23
	s_sub_u32 s0, 0, s22
	s_subb_u32 s53, 0, s23
	s_delay_alu instid0(VALU_DEP_1) | instskip(NEXT) | instid1(VALU_DEP_1)
	v_fmac_f32_e32 v3, 0x4f800000, v5
	v_rcp_f32_e32 v3, v3
	s_waitcnt_depctr 0xfff
	v_mul_f32_e32 v3, 0x5f7ffffc, v3
	s_delay_alu instid0(VALU_DEP_1) | instskip(NEXT) | instid1(VALU_DEP_1)
	v_mul_f32_e32 v5, 0x2f800000, v3
	v_trunc_f32_e32 v5, v5
	s_delay_alu instid0(VALU_DEP_1) | instskip(SKIP_1) | instid1(VALU_DEP_2)
	v_fmac_f32_e32 v3, 0xcf800000, v5
	v_cvt_u32_f32_e32 v5, v5
	v_cvt_u32_f32_e32 v3, v3
	s_delay_alu instid0(VALU_DEP_2) | instskip(NEXT) | instid1(VALU_DEP_2)
	v_mul_lo_u32 v7, s0, v5
	v_mul_hi_u32 v9, s0, v3
	v_mul_lo_u32 v11, s53, v3
	s_delay_alu instid0(VALU_DEP_2) | instskip(SKIP_1) | instid1(VALU_DEP_2)
	v_add_nc_u32_e32 v7, v9, v7
	v_mul_lo_u32 v9, s0, v3
	v_add_nc_u32_e32 v7, v7, v11
	s_delay_alu instid0(VALU_DEP_2) | instskip(NEXT) | instid1(VALU_DEP_2)
	v_mul_hi_u32 v11, v3, v9
	v_mul_lo_u32 v13, v3, v7
	v_mul_hi_u32 v15, v3, v7
	v_mul_hi_u32 v17, v5, v9
	v_mul_lo_u32 v9, v5, v9
	v_mul_hi_u32 v20, v5, v7
	v_mul_lo_u32 v7, v5, v7
	v_add_co_u32 v11, vcc_lo, v11, v13
	v_add_co_ci_u32_e32 v13, vcc_lo, 0, v15, vcc_lo
	s_delay_alu instid0(VALU_DEP_2) | instskip(NEXT) | instid1(VALU_DEP_2)
	v_add_co_u32 v9, vcc_lo, v11, v9
	v_add_co_ci_u32_e32 v9, vcc_lo, v13, v17, vcc_lo
	v_add_co_ci_u32_e32 v11, vcc_lo, 0, v20, vcc_lo
	v_ashrrev_i32_e32 v17, 31, v19
	s_delay_alu instid0(VALU_DEP_3) | instskip(NEXT) | instid1(VALU_DEP_3)
	v_add_co_u32 v7, vcc_lo, v9, v7
	v_add_co_ci_u32_e32 v9, vcc_lo, 0, v11, vcc_lo
	s_delay_alu instid0(VALU_DEP_2) | instskip(NEXT) | instid1(VALU_DEP_2)
	v_add_co_u32 v3, vcc_lo, v3, v7
	v_add_co_ci_u32_e32 v5, vcc_lo, v5, v9, vcc_lo
	s_delay_alu instid0(VALU_DEP_2) | instskip(SKIP_1) | instid1(VALU_DEP_3)
	v_mul_hi_u32 v7, s0, v3
	v_mul_lo_u32 v11, s53, v3
	v_mul_lo_u32 v9, s0, v5
	s_delay_alu instid0(VALU_DEP_1) | instskip(SKIP_1) | instid1(VALU_DEP_2)
	v_add_nc_u32_e32 v7, v7, v9
	v_mul_lo_u32 v9, s0, v3
	v_add_nc_u32_e32 v7, v7, v11
	s_delay_alu instid0(VALU_DEP_2) | instskip(NEXT) | instid1(VALU_DEP_2)
	v_mul_hi_u32 v11, v3, v9
	v_mul_lo_u32 v13, v3, v7
	v_mul_hi_u32 v15, v3, v7
	v_mul_hi_u32 v20, v5, v9
	v_mul_lo_u32 v9, v5, v9
	v_mul_hi_u32 v21, v5, v7
	v_mul_lo_u32 v7, v5, v7
	v_add_co_u32 v11, vcc_lo, v11, v13
	v_add_co_ci_u32_e32 v13, vcc_lo, 0, v15, vcc_lo
	s_delay_alu instid0(VALU_DEP_2) | instskip(NEXT) | instid1(VALU_DEP_2)
	v_add_co_u32 v9, vcc_lo, v11, v9
	v_add_co_ci_u32_e32 v9, vcc_lo, v13, v20, vcc_lo
	v_add_co_ci_u32_e32 v11, vcc_lo, 0, v21, vcc_lo
	v_add_co_u32 v13, vcc_lo, v18, v17
	v_add_co_ci_u32_e32 v15, vcc_lo, v19, v17, vcc_lo
	s_delay_alu instid0(VALU_DEP_4) | instskip(NEXT) | instid1(VALU_DEP_4)
	v_add_co_u32 v7, vcc_lo, v9, v7
	v_add_co_ci_u32_e32 v9, vcc_lo, 0, v11, vcc_lo
	s_delay_alu instid0(VALU_DEP_4) | instskip(NEXT) | instid1(VALU_DEP_3)
	v_xor_b32_e32 v11, v13, v17
	v_add_co_u32 v3, vcc_lo, v3, v7
	s_delay_alu instid0(VALU_DEP_3) | instskip(SKIP_1) | instid1(VALU_DEP_3)
	v_add_co_ci_u32_e32 v5, vcc_lo, v5, v9, vcc_lo
	v_xor_b32_e32 v7, v15, v17
	v_mul_hi_u32 v9, v11, v3
	s_delay_alu instid0(VALU_DEP_3) | instskip(NEXT) | instid1(VALU_DEP_3)
	v_mad_u64_u32 v[19:20], null, v11, v5, 0
	v_mad_u64_u32 v[21:22], null, v7, v3, 0
	;; [unrolled: 1-line block ×3, first 2 shown]
	s_delay_alu instid0(VALU_DEP_3) | instskip(NEXT) | instid1(VALU_DEP_4)
	v_add_co_u32 v3, vcc_lo, v9, v19
	v_add_co_ci_u32_e32 v5, vcc_lo, 0, v20, vcc_lo
	s_delay_alu instid0(VALU_DEP_2) | instskip(NEXT) | instid1(VALU_DEP_2)
	v_add_co_u32 v3, vcc_lo, v3, v21
	v_add_co_ci_u32_e32 v3, vcc_lo, v5, v22, vcc_lo
	v_add_co_ci_u32_e32 v5, vcc_lo, 0, v28, vcc_lo
	s_delay_alu instid0(VALU_DEP_2) | instskip(NEXT) | instid1(VALU_DEP_2)
	v_add_co_u32 v3, vcc_lo, v3, v27
	v_add_co_ci_u32_e32 v5, vcc_lo, 0, v5, vcc_lo
	s_delay_alu instid0(VALU_DEP_2) | instskip(SKIP_1) | instid1(VALU_DEP_3)
	v_mul_lo_u32 v9, s23, v3
	v_mad_u64_u32 v[19:20], null, s22, v3, 0
	v_mul_lo_u32 v13, s22, v5
	s_delay_alu instid0(VALU_DEP_2) | instskip(NEXT) | instid1(VALU_DEP_2)
	v_sub_co_u32 v11, vcc_lo, v11, v19
	v_add3_u32 v9, v20, v13, v9
	s_delay_alu instid0(VALU_DEP_1) | instskip(NEXT) | instid1(VALU_DEP_1)
	v_sub_nc_u32_e32 v13, v7, v9
	v_subrev_co_ci_u32_e64 v13, s0, s23, v13, vcc_lo
	v_add_co_u32 v15, s0, v3, 2
	s_delay_alu instid0(VALU_DEP_1) | instskip(SKIP_3) | instid1(VALU_DEP_3)
	v_add_co_ci_u32_e64 v19, s0, 0, v5, s0
	v_sub_co_u32 v20, s0, v11, s22
	v_sub_co_ci_u32_e32 v7, vcc_lo, v7, v9, vcc_lo
	v_subrev_co_ci_u32_e64 v13, s0, 0, v13, s0
	v_cmp_le_u32_e32 vcc_lo, s22, v20
	s_delay_alu instid0(VALU_DEP_3) | instskip(SKIP_1) | instid1(VALU_DEP_4)
	v_cmp_eq_u32_e64 s0, s23, v7
	v_cndmask_b32_e64 v9, 0, -1, vcc_lo
	v_cmp_le_u32_e32 vcc_lo, s23, v13
	v_cndmask_b32_e64 v20, 0, -1, vcc_lo
	v_cmp_le_u32_e32 vcc_lo, s22, v11
	;; [unrolled: 2-line block ×3, first 2 shown]
	v_cndmask_b32_e64 v21, 0, -1, vcc_lo
	v_cmp_eq_u32_e32 vcc_lo, s23, v13
	s_delay_alu instid0(VALU_DEP_2) | instskip(SKIP_3) | instid1(VALU_DEP_3)
	v_cndmask_b32_e64 v7, v21, v11, s0
	v_cndmask_b32_e32 v9, v20, v9, vcc_lo
	v_add_co_u32 v13, vcc_lo, v3, 1
	v_add_co_ci_u32_e32 v20, vcc_lo, 0, v5, vcc_lo
	v_cmp_ne_u32_e32 vcc_lo, 0, v9
	s_delay_alu instid0(VALU_DEP_2) | instskip(NEXT) | instid1(VALU_DEP_4)
	v_cndmask_b32_e32 v9, v20, v19, vcc_lo
	v_cndmask_b32_e32 v11, v13, v15, vcc_lo
	v_cmp_ne_u32_e32 vcc_lo, 0, v7
	v_xor_b32_e32 v7, s20, v17
	s_delay_alu instid0(VALU_DEP_3) | instskip(SKIP_2) | instid1(VALU_DEP_3)
	v_cndmask_b32_e32 v3, v3, v11, vcc_lo
	v_cndmask_b32_e32 v5, v5, v9, vcc_lo
	v_xor_b32_e32 v9, s21, v17
	v_xor_b32_e32 v3, v3, v7
	s_delay_alu instid0(VALU_DEP_2) | instskip(NEXT) | instid1(VALU_DEP_2)
	v_xor_b32_e32 v5, v5, v9
	v_sub_co_u32 v20, vcc_lo, v3, v7
	s_delay_alu instid0(VALU_DEP_2)
	v_sub_co_ci_u32_e32 v21, vcc_lo, v5, v9, vcc_lo
.LBB84_50:                              ;   in Loop: Header=BB84_24 Depth=2
	s_and_not1_saveexec_b32 s0, s17
	s_cbranch_execz .LBB84_52
; %bb.51:                               ;   in Loop: Header=BB84_24 Depth=2
	v_cvt_f32_u32_e32 v3, s52
	s_sub_i32 s17, 0, s52
	v_mov_b32_e32 v21, v2
	s_delay_alu instid0(VALU_DEP_2) | instskip(SKIP_2) | instid1(VALU_DEP_1)
	v_rcp_iflag_f32_e32 v3, v3
	s_waitcnt_depctr 0xfff
	v_mul_f32_e32 v3, 0x4f7ffffe, v3
	v_cvt_u32_f32_e32 v3, v3
	s_delay_alu instid0(VALU_DEP_1) | instskip(NEXT) | instid1(VALU_DEP_1)
	v_mul_lo_u32 v5, s17, v3
	v_mul_hi_u32 v5, v3, v5
	s_delay_alu instid0(VALU_DEP_1) | instskip(NEXT) | instid1(VALU_DEP_1)
	v_add_nc_u32_e32 v3, v3, v5
	v_mul_hi_u32 v3, v18, v3
	s_delay_alu instid0(VALU_DEP_1) | instskip(SKIP_1) | instid1(VALU_DEP_2)
	v_mul_lo_u32 v5, v3, s52
	v_add_nc_u32_e32 v7, 1, v3
	v_sub_nc_u32_e32 v5, v18, v5
	s_delay_alu instid0(VALU_DEP_1) | instskip(SKIP_1) | instid1(VALU_DEP_4)
	v_cmp_le_u32_e32 vcc_lo, s52, v5
	v_subrev_nc_u32_e32 v9, s52, v5
	v_cndmask_b32_e32 v3, v3, v7, vcc_lo
	s_delay_alu instid0(VALU_DEP_1) | instskip(NEXT) | instid1(VALU_DEP_3)
	v_add_nc_u32_e32 v7, 1, v3
	v_cndmask_b32_e32 v5, v5, v9, vcc_lo
	s_delay_alu instid0(VALU_DEP_1) | instskip(NEXT) | instid1(VALU_DEP_3)
	v_cmp_le_u32_e32 vcc_lo, s52, v5
	v_cndmask_b32_e32 v20, v3, v7, vcc_lo
.LBB84_52:                              ;   in Loop: Header=BB84_24 Depth=2
	s_or_b32 exec_lo, exec_lo, s0
	s_mov_b32 s17, s15
	s_add_u32 s20, s30, s18
	s_addc_u32 s21, s1, s19
	s_lshl_b64 s[18:19], s[16:17], 2
                                        ; implicit-def: $vgpr22_vgpr23
	s_delay_alu instid0(SALU_CYCLE_1)
	s_add_u32 s22, s26, s18
	s_addc_u32 s23, s27, s19
	s_clause 0x1
	s_load_b32 s53, s[22:23], 0x0
	s_load_b32 s17, s[20:21], 0x0
	s_mov_b32 s20, exec_lo
	s_waitcnt lgkmcnt(0)
	s_ashr_i32 s0, s53, 31
	s_delay_alu instid0(SALU_CYCLE_1) | instskip(NEXT) | instid1(VALU_DEP_1)
	v_or_b32_e32 v3, s0, v21
	v_cmpx_ne_u64_e32 0, v[2:3]
	s_xor_b32 s54, exec_lo, s20
	s_cbranch_execz .LBB84_54
; %bb.53:                               ;   in Loop: Header=BB84_24 Depth=2
	s_add_u32 s22, s53, s0
	s_mov_b32 s20, s0
	s_mov_b32 s21, s0
	s_addc_u32 s23, s0, s0
	s_delay_alu instid0(SALU_CYCLE_1) | instskip(NEXT) | instid1(SALU_CYCLE_1)
	s_xor_b64 s[22:23], s[22:23], s[20:21]
	v_cvt_f32_u32_e32 v3, s22
	v_cvt_f32_u32_e32 v5, s23
	s_sub_u32 s0, 0, s22
	s_subb_u32 s55, 0, s23
	s_delay_alu instid0(VALU_DEP_1) | instskip(NEXT) | instid1(VALU_DEP_1)
	v_fmac_f32_e32 v3, 0x4f800000, v5
	v_rcp_f32_e32 v3, v3
	s_waitcnt_depctr 0xfff
	v_mul_f32_e32 v3, 0x5f7ffffc, v3
	s_delay_alu instid0(VALU_DEP_1) | instskip(NEXT) | instid1(VALU_DEP_1)
	v_mul_f32_e32 v5, 0x2f800000, v3
	v_trunc_f32_e32 v5, v5
	s_delay_alu instid0(VALU_DEP_1) | instskip(SKIP_1) | instid1(VALU_DEP_2)
	v_fmac_f32_e32 v3, 0xcf800000, v5
	v_cvt_u32_f32_e32 v5, v5
	v_cvt_u32_f32_e32 v3, v3
	s_delay_alu instid0(VALU_DEP_2) | instskip(NEXT) | instid1(VALU_DEP_2)
	v_mul_lo_u32 v7, s0, v5
	v_mul_hi_u32 v9, s0, v3
	v_mul_lo_u32 v11, s55, v3
	s_delay_alu instid0(VALU_DEP_2) | instskip(SKIP_1) | instid1(VALU_DEP_2)
	v_add_nc_u32_e32 v7, v9, v7
	v_mul_lo_u32 v9, s0, v3
	v_add_nc_u32_e32 v7, v7, v11
	s_delay_alu instid0(VALU_DEP_2) | instskip(NEXT) | instid1(VALU_DEP_2)
	v_mul_hi_u32 v11, v3, v9
	v_mul_lo_u32 v13, v3, v7
	v_mul_hi_u32 v15, v3, v7
	v_mul_hi_u32 v17, v5, v9
	v_mul_lo_u32 v9, v5, v9
	v_mul_hi_u32 v19, v5, v7
	v_mul_lo_u32 v7, v5, v7
	v_add_co_u32 v11, vcc_lo, v11, v13
	v_add_co_ci_u32_e32 v13, vcc_lo, 0, v15, vcc_lo
	s_delay_alu instid0(VALU_DEP_2) | instskip(NEXT) | instid1(VALU_DEP_2)
	v_add_co_u32 v9, vcc_lo, v11, v9
	v_add_co_ci_u32_e32 v9, vcc_lo, v13, v17, vcc_lo
	v_add_co_ci_u32_e32 v11, vcc_lo, 0, v19, vcc_lo
	v_ashrrev_i32_e32 v17, 31, v21
	s_delay_alu instid0(VALU_DEP_3) | instskip(NEXT) | instid1(VALU_DEP_3)
	v_add_co_u32 v7, vcc_lo, v9, v7
	v_add_co_ci_u32_e32 v9, vcc_lo, 0, v11, vcc_lo
	s_delay_alu instid0(VALU_DEP_2) | instskip(NEXT) | instid1(VALU_DEP_2)
	v_add_co_u32 v3, vcc_lo, v3, v7
	v_add_co_ci_u32_e32 v5, vcc_lo, v5, v9, vcc_lo
	s_delay_alu instid0(VALU_DEP_2) | instskip(SKIP_1) | instid1(VALU_DEP_3)
	v_mul_hi_u32 v7, s0, v3
	v_mul_lo_u32 v11, s55, v3
	v_mul_lo_u32 v9, s0, v5
	s_delay_alu instid0(VALU_DEP_1) | instskip(SKIP_1) | instid1(VALU_DEP_2)
	v_add_nc_u32_e32 v7, v7, v9
	v_mul_lo_u32 v9, s0, v3
	v_add_nc_u32_e32 v7, v7, v11
	s_delay_alu instid0(VALU_DEP_2) | instskip(NEXT) | instid1(VALU_DEP_2)
	v_mul_hi_u32 v11, v3, v9
	v_mul_lo_u32 v13, v3, v7
	v_mul_hi_u32 v15, v3, v7
	v_mul_hi_u32 v19, v5, v9
	v_mul_lo_u32 v9, v5, v9
	v_mul_hi_u32 v22, v5, v7
	v_mul_lo_u32 v7, v5, v7
	v_add_co_u32 v11, vcc_lo, v11, v13
	v_add_co_ci_u32_e32 v13, vcc_lo, 0, v15, vcc_lo
	s_delay_alu instid0(VALU_DEP_2) | instskip(NEXT) | instid1(VALU_DEP_2)
	v_add_co_u32 v9, vcc_lo, v11, v9
	v_add_co_ci_u32_e32 v9, vcc_lo, v13, v19, vcc_lo
	v_add_co_ci_u32_e32 v11, vcc_lo, 0, v22, vcc_lo
	v_add_co_u32 v13, vcc_lo, v20, v17
	v_add_co_ci_u32_e32 v15, vcc_lo, v21, v17, vcc_lo
	s_delay_alu instid0(VALU_DEP_4) | instskip(NEXT) | instid1(VALU_DEP_4)
	v_add_co_u32 v7, vcc_lo, v9, v7
	v_add_co_ci_u32_e32 v9, vcc_lo, 0, v11, vcc_lo
	s_delay_alu instid0(VALU_DEP_4) | instskip(NEXT) | instid1(VALU_DEP_3)
	v_xor_b32_e32 v11, v13, v17
	v_add_co_u32 v3, vcc_lo, v3, v7
	s_delay_alu instid0(VALU_DEP_3) | instskip(SKIP_1) | instid1(VALU_DEP_3)
	v_add_co_ci_u32_e32 v5, vcc_lo, v5, v9, vcc_lo
	v_xor_b32_e32 v7, v15, v17
	v_mul_hi_u32 v9, v11, v3
	s_delay_alu instid0(VALU_DEP_3) | instskip(NEXT) | instid1(VALU_DEP_3)
	v_mad_u64_u32 v[21:22], null, v11, v5, 0
	v_mad_u64_u32 v[27:28], null, v7, v3, 0
	;; [unrolled: 1-line block ×3, first 2 shown]
	s_delay_alu instid0(VALU_DEP_3) | instskip(NEXT) | instid1(VALU_DEP_4)
	v_add_co_u32 v3, vcc_lo, v9, v21
	v_add_co_ci_u32_e32 v5, vcc_lo, 0, v22, vcc_lo
	s_delay_alu instid0(VALU_DEP_2) | instskip(NEXT) | instid1(VALU_DEP_2)
	v_add_co_u32 v3, vcc_lo, v3, v27
	v_add_co_ci_u32_e32 v3, vcc_lo, v5, v28, vcc_lo
	v_add_co_ci_u32_e32 v5, vcc_lo, 0, v30, vcc_lo
	s_delay_alu instid0(VALU_DEP_2) | instskip(NEXT) | instid1(VALU_DEP_2)
	v_add_co_u32 v3, vcc_lo, v3, v29
	v_add_co_ci_u32_e32 v5, vcc_lo, 0, v5, vcc_lo
	s_delay_alu instid0(VALU_DEP_2) | instskip(SKIP_1) | instid1(VALU_DEP_3)
	v_mul_lo_u32 v9, s23, v3
	v_mad_u64_u32 v[21:22], null, s22, v3, 0
	v_mul_lo_u32 v13, s22, v5
	s_delay_alu instid0(VALU_DEP_2) | instskip(NEXT) | instid1(VALU_DEP_2)
	v_sub_co_u32 v11, vcc_lo, v11, v21
	v_add3_u32 v9, v22, v13, v9
	s_delay_alu instid0(VALU_DEP_1) | instskip(NEXT) | instid1(VALU_DEP_1)
	v_sub_nc_u32_e32 v13, v7, v9
	v_subrev_co_ci_u32_e64 v13, s0, s23, v13, vcc_lo
	v_add_co_u32 v15, s0, v3, 2
	s_delay_alu instid0(VALU_DEP_1) | instskip(SKIP_3) | instid1(VALU_DEP_3)
	v_add_co_ci_u32_e64 v19, s0, 0, v5, s0
	v_sub_co_u32 v21, s0, v11, s22
	v_sub_co_ci_u32_e32 v7, vcc_lo, v7, v9, vcc_lo
	v_subrev_co_ci_u32_e64 v13, s0, 0, v13, s0
	v_cmp_le_u32_e32 vcc_lo, s22, v21
	s_delay_alu instid0(VALU_DEP_3) | instskip(SKIP_1) | instid1(VALU_DEP_4)
	v_cmp_eq_u32_e64 s0, s23, v7
	v_cndmask_b32_e64 v9, 0, -1, vcc_lo
	v_cmp_le_u32_e32 vcc_lo, s23, v13
	v_cndmask_b32_e64 v21, 0, -1, vcc_lo
	v_cmp_le_u32_e32 vcc_lo, s22, v11
	;; [unrolled: 2-line block ×3, first 2 shown]
	v_cndmask_b32_e64 v22, 0, -1, vcc_lo
	v_cmp_eq_u32_e32 vcc_lo, s23, v13
	s_delay_alu instid0(VALU_DEP_2) | instskip(SKIP_3) | instid1(VALU_DEP_3)
	v_cndmask_b32_e64 v7, v22, v11, s0
	v_cndmask_b32_e32 v9, v21, v9, vcc_lo
	v_add_co_u32 v13, vcc_lo, v3, 1
	v_add_co_ci_u32_e32 v21, vcc_lo, 0, v5, vcc_lo
	v_cmp_ne_u32_e32 vcc_lo, 0, v9
	s_delay_alu instid0(VALU_DEP_2) | instskip(NEXT) | instid1(VALU_DEP_4)
	v_cndmask_b32_e32 v9, v21, v19, vcc_lo
	v_cndmask_b32_e32 v11, v13, v15, vcc_lo
	v_cmp_ne_u32_e32 vcc_lo, 0, v7
	v_xor_b32_e32 v7, s20, v17
	s_delay_alu instid0(VALU_DEP_3) | instskip(SKIP_2) | instid1(VALU_DEP_3)
	v_cndmask_b32_e32 v3, v3, v11, vcc_lo
	v_cndmask_b32_e32 v5, v5, v9, vcc_lo
	v_xor_b32_e32 v9, s21, v17
	v_xor_b32_e32 v3, v3, v7
	s_delay_alu instid0(VALU_DEP_2) | instskip(NEXT) | instid1(VALU_DEP_2)
	v_xor_b32_e32 v5, v5, v9
	v_sub_co_u32 v22, vcc_lo, v3, v7
	s_delay_alu instid0(VALU_DEP_2)
	v_sub_co_ci_u32_e32 v23, vcc_lo, v5, v9, vcc_lo
.LBB84_54:                              ;   in Loop: Header=BB84_24 Depth=2
	s_and_not1_saveexec_b32 s0, s54
	s_cbranch_execz .LBB84_56
; %bb.55:                               ;   in Loop: Header=BB84_24 Depth=2
	v_cvt_f32_u32_e32 v3, s53
	s_sub_i32 s20, 0, s53
	v_mov_b32_e32 v23, v2
	s_delay_alu instid0(VALU_DEP_2) | instskip(SKIP_2) | instid1(VALU_DEP_1)
	v_rcp_iflag_f32_e32 v3, v3
	s_waitcnt_depctr 0xfff
	v_mul_f32_e32 v3, 0x4f7ffffe, v3
	v_cvt_u32_f32_e32 v3, v3
	s_delay_alu instid0(VALU_DEP_1) | instskip(NEXT) | instid1(VALU_DEP_1)
	v_mul_lo_u32 v5, s20, v3
	v_mul_hi_u32 v5, v3, v5
	s_delay_alu instid0(VALU_DEP_1) | instskip(NEXT) | instid1(VALU_DEP_1)
	v_add_nc_u32_e32 v3, v3, v5
	v_mul_hi_u32 v3, v20, v3
	s_delay_alu instid0(VALU_DEP_1) | instskip(SKIP_1) | instid1(VALU_DEP_2)
	v_mul_lo_u32 v5, v3, s53
	v_add_nc_u32_e32 v7, 1, v3
	v_sub_nc_u32_e32 v5, v20, v5
	s_delay_alu instid0(VALU_DEP_1) | instskip(SKIP_1) | instid1(VALU_DEP_4)
	v_cmp_le_u32_e32 vcc_lo, s53, v5
	v_subrev_nc_u32_e32 v9, s53, v5
	v_cndmask_b32_e32 v3, v3, v7, vcc_lo
	s_delay_alu instid0(VALU_DEP_1) | instskip(NEXT) | instid1(VALU_DEP_3)
	v_add_nc_u32_e32 v7, 1, v3
	v_cndmask_b32_e32 v5, v5, v9, vcc_lo
	s_delay_alu instid0(VALU_DEP_1) | instskip(NEXT) | instid1(VALU_DEP_3)
	v_cmp_le_u32_e32 vcc_lo, s53, v5
	v_cndmask_b32_e32 v22, v3, v7, vcc_lo
.LBB84_56:                              ;   in Loop: Header=BB84_24 Depth=2
	s_or_b32 exec_lo, exec_lo, s0
	v_mul_lo_u32 v3, v8, s41
	v_mul_lo_u32 v5, v10, s43
	;; [unrolled: 1-line block ×4, first 2 shown]
	s_add_u32 s18, s30, s18
	s_addc_u32 s19, s1, s19
	v_mul_lo_u32 v11, v16, s49
	s_load_b32 s0, s[18:19], 0x0
	v_sub_nc_u32_e32 v3, v6, v3
	v_sub_nc_u32_e32 v5, v8, v5
	v_mul_lo_u32 v6, v18, s51
	v_sub_nc_u32_e32 v7, v10, v7
	v_sub_nc_u32_e32 v9, v12, v9
	v_mul_lo_u32 v3, s42, v3
	v_mul_lo_u32 v5, s44, v5
	;; [unrolled: 1-line block ×4, first 2 shown]
	v_sub_nc_u32_e32 v11, v14, v11
	v_sub_nc_u32_e32 v6, v16, v6
	v_mul_lo_u32 v7, s46, v7
	v_mul_lo_u32 v9, s48, v9
	s_add_i32 s16, s16, -8
	v_add3_u32 v3, v3, v4, v5
	v_mul_lo_u32 v4, s50, v11
	v_sub_nc_u32_e32 v5, v18, v8
	v_sub_nc_u32_e32 v8, v20, v10
	v_mul_lo_u32 v6, s14, v6
	s_cmp_eq_u32 s16, -8
	v_add3_u32 v3, v7, v3, v9
	v_mul_lo_u32 v5, s17, v5
	s_waitcnt lgkmcnt(0)
	v_mul_lo_u32 v7, s0, v8
	s_delay_alu instid0(VALU_DEP_3) | instskip(NEXT) | instid1(VALU_DEP_1)
	v_add3_u32 v3, v4, v3, v6
	v_add3_u32 v4, v5, v3, v7
	s_cbranch_scc1 .LBB84_58
; %bb.57:                               ;   in Loop: Header=BB84_24 Depth=2
	v_dual_mov_b32 v6, v22 :: v_dual_mov_b32 v7, v23
	s_branch .LBB84_24
.LBB84_58:                              ;   in Loop: Header=BB84_3 Depth=1
	s_load_b32 s0, s[12:13], 0x0
	s_waitcnt lgkmcnt(0)
	v_cmp_gt_i32_e32 vcc_lo, s0, v26
	s_and_b32 exec_lo, exec_lo, vcc_lo
	s_cbranch_execz .LBB84_2
; %bb.59:                               ;   in Loop: Header=BB84_3 Depth=1
	s_delay_alu instid0(VALU_DEP_2) | instskip(SKIP_1) | instid1(VALU_DEP_2)
	v_ashrrev_i32_e32 v5, 31, v4
	v_mov_b32_e32 v3, v2
	v_lshlrev_b64 v[6:7], 3, v[4:5]
	v_add_nc_u32_e32 v5, 1, v26
	s_delay_alu instid0(VALU_DEP_2) | instskip(NEXT) | instid1(VALU_DEP_3)
	v_add_co_u32 v6, vcc_lo, s2, v6
	v_add_co_ci_u32_e32 v7, vcc_lo, s3, v7, vcc_lo
	s_delay_alu instid0(VALU_DEP_3)
	v_cmp_gt_i32_e32 vcc_lo, s0, v5
	global_store_b64 v[6:7], v[2:3], off
	s_and_b32 exec_lo, exec_lo, vcc_lo
	s_cbranch_execz .LBB84_2
; %bb.60:                               ;   in Loop: Header=BB84_3 Depth=1
	v_sub_nc_u32_e32 v5, v5, v25
	s_delay_alu instid0(VALU_DEP_1) | instskip(NEXT) | instid1(VALU_DEP_1)
	v_ashrrev_i32_e32 v6, 31, v5
	v_cmp_gt_i64_e32 vcc_lo, s[4:5], v[5:6]
	s_and_b32 exec_lo, exec_lo, vcc_lo
	s_cbranch_execz .LBB84_2
; %bb.61:                               ;   in Loop: Header=BB84_3 Depth=1
	v_add_nc_u32_e32 v3, s40, v4
	s_delay_alu instid0(VALU_DEP_1) | instskip(NEXT) | instid1(VALU_DEP_1)
	v_ashrrev_i32_e32 v4, 31, v3
	v_lshlrev_b64 v[3:4], 3, v[3:4]
	s_delay_alu instid0(VALU_DEP_1) | instskip(NEXT) | instid1(VALU_DEP_2)
	v_add_co_u32 v5, vcc_lo, s2, v3
	v_add_co_ci_u32_e32 v6, vcc_lo, s3, v4, vcc_lo
	v_mov_b32_e32 v3, v2
	global_store_b64 v[5:6], v[2:3], off
	s_branch .LBB84_2
.LBB84_62:
	s_nop 0
	s_sendmsg sendmsg(MSG_DEALLOC_VGPRS)
	s_endpgm
	.section	.rodata,"a",@progbits
	.p2align	6, 0x0
	.amdhsa_kernel _ZN2at6native16triu_tril_kernelIN3c107complexIfEEiLb1ELi2ELb1EEEvNS_4cuda6detail10TensorInfoIT_T0_EENS7_IKS8_S9_EEllS9_
		.amdhsa_group_segment_fixed_size 0
		.amdhsa_private_segment_fixed_size 0
		.amdhsa_kernarg_size 712
		.amdhsa_user_sgpr_count 15
		.amdhsa_user_sgpr_dispatch_ptr 0
		.amdhsa_user_sgpr_queue_ptr 0
		.amdhsa_user_sgpr_kernarg_segment_ptr 1
		.amdhsa_user_sgpr_dispatch_id 0
		.amdhsa_user_sgpr_private_segment_size 0
		.amdhsa_wavefront_size32 1
		.amdhsa_uses_dynamic_stack 0
		.amdhsa_enable_private_segment 0
		.amdhsa_system_sgpr_workgroup_id_x 1
		.amdhsa_system_sgpr_workgroup_id_y 0
		.amdhsa_system_sgpr_workgroup_id_z 0
		.amdhsa_system_sgpr_workgroup_info 0
		.amdhsa_system_vgpr_workitem_id 0
		.amdhsa_next_free_vgpr 31
		.amdhsa_next_free_sgpr 56
		.amdhsa_reserve_vcc 1
		.amdhsa_float_round_mode_32 0
		.amdhsa_float_round_mode_16_64 0
		.amdhsa_float_denorm_mode_32 3
		.amdhsa_float_denorm_mode_16_64 3
		.amdhsa_dx10_clamp 1
		.amdhsa_ieee_mode 1
		.amdhsa_fp16_overflow 0
		.amdhsa_workgroup_processor_mode 1
		.amdhsa_memory_ordered 1
		.amdhsa_forward_progress 0
		.amdhsa_shared_vgpr_count 0
		.amdhsa_exception_fp_ieee_invalid_op 0
		.amdhsa_exception_fp_denorm_src 0
		.amdhsa_exception_fp_ieee_div_zero 0
		.amdhsa_exception_fp_ieee_overflow 0
		.amdhsa_exception_fp_ieee_underflow 0
		.amdhsa_exception_fp_ieee_inexact 0
		.amdhsa_exception_int_div_zero 0
	.end_amdhsa_kernel
	.section	.text._ZN2at6native16triu_tril_kernelIN3c107complexIfEEiLb1ELi2ELb1EEEvNS_4cuda6detail10TensorInfoIT_T0_EENS7_IKS8_S9_EEllS9_,"axG",@progbits,_ZN2at6native16triu_tril_kernelIN3c107complexIfEEiLb1ELi2ELb1EEEvNS_4cuda6detail10TensorInfoIT_T0_EENS7_IKS8_S9_EEllS9_,comdat
.Lfunc_end84:
	.size	_ZN2at6native16triu_tril_kernelIN3c107complexIfEEiLb1ELi2ELb1EEEvNS_4cuda6detail10TensorInfoIT_T0_EENS7_IKS8_S9_EEllS9_, .Lfunc_end84-_ZN2at6native16triu_tril_kernelIN3c107complexIfEEiLb1ELi2ELb1EEEvNS_4cuda6detail10TensorInfoIT_T0_EENS7_IKS8_S9_EEllS9_
                                        ; -- End function
	.section	.AMDGPU.csdata,"",@progbits
; Kernel info:
; codeLenInByte = 12388
; NumSgprs: 58
; NumVgprs: 31
; ScratchSize: 0
; MemoryBound: 0
; FloatMode: 240
; IeeeMode: 1
; LDSByteSize: 0 bytes/workgroup (compile time only)
; SGPRBlocks: 7
; VGPRBlocks: 3
; NumSGPRsForWavesPerEU: 58
; NumVGPRsForWavesPerEU: 31
; Occupancy: 16
; WaveLimiterHint : 0
; COMPUTE_PGM_RSRC2:SCRATCH_EN: 0
; COMPUTE_PGM_RSRC2:USER_SGPR: 15
; COMPUTE_PGM_RSRC2:TRAP_HANDLER: 0
; COMPUTE_PGM_RSRC2:TGID_X_EN: 1
; COMPUTE_PGM_RSRC2:TGID_Y_EN: 0
; COMPUTE_PGM_RSRC2:TGID_Z_EN: 0
; COMPUTE_PGM_RSRC2:TIDIG_COMP_CNT: 0
	.section	.text._ZN2at6native16triu_tril_kernelIN3c107complexIfEEiLb1ELi2ELb0EEEvNS_4cuda6detail10TensorInfoIT_T0_EENS7_IKS8_S9_EEllS9_,"axG",@progbits,_ZN2at6native16triu_tril_kernelIN3c107complexIfEEiLb1ELi2ELb0EEEvNS_4cuda6detail10TensorInfoIT_T0_EENS7_IKS8_S9_EEllS9_,comdat
	.protected	_ZN2at6native16triu_tril_kernelIN3c107complexIfEEiLb1ELi2ELb0EEEvNS_4cuda6detail10TensorInfoIT_T0_EENS7_IKS8_S9_EEllS9_ ; -- Begin function _ZN2at6native16triu_tril_kernelIN3c107complexIfEEiLb1ELi2ELb0EEEvNS_4cuda6detail10TensorInfoIT_T0_EENS7_IKS8_S9_EEllS9_
	.globl	_ZN2at6native16triu_tril_kernelIN3c107complexIfEEiLb1ELi2ELb0EEEvNS_4cuda6detail10TensorInfoIT_T0_EENS7_IKS8_S9_EEllS9_
	.p2align	8
	.type	_ZN2at6native16triu_tril_kernelIN3c107complexIfEEiLb1ELi2ELb0EEEvNS_4cuda6detail10TensorInfoIT_T0_EENS7_IKS8_S9_EEllS9_,@function
_ZN2at6native16triu_tril_kernelIN3c107complexIfEEiLb1ELi2ELb0EEEvNS_4cuda6detail10TensorInfoIT_T0_EENS7_IKS8_S9_EEllS9_: ; @_ZN2at6native16triu_tril_kernelIN3c107complexIfEEiLb1ELi2ELb0EEEvNS_4cuda6detail10TensorInfoIT_T0_EENS7_IKS8_S9_EEllS9_
; %bb.0:
	s_clause 0x1
	s_load_b32 s2, s[0:1], 0x1d4
	s_load_b128 s[4:7], s[0:1], 0x1b0
	v_mov_b32_e32 v2, 0
	s_add_u32 s8, s0, 0x1c8
	s_addc_u32 s9, s1, 0
	s_delay_alu instid0(VALU_DEP_1) | instskip(SKIP_3) | instid1(VALU_DEP_1)
	v_mov_b32_e32 v1, v2
	s_waitcnt lgkmcnt(0)
	s_and_b32 s10, s2, 0xffff
	s_mov_b32 s2, exec_lo
	v_mad_u64_u32 v[3:4], null, s10, s15, v[0:1]
	s_delay_alu instid0(VALU_DEP_1) | instskip(NEXT) | instid1(VALU_DEP_1)
	v_lshlrev_b64 v[0:1], 1, v[3:4]
	v_cmpx_gt_i64_e64 s[6:7], v[0:1]
	s_cbranch_execz .LBB85_49
; %bb.1:
	s_clause 0x1
	s_load_b32 s16, s[0:1], 0x1a8
	s_load_b32 s30, s[0:1], 0x1c0
	s_add_u32 s31, s0, 0xd8
	s_addc_u32 s33, s1, 0
	s_load_b32 s11, s[8:9], 0x0
	s_load_b64 s[2:3], s[0:1], 0xd8
	s_waitcnt lgkmcnt(0)
	s_ashr_i32 s17, s16, 31
	s_ashr_i32 s34, s30, 31
	s_lshl_b64 s[8:9], s[16:17], 2
	v_cvt_f32_u32_e32 v3, s30
	s_add_u32 s14, s8, -8
	s_addc_u32 s15, s9, -1
	s_add_u32 s12, s31, s14
	s_addc_u32 s13, s33, s15
	v_rcp_iflag_f32_e32 v3, v3
	s_load_b64 s[8:9], s[12:13], 0x8
	s_mul_i32 s18, s11, s10
	s_load_b64 s[10:11], s[12:13], 0x6c
	s_waitcnt_depctr 0xfff
	v_mul_f32_e32 v3, 0x4f7ffffe, v3
	s_delay_alu instid0(VALU_DEP_1)
	v_cvt_u32_f32_e32 v3, v3
	s_waitcnt lgkmcnt(0)
	s_ashr_i32 s35, s8, 31
	s_add_u32 s36, s0, 0x6c
	s_addc_u32 s37, s1, 0
	s_add_u32 s12, s36, s14
	s_addc_u32 s13, s37, s15
	s_and_b32 s39, s16, 3
	s_add_i32 s38, s16, -3
	s_lshl_b32 s40, s18, 1
	s_cmp_lg_u32 s39, 2
	s_load_b64 s[12:13], s[12:13], 0x0
	s_cselect_b32 s41, -1, 0
	s_cmp_gt_u32 s38, 2
	s_mov_b32 s18, s11
	s_cselect_b32 s42, -1, 0
	s_sub_i32 s14, 0, s30
	s_ashr_i32 s19, s11, 31
	v_mul_lo_u32 v4, s14, v3
	s_load_b64 s[14:15], s[0:1], 0x0
	v_cmp_gt_i64_e64 s1, s[16:17], 2
	s_mov_b32 s17, 0
	s_mov_b32 s11, 0
	s_delay_alu instid0(VALU_DEP_2) | instskip(SKIP_3) | instid1(VALU_DEP_1)
	v_mul_hi_u32 v4, v3, v4
	s_waitcnt lgkmcnt(0)
	s_ashr_i32 s21, s13, 31
	s_mov_b32 s20, s13
	v_add_nc_u32_e32 v18, v3, v4
	s_branch .LBB85_3
.LBB85_2:                               ;   in Loop: Header=BB85_3 Depth=1
	s_or_b32 exec_lo, exec_lo, s0
	v_add_co_u32 v0, vcc_lo, v0, s40
	v_add_co_ci_u32_e32 v1, vcc_lo, 0, v1, vcc_lo
	s_delay_alu instid0(VALU_DEP_1) | instskip(SKIP_1) | instid1(SALU_CYCLE_1)
	v_cmp_le_i64_e32 vcc_lo, s[6:7], v[0:1]
	s_or_b32 s11, vcc_lo, s11
	s_and_not1_b32 exec_lo, exec_lo, s11
	s_cbranch_execz .LBB85_49
.LBB85_3:                               ; =>This Loop Header: Depth=1
                                        ;     Child Loop BB85_14 Depth 2
                                        ;     Child Loop BB85_22 Depth 2
	v_or_b32_e32 v3, s34, v1
                                        ; implicit-def: $vgpr4_vgpr5
	s_mov_b32 s0, exec_lo
	s_delay_alu instid0(VALU_DEP_1)
	v_cmpx_ne_u64_e32 0, v[2:3]
	s_xor_b32 s13, exec_lo, s0
	s_cbranch_execz .LBB85_5
; %bb.4:                                ;   in Loop: Header=BB85_3 Depth=1
	s_add_u32 s24, s30, s34
	s_mov_b32 s22, s34
	s_mov_b32 s23, s34
	s_addc_u32 s25, s34, s34
	s_delay_alu instid0(SALU_CYCLE_1) | instskip(NEXT) | instid1(SALU_CYCLE_1)
	s_xor_b64 s[24:25], s[24:25], s[22:23]
	v_cvt_f32_u32_e32 v3, s24
	v_cvt_f32_u32_e32 v4, s25
	s_sub_u32 s0, 0, s24
	s_subb_u32 s16, 0, s25
	s_delay_alu instid0(VALU_DEP_1) | instskip(NEXT) | instid1(VALU_DEP_1)
	v_fmac_f32_e32 v3, 0x4f800000, v4
	v_rcp_f32_e32 v3, v3
	s_waitcnt_depctr 0xfff
	v_mul_f32_e32 v3, 0x5f7ffffc, v3
	s_delay_alu instid0(VALU_DEP_1) | instskip(NEXT) | instid1(VALU_DEP_1)
	v_mul_f32_e32 v4, 0x2f800000, v3
	v_trunc_f32_e32 v4, v4
	s_delay_alu instid0(VALU_DEP_1) | instskip(SKIP_1) | instid1(VALU_DEP_2)
	v_fmac_f32_e32 v3, 0xcf800000, v4
	v_cvt_u32_f32_e32 v4, v4
	v_cvt_u32_f32_e32 v3, v3
	s_delay_alu instid0(VALU_DEP_2) | instskip(NEXT) | instid1(VALU_DEP_2)
	v_mul_lo_u32 v5, s0, v4
	v_mul_hi_u32 v6, s0, v3
	v_mul_lo_u32 v7, s16, v3
	s_delay_alu instid0(VALU_DEP_2) | instskip(SKIP_1) | instid1(VALU_DEP_2)
	v_add_nc_u32_e32 v5, v6, v5
	v_mul_lo_u32 v6, s0, v3
	v_add_nc_u32_e32 v5, v5, v7
	s_delay_alu instid0(VALU_DEP_2) | instskip(NEXT) | instid1(VALU_DEP_2)
	v_mul_hi_u32 v7, v3, v6
	v_mul_lo_u32 v8, v3, v5
	v_mul_hi_u32 v9, v3, v5
	v_mul_hi_u32 v10, v4, v6
	v_mul_lo_u32 v6, v4, v6
	v_mul_hi_u32 v11, v4, v5
	v_mul_lo_u32 v5, v4, v5
	v_add_co_u32 v7, vcc_lo, v7, v8
	v_add_co_ci_u32_e32 v8, vcc_lo, 0, v9, vcc_lo
	s_delay_alu instid0(VALU_DEP_2) | instskip(NEXT) | instid1(VALU_DEP_2)
	v_add_co_u32 v6, vcc_lo, v7, v6
	v_add_co_ci_u32_e32 v6, vcc_lo, v8, v10, vcc_lo
	v_add_co_ci_u32_e32 v7, vcc_lo, 0, v11, vcc_lo
	v_ashrrev_i32_e32 v10, 31, v1
	s_delay_alu instid0(VALU_DEP_3) | instskip(NEXT) | instid1(VALU_DEP_3)
	v_add_co_u32 v5, vcc_lo, v6, v5
	v_add_co_ci_u32_e32 v6, vcc_lo, 0, v7, vcc_lo
	s_delay_alu instid0(VALU_DEP_2) | instskip(NEXT) | instid1(VALU_DEP_2)
	v_add_co_u32 v3, vcc_lo, v3, v5
	v_add_co_ci_u32_e32 v4, vcc_lo, v4, v6, vcc_lo
	s_delay_alu instid0(VALU_DEP_2) | instskip(SKIP_1) | instid1(VALU_DEP_3)
	v_mul_hi_u32 v5, s0, v3
	v_mul_lo_u32 v7, s16, v3
	v_mul_lo_u32 v6, s0, v4
	s_delay_alu instid0(VALU_DEP_1) | instskip(SKIP_1) | instid1(VALU_DEP_2)
	v_add_nc_u32_e32 v5, v5, v6
	v_mul_lo_u32 v6, s0, v3
	v_add_nc_u32_e32 v5, v5, v7
	s_delay_alu instid0(VALU_DEP_2) | instskip(NEXT) | instid1(VALU_DEP_2)
	v_mul_hi_u32 v7, v3, v6
	v_mul_lo_u32 v8, v3, v5
	v_mul_hi_u32 v9, v3, v5
	v_mul_hi_u32 v11, v4, v6
	v_mul_lo_u32 v6, v4, v6
	v_mul_hi_u32 v12, v4, v5
	v_mul_lo_u32 v5, v4, v5
	v_add_co_u32 v7, vcc_lo, v7, v8
	v_add_co_ci_u32_e32 v8, vcc_lo, 0, v9, vcc_lo
	s_delay_alu instid0(VALU_DEP_2) | instskip(NEXT) | instid1(VALU_DEP_2)
	v_add_co_u32 v6, vcc_lo, v7, v6
	v_add_co_ci_u32_e32 v6, vcc_lo, v8, v11, vcc_lo
	v_add_co_ci_u32_e32 v7, vcc_lo, 0, v12, vcc_lo
	v_add_co_u32 v8, vcc_lo, v0, v10
	v_add_co_ci_u32_e32 v9, vcc_lo, v1, v10, vcc_lo
	s_delay_alu instid0(VALU_DEP_4) | instskip(NEXT) | instid1(VALU_DEP_4)
	v_add_co_u32 v5, vcc_lo, v6, v5
	v_add_co_ci_u32_e32 v6, vcc_lo, 0, v7, vcc_lo
	s_delay_alu instid0(VALU_DEP_4) | instskip(NEXT) | instid1(VALU_DEP_3)
	v_xor_b32_e32 v11, v8, v10
	v_add_co_u32 v7, vcc_lo, v3, v5
	s_delay_alu instid0(VALU_DEP_3) | instskip(SKIP_1) | instid1(VALU_DEP_3)
	v_add_co_ci_u32_e32 v12, vcc_lo, v4, v6, vcc_lo
	v_xor_b32_e32 v9, v9, v10
	v_mul_hi_u32 v13, v11, v7
	s_delay_alu instid0(VALU_DEP_3) | instskip(NEXT) | instid1(VALU_DEP_3)
	v_mad_u64_u32 v[3:4], null, v11, v12, 0
	v_mad_u64_u32 v[5:6], null, v9, v7, 0
	v_mad_u64_u32 v[7:8], null, v9, v12, 0
	s_delay_alu instid0(VALU_DEP_3) | instskip(NEXT) | instid1(VALU_DEP_4)
	v_add_co_u32 v3, vcc_lo, v13, v3
	v_add_co_ci_u32_e32 v4, vcc_lo, 0, v4, vcc_lo
	s_delay_alu instid0(VALU_DEP_2) | instskip(NEXT) | instid1(VALU_DEP_2)
	v_add_co_u32 v3, vcc_lo, v3, v5
	v_add_co_ci_u32_e32 v3, vcc_lo, v4, v6, vcc_lo
	v_add_co_ci_u32_e32 v4, vcc_lo, 0, v8, vcc_lo
	s_delay_alu instid0(VALU_DEP_2) | instskip(NEXT) | instid1(VALU_DEP_2)
	v_add_co_u32 v5, vcc_lo, v3, v7
	v_add_co_ci_u32_e32 v6, vcc_lo, 0, v4, vcc_lo
	s_delay_alu instid0(VALU_DEP_2) | instskip(SKIP_1) | instid1(VALU_DEP_3)
	v_mul_lo_u32 v7, s25, v5
	v_mad_u64_u32 v[3:4], null, s24, v5, 0
	v_mul_lo_u32 v8, s24, v6
	s_delay_alu instid0(VALU_DEP_2) | instskip(NEXT) | instid1(VALU_DEP_2)
	v_sub_co_u32 v3, vcc_lo, v11, v3
	v_add3_u32 v4, v4, v8, v7
	s_delay_alu instid0(VALU_DEP_1) | instskip(NEXT) | instid1(VALU_DEP_1)
	v_sub_nc_u32_e32 v7, v9, v4
	v_subrev_co_ci_u32_e64 v7, s0, s25, v7, vcc_lo
	v_add_co_u32 v8, s0, v5, 2
	s_delay_alu instid0(VALU_DEP_1) | instskip(SKIP_3) | instid1(VALU_DEP_3)
	v_add_co_ci_u32_e64 v11, s0, 0, v6, s0
	v_sub_co_u32 v12, s0, v3, s24
	v_sub_co_ci_u32_e32 v4, vcc_lo, v9, v4, vcc_lo
	v_subrev_co_ci_u32_e64 v7, s0, 0, v7, s0
	v_cmp_le_u32_e32 vcc_lo, s24, v12
	s_delay_alu instid0(VALU_DEP_3) | instskip(SKIP_1) | instid1(VALU_DEP_4)
	v_cmp_eq_u32_e64 s0, s25, v4
	v_cndmask_b32_e64 v9, 0, -1, vcc_lo
	v_cmp_le_u32_e32 vcc_lo, s25, v7
	v_cndmask_b32_e64 v12, 0, -1, vcc_lo
	v_cmp_le_u32_e32 vcc_lo, s24, v3
	;; [unrolled: 2-line block ×3, first 2 shown]
	v_cndmask_b32_e64 v13, 0, -1, vcc_lo
	v_cmp_eq_u32_e32 vcc_lo, s25, v7
	s_delay_alu instid0(VALU_DEP_2) | instskip(SKIP_3) | instid1(VALU_DEP_3)
	v_cndmask_b32_e64 v3, v13, v3, s0
	v_cndmask_b32_e32 v7, v12, v9, vcc_lo
	v_add_co_u32 v9, vcc_lo, v5, 1
	v_add_co_ci_u32_e32 v12, vcc_lo, 0, v6, vcc_lo
	v_cmp_ne_u32_e32 vcc_lo, 0, v7
	s_delay_alu instid0(VALU_DEP_2) | instskip(SKIP_2) | instid1(VALU_DEP_3)
	v_dual_cndmask_b32 v4, v12, v11 :: v_dual_cndmask_b32 v7, v9, v8
	v_cmp_ne_u32_e32 vcc_lo, 0, v3
	v_xor_b32_e32 v3, s22, v10
	v_dual_cndmask_b32 v5, v5, v7 :: v_dual_cndmask_b32 v4, v6, v4
	v_xor_b32_e32 v6, s23, v10
	s_delay_alu instid0(VALU_DEP_2) | instskip(NEXT) | instid1(VALU_DEP_2)
	v_xor_b32_e32 v5, v5, v3
	v_xor_b32_e32 v7, v4, v6
	s_delay_alu instid0(VALU_DEP_2) | instskip(NEXT) | instid1(VALU_DEP_2)
	v_sub_co_u32 v4, vcc_lo, v5, v3
	v_sub_co_ci_u32_e32 v5, vcc_lo, v7, v6, vcc_lo
.LBB85_5:                               ;   in Loop: Header=BB85_3 Depth=1
	s_and_not1_saveexec_b32 s0, s13
; %bb.6:                                ;   in Loop: Header=BB85_3 Depth=1
	v_mul_hi_u32 v3, v0, v18
	s_delay_alu instid0(VALU_DEP_1) | instskip(NEXT) | instid1(VALU_DEP_1)
	v_mul_lo_u32 v4, v3, s30
	v_sub_nc_u32_e32 v4, v0, v4
	s_delay_alu instid0(VALU_DEP_1) | instskip(SKIP_1) | instid1(VALU_DEP_2)
	v_subrev_nc_u32_e32 v6, s30, v4
	v_cmp_le_u32_e32 vcc_lo, s30, v4
	v_dual_cndmask_b32 v4, v4, v6 :: v_dual_add_nc_u32 v5, 1, v3
	s_delay_alu instid0(VALU_DEP_1) | instskip(NEXT) | instid1(VALU_DEP_2)
	v_cndmask_b32_e32 v3, v3, v5, vcc_lo
	v_cmp_le_u32_e32 vcc_lo, s30, v4
	s_delay_alu instid0(VALU_DEP_2) | instskip(NEXT) | instid1(VALU_DEP_1)
	v_add_nc_u32_e32 v5, 1, v3
	v_dual_cndmask_b32 v4, v3, v5 :: v_dual_mov_b32 v5, v2
; %bb.7:                                ;   in Loop: Header=BB85_3 Depth=1
	s_or_b32 exec_lo, exec_lo, s0
	s_delay_alu instid0(VALU_DEP_1) | instskip(SKIP_1) | instid1(VALU_DEP_1)
	v_or_b32_e32 v3, s35, v5
                                        ; implicit-def: $vgpr8_vgpr9
	s_mov_b32 s0, exec_lo
	v_cmpx_ne_u64_e32 0, v[2:3]
	s_xor_b32 s13, exec_lo, s0
	s_cbranch_execz .LBB85_9
; %bb.8:                                ;   in Loop: Header=BB85_3 Depth=1
	s_add_u32 s24, s8, s35
	s_mov_b32 s22, s35
	s_mov_b32 s23, s35
	s_addc_u32 s25, s35, s35
	s_delay_alu instid0(SALU_CYCLE_1) | instskip(NEXT) | instid1(SALU_CYCLE_1)
	s_xor_b64 s[24:25], s[24:25], s[22:23]
	v_cvt_f32_u32_e32 v3, s24
	v_cvt_f32_u32_e32 v6, s25
	s_sub_u32 s0, 0, s24
	s_subb_u32 s16, 0, s25
	s_delay_alu instid0(VALU_DEP_1) | instskip(NEXT) | instid1(VALU_DEP_1)
	v_fmac_f32_e32 v3, 0x4f800000, v6
	v_rcp_f32_e32 v3, v3
	s_waitcnt_depctr 0xfff
	v_mul_f32_e32 v3, 0x5f7ffffc, v3
	s_delay_alu instid0(VALU_DEP_1) | instskip(NEXT) | instid1(VALU_DEP_1)
	v_mul_f32_e32 v6, 0x2f800000, v3
	v_trunc_f32_e32 v6, v6
	s_delay_alu instid0(VALU_DEP_1) | instskip(SKIP_1) | instid1(VALU_DEP_2)
	v_fmac_f32_e32 v3, 0xcf800000, v6
	v_cvt_u32_f32_e32 v6, v6
	v_cvt_u32_f32_e32 v3, v3
	s_delay_alu instid0(VALU_DEP_2) | instskip(NEXT) | instid1(VALU_DEP_2)
	v_mul_lo_u32 v7, s0, v6
	v_mul_hi_u32 v8, s0, v3
	v_mul_lo_u32 v9, s16, v3
	s_delay_alu instid0(VALU_DEP_2) | instskip(SKIP_1) | instid1(VALU_DEP_2)
	v_add_nc_u32_e32 v7, v8, v7
	v_mul_lo_u32 v8, s0, v3
	v_add_nc_u32_e32 v7, v7, v9
	s_delay_alu instid0(VALU_DEP_2) | instskip(NEXT) | instid1(VALU_DEP_2)
	v_mul_hi_u32 v9, v3, v8
	v_mul_lo_u32 v10, v3, v7
	v_mul_hi_u32 v11, v3, v7
	v_mul_hi_u32 v12, v6, v8
	v_mul_lo_u32 v8, v6, v8
	v_mul_hi_u32 v13, v6, v7
	v_mul_lo_u32 v7, v6, v7
	v_add_co_u32 v9, vcc_lo, v9, v10
	v_add_co_ci_u32_e32 v10, vcc_lo, 0, v11, vcc_lo
	s_delay_alu instid0(VALU_DEP_2) | instskip(NEXT) | instid1(VALU_DEP_2)
	v_add_co_u32 v8, vcc_lo, v9, v8
	v_add_co_ci_u32_e32 v8, vcc_lo, v10, v12, vcc_lo
	v_add_co_ci_u32_e32 v9, vcc_lo, 0, v13, vcc_lo
	v_ashrrev_i32_e32 v12, 31, v5
	s_delay_alu instid0(VALU_DEP_3) | instskip(NEXT) | instid1(VALU_DEP_3)
	v_add_co_u32 v7, vcc_lo, v8, v7
	v_add_co_ci_u32_e32 v8, vcc_lo, 0, v9, vcc_lo
	s_delay_alu instid0(VALU_DEP_2) | instskip(NEXT) | instid1(VALU_DEP_2)
	v_add_co_u32 v3, vcc_lo, v3, v7
	v_add_co_ci_u32_e32 v6, vcc_lo, v6, v8, vcc_lo
	s_delay_alu instid0(VALU_DEP_2) | instskip(SKIP_1) | instid1(VALU_DEP_3)
	v_mul_hi_u32 v7, s0, v3
	v_mul_lo_u32 v9, s16, v3
	v_mul_lo_u32 v8, s0, v6
	s_delay_alu instid0(VALU_DEP_1) | instskip(SKIP_1) | instid1(VALU_DEP_2)
	v_add_nc_u32_e32 v7, v7, v8
	v_mul_lo_u32 v8, s0, v3
	v_add_nc_u32_e32 v7, v7, v9
	s_delay_alu instid0(VALU_DEP_2) | instskip(NEXT) | instid1(VALU_DEP_2)
	v_mul_hi_u32 v9, v3, v8
	v_mul_lo_u32 v10, v3, v7
	v_mul_hi_u32 v11, v3, v7
	v_mul_hi_u32 v13, v6, v8
	v_mul_lo_u32 v8, v6, v8
	v_mul_hi_u32 v14, v6, v7
	v_mul_lo_u32 v7, v6, v7
	v_add_co_u32 v9, vcc_lo, v9, v10
	v_add_co_ci_u32_e32 v10, vcc_lo, 0, v11, vcc_lo
	s_delay_alu instid0(VALU_DEP_2) | instskip(NEXT) | instid1(VALU_DEP_2)
	v_add_co_u32 v8, vcc_lo, v9, v8
	v_add_co_ci_u32_e32 v8, vcc_lo, v10, v13, vcc_lo
	v_add_co_ci_u32_e32 v9, vcc_lo, 0, v14, vcc_lo
	v_add_co_u32 v10, vcc_lo, v4, v12
	v_add_co_ci_u32_e32 v5, vcc_lo, v5, v12, vcc_lo
	s_delay_alu instid0(VALU_DEP_4) | instskip(NEXT) | instid1(VALU_DEP_4)
	v_add_co_u32 v7, vcc_lo, v8, v7
	v_add_co_ci_u32_e32 v8, vcc_lo, 0, v9, vcc_lo
	s_delay_alu instid0(VALU_DEP_4) | instskip(NEXT) | instid1(VALU_DEP_3)
	v_xor_b32_e32 v11, v10, v12
	v_add_co_u32 v3, vcc_lo, v3, v7
	s_delay_alu instid0(VALU_DEP_3) | instskip(SKIP_1) | instid1(VALU_DEP_3)
	v_add_co_ci_u32_e32 v13, vcc_lo, v6, v8, vcc_lo
	v_xor_b32_e32 v14, v5, v12
	v_mul_hi_u32 v15, v11, v3
	s_delay_alu instid0(VALU_DEP_3) | instskip(NEXT) | instid1(VALU_DEP_3)
	v_mad_u64_u32 v[5:6], null, v11, v13, 0
	v_mad_u64_u32 v[7:8], null, v14, v3, 0
	;; [unrolled: 1-line block ×3, first 2 shown]
	s_delay_alu instid0(VALU_DEP_3) | instskip(NEXT) | instid1(VALU_DEP_4)
	v_add_co_u32 v3, vcc_lo, v15, v5
	v_add_co_ci_u32_e32 v5, vcc_lo, 0, v6, vcc_lo
	s_delay_alu instid0(VALU_DEP_2) | instskip(NEXT) | instid1(VALU_DEP_2)
	v_add_co_u32 v3, vcc_lo, v3, v7
	v_add_co_ci_u32_e32 v3, vcc_lo, v5, v8, vcc_lo
	v_add_co_ci_u32_e32 v5, vcc_lo, 0, v10, vcc_lo
	s_delay_alu instid0(VALU_DEP_2) | instskip(NEXT) | instid1(VALU_DEP_2)
	v_add_co_u32 v3, vcc_lo, v3, v9
	v_add_co_ci_u32_e32 v7, vcc_lo, 0, v5, vcc_lo
	s_delay_alu instid0(VALU_DEP_2) | instskip(SKIP_1) | instid1(VALU_DEP_3)
	v_mul_lo_u32 v8, s25, v3
	v_mad_u64_u32 v[5:6], null, s24, v3, 0
	v_mul_lo_u32 v9, s24, v7
	s_delay_alu instid0(VALU_DEP_2) | instskip(NEXT) | instid1(VALU_DEP_2)
	v_sub_co_u32 v5, vcc_lo, v11, v5
	v_add3_u32 v6, v6, v9, v8
	s_delay_alu instid0(VALU_DEP_1) | instskip(NEXT) | instid1(VALU_DEP_1)
	v_sub_nc_u32_e32 v8, v14, v6
	v_subrev_co_ci_u32_e64 v8, s0, s25, v8, vcc_lo
	v_add_co_u32 v9, s0, v3, 2
	s_delay_alu instid0(VALU_DEP_1) | instskip(SKIP_3) | instid1(VALU_DEP_3)
	v_add_co_ci_u32_e64 v10, s0, 0, v7, s0
	v_sub_co_u32 v11, s0, v5, s24
	v_sub_co_ci_u32_e32 v6, vcc_lo, v14, v6, vcc_lo
	v_subrev_co_ci_u32_e64 v8, s0, 0, v8, s0
	v_cmp_le_u32_e32 vcc_lo, s24, v11
	s_delay_alu instid0(VALU_DEP_3) | instskip(SKIP_1) | instid1(VALU_DEP_4)
	v_cmp_eq_u32_e64 s0, s25, v6
	v_cndmask_b32_e64 v11, 0, -1, vcc_lo
	v_cmp_le_u32_e32 vcc_lo, s25, v8
	v_cndmask_b32_e64 v13, 0, -1, vcc_lo
	v_cmp_le_u32_e32 vcc_lo, s24, v5
	;; [unrolled: 2-line block ×3, first 2 shown]
	v_cndmask_b32_e64 v14, 0, -1, vcc_lo
	v_cmp_eq_u32_e32 vcc_lo, s25, v8
	s_delay_alu instid0(VALU_DEP_2) | instskip(SKIP_3) | instid1(VALU_DEP_3)
	v_cndmask_b32_e64 v5, v14, v5, s0
	v_cndmask_b32_e32 v8, v13, v11, vcc_lo
	v_add_co_u32 v11, vcc_lo, v3, 1
	v_add_co_ci_u32_e32 v13, vcc_lo, 0, v7, vcc_lo
	v_cmp_ne_u32_e32 vcc_lo, 0, v8
	s_delay_alu instid0(VALU_DEP_3) | instskip(NEXT) | instid1(VALU_DEP_3)
	v_cndmask_b32_e32 v8, v11, v9, vcc_lo
	v_cndmask_b32_e32 v6, v13, v10, vcc_lo
	v_cmp_ne_u32_e32 vcc_lo, 0, v5
	v_xor_b32_e32 v5, s22, v12
	s_delay_alu instid0(VALU_DEP_4) | instskip(NEXT) | instid1(VALU_DEP_4)
	v_cndmask_b32_e32 v3, v3, v8, vcc_lo
	v_cndmask_b32_e32 v6, v7, v6, vcc_lo
	v_xor_b32_e32 v7, s23, v12
	s_delay_alu instid0(VALU_DEP_3) | instskip(NEXT) | instid1(VALU_DEP_2)
	v_xor_b32_e32 v3, v3, v5
	v_xor_b32_e32 v6, v6, v7
	s_delay_alu instid0(VALU_DEP_2) | instskip(NEXT) | instid1(VALU_DEP_2)
	v_sub_co_u32 v8, vcc_lo, v3, v5
	v_sub_co_ci_u32_e32 v9, vcc_lo, v6, v7, vcc_lo
.LBB85_9:                               ;   in Loop: Header=BB85_3 Depth=1
	s_and_not1_saveexec_b32 s0, s13
	s_cbranch_execz .LBB85_11
; %bb.10:                               ;   in Loop: Header=BB85_3 Depth=1
	v_cvt_f32_u32_e32 v3, s8
	s_sub_i32 s13, 0, s8
	v_mov_b32_e32 v9, v2
	s_delay_alu instid0(VALU_DEP_2) | instskip(SKIP_2) | instid1(VALU_DEP_1)
	v_rcp_iflag_f32_e32 v3, v3
	s_waitcnt_depctr 0xfff
	v_mul_f32_e32 v3, 0x4f7ffffe, v3
	v_cvt_u32_f32_e32 v3, v3
	s_delay_alu instid0(VALU_DEP_1) | instskip(NEXT) | instid1(VALU_DEP_1)
	v_mul_lo_u32 v5, s13, v3
	v_mul_hi_u32 v5, v3, v5
	s_delay_alu instid0(VALU_DEP_1) | instskip(NEXT) | instid1(VALU_DEP_1)
	v_add_nc_u32_e32 v3, v3, v5
	v_mul_hi_u32 v3, v4, v3
	s_delay_alu instid0(VALU_DEP_1) | instskip(SKIP_1) | instid1(VALU_DEP_2)
	v_mul_lo_u32 v5, v3, s8
	v_add_nc_u32_e32 v6, 1, v3
	v_sub_nc_u32_e32 v5, v4, v5
	s_delay_alu instid0(VALU_DEP_1) | instskip(SKIP_1) | instid1(VALU_DEP_4)
	v_cmp_le_u32_e32 vcc_lo, s8, v5
	v_subrev_nc_u32_e32 v7, s8, v5
	v_cndmask_b32_e32 v3, v3, v6, vcc_lo
	s_delay_alu instid0(VALU_DEP_1) | instskip(NEXT) | instid1(VALU_DEP_3)
	v_add_nc_u32_e32 v6, 1, v3
	v_cndmask_b32_e32 v5, v5, v7, vcc_lo
	s_delay_alu instid0(VALU_DEP_1) | instskip(NEXT) | instid1(VALU_DEP_3)
	v_cmp_le_u32_e32 vcc_lo, s8, v5
	v_cndmask_b32_e32 v8, v3, v6, vcc_lo
.LBB85_11:                              ;   in Loop: Header=BB85_3 Depth=1
	s_or_b32 exec_lo, exec_lo, s0
	v_mad_u64_u32 v[5:6], null, v4, s30, 0
	s_delay_alu instid0(VALU_DEP_2) | instskip(SKIP_1) | instid1(VALU_DEP_2)
	v_mad_u64_u32 v[6:7], null, v8, s8, 0
	s_and_not1_b32 vcc_lo, exec_lo, s1
	v_sub_co_u32 v19, null, v0, v5
	s_delay_alu instid0(VALU_DEP_2) | instskip(NEXT) | instid1(VALU_DEP_2)
	v_sub_co_u32 v20, null, v4, v6
	v_mul_lo_u32 v3, s18, v19
	v_mul_lo_u32 v10, s20, v19
	s_delay_alu instid0(VALU_DEP_2) | instskip(NEXT) | instid1(VALU_DEP_2)
	v_mad_u64_u32 v[6:7], null, s10, v20, v[3:4]
	v_mad_u64_u32 v[4:5], null, s12, v20, v[10:11]
	s_cbranch_vccnz .LBB85_40
; %bb.12:                               ;   in Loop: Header=BB85_3 Depth=1
	s_and_not1_b32 vcc_lo, exec_lo, s41
	s_mov_b32 s13, 1
	s_cbranch_vccnz .LBB85_20
; %bb.13:                               ;   in Loop: Header=BB85_3 Depth=1
	v_dual_mov_b32 v11, v9 :: v_dual_mov_b32 v10, v8
	s_mov_b32 s16, s38
.LBB85_14:                              ;   Parent Loop BB85_3 Depth=1
                                        ; =>  This Inner Loop Header: Depth=2
	s_delay_alu instid0(SALU_CYCLE_1)
	s_lshl_b64 s[24:25], s[16:17], 2
                                        ; implicit-def: $vgpr8_vgpr9
	s_mov_b32 s26, exec_lo
	s_add_u32 s22, s31, s24
	s_addc_u32 s23, s33, s25
	s_load_b32 s43, s[22:23], 0x8
	s_waitcnt lgkmcnt(0)
	s_ashr_i32 s0, s43, 31
	s_delay_alu instid0(SALU_CYCLE_1) | instskip(NEXT) | instid1(VALU_DEP_1)
	v_or_b32_e32 v3, s0, v11
	v_cmpx_ne_u64_e32 0, v[2:3]
	s_xor_b32 s44, exec_lo, s26
	s_cbranch_execz .LBB85_16
; %bb.15:                               ;   in Loop: Header=BB85_14 Depth=2
	s_add_u32 s28, s43, s0
	s_mov_b32 s26, s0
	s_mov_b32 s27, s0
	s_addc_u32 s29, s0, s0
	s_delay_alu instid0(SALU_CYCLE_1) | instskip(NEXT) | instid1(SALU_CYCLE_1)
	s_xor_b64 s[28:29], s[28:29], s[26:27]
	v_cvt_f32_u32_e32 v3, s28
	v_cvt_f32_u32_e32 v5, s29
	s_sub_u32 s0, 0, s28
	s_subb_u32 s45, 0, s29
	s_delay_alu instid0(VALU_DEP_1) | instskip(NEXT) | instid1(VALU_DEP_1)
	v_fmac_f32_e32 v3, 0x4f800000, v5
	v_rcp_f32_e32 v3, v3
	s_waitcnt_depctr 0xfff
	v_mul_f32_e32 v3, 0x5f7ffffc, v3
	s_delay_alu instid0(VALU_DEP_1) | instskip(NEXT) | instid1(VALU_DEP_1)
	v_mul_f32_e32 v5, 0x2f800000, v3
	v_trunc_f32_e32 v5, v5
	s_delay_alu instid0(VALU_DEP_1) | instskip(SKIP_1) | instid1(VALU_DEP_2)
	v_fmac_f32_e32 v3, 0xcf800000, v5
	v_cvt_u32_f32_e32 v5, v5
	v_cvt_u32_f32_e32 v3, v3
	s_delay_alu instid0(VALU_DEP_2) | instskip(NEXT) | instid1(VALU_DEP_2)
	v_mul_lo_u32 v7, s0, v5
	v_mul_hi_u32 v8, s0, v3
	v_mul_lo_u32 v9, s45, v3
	s_delay_alu instid0(VALU_DEP_2) | instskip(SKIP_1) | instid1(VALU_DEP_2)
	v_add_nc_u32_e32 v7, v8, v7
	v_mul_lo_u32 v8, s0, v3
	v_add_nc_u32_e32 v7, v7, v9
	s_delay_alu instid0(VALU_DEP_2) | instskip(NEXT) | instid1(VALU_DEP_2)
	v_mul_hi_u32 v9, v3, v8
	v_mul_lo_u32 v12, v3, v7
	v_mul_hi_u32 v13, v3, v7
	v_mul_hi_u32 v14, v5, v8
	v_mul_lo_u32 v8, v5, v8
	v_mul_hi_u32 v15, v5, v7
	v_mul_lo_u32 v7, v5, v7
	v_add_co_u32 v9, vcc_lo, v9, v12
	v_add_co_ci_u32_e32 v12, vcc_lo, 0, v13, vcc_lo
	s_delay_alu instid0(VALU_DEP_2) | instskip(NEXT) | instid1(VALU_DEP_2)
	v_add_co_u32 v8, vcc_lo, v9, v8
	v_add_co_ci_u32_e32 v8, vcc_lo, v12, v14, vcc_lo
	v_add_co_ci_u32_e32 v9, vcc_lo, 0, v15, vcc_lo
	v_ashrrev_i32_e32 v15, 31, v11
	s_delay_alu instid0(VALU_DEP_3) | instskip(NEXT) | instid1(VALU_DEP_3)
	v_add_co_u32 v7, vcc_lo, v8, v7
	v_add_co_ci_u32_e32 v8, vcc_lo, 0, v9, vcc_lo
	s_delay_alu instid0(VALU_DEP_2) | instskip(NEXT) | instid1(VALU_DEP_2)
	v_add_co_u32 v3, vcc_lo, v3, v7
	v_add_co_ci_u32_e32 v5, vcc_lo, v5, v8, vcc_lo
	s_delay_alu instid0(VALU_DEP_2) | instskip(SKIP_1) | instid1(VALU_DEP_3)
	v_mul_hi_u32 v7, s0, v3
	v_mul_lo_u32 v9, s45, v3
	v_mul_lo_u32 v8, s0, v5
	s_delay_alu instid0(VALU_DEP_1) | instskip(SKIP_1) | instid1(VALU_DEP_2)
	v_add_nc_u32_e32 v7, v7, v8
	v_mul_lo_u32 v8, s0, v3
	v_add_nc_u32_e32 v7, v7, v9
	s_delay_alu instid0(VALU_DEP_2) | instskip(NEXT) | instid1(VALU_DEP_2)
	v_mul_hi_u32 v9, v3, v8
	v_mul_lo_u32 v12, v3, v7
	v_mul_hi_u32 v13, v3, v7
	v_mul_hi_u32 v14, v5, v8
	v_mul_lo_u32 v8, v5, v8
	v_mul_hi_u32 v16, v5, v7
	v_mul_lo_u32 v7, v5, v7
	v_add_co_u32 v9, vcc_lo, v9, v12
	v_add_co_ci_u32_e32 v12, vcc_lo, 0, v13, vcc_lo
	s_delay_alu instid0(VALU_DEP_2) | instskip(NEXT) | instid1(VALU_DEP_2)
	v_add_co_u32 v8, vcc_lo, v9, v8
	v_add_co_ci_u32_e32 v8, vcc_lo, v12, v14, vcc_lo
	v_add_co_ci_u32_e32 v9, vcc_lo, 0, v16, vcc_lo
	v_add_co_u32 v12, vcc_lo, v10, v15
	v_add_co_ci_u32_e32 v11, vcc_lo, v11, v15, vcc_lo
	s_delay_alu instid0(VALU_DEP_4) | instskip(NEXT) | instid1(VALU_DEP_4)
	v_add_co_u32 v7, vcc_lo, v8, v7
	v_add_co_ci_u32_e32 v8, vcc_lo, 0, v9, vcc_lo
	s_delay_alu instid0(VALU_DEP_4) | instskip(NEXT) | instid1(VALU_DEP_3)
	v_xor_b32_e32 v9, v12, v15
	v_add_co_u32 v3, vcc_lo, v3, v7
	s_delay_alu instid0(VALU_DEP_3) | instskip(SKIP_1) | instid1(VALU_DEP_3)
	v_add_co_ci_u32_e32 v5, vcc_lo, v5, v8, vcc_lo
	v_xor_b32_e32 v16, v11, v15
	v_mul_hi_u32 v17, v9, v3
	s_delay_alu instid0(VALU_DEP_3) | instskip(NEXT) | instid1(VALU_DEP_3)
	v_mad_u64_u32 v[7:8], null, v9, v5, 0
	v_mad_u64_u32 v[11:12], null, v16, v3, 0
	;; [unrolled: 1-line block ×3, first 2 shown]
	s_delay_alu instid0(VALU_DEP_3) | instskip(NEXT) | instid1(VALU_DEP_4)
	v_add_co_u32 v3, vcc_lo, v17, v7
	v_add_co_ci_u32_e32 v5, vcc_lo, 0, v8, vcc_lo
	s_delay_alu instid0(VALU_DEP_2) | instskip(NEXT) | instid1(VALU_DEP_2)
	v_add_co_u32 v3, vcc_lo, v3, v11
	v_add_co_ci_u32_e32 v3, vcc_lo, v5, v12, vcc_lo
	v_add_co_ci_u32_e32 v5, vcc_lo, 0, v14, vcc_lo
	s_delay_alu instid0(VALU_DEP_2) | instskip(NEXT) | instid1(VALU_DEP_2)
	v_add_co_u32 v3, vcc_lo, v3, v13
	v_add_co_ci_u32_e32 v5, vcc_lo, 0, v5, vcc_lo
	s_delay_alu instid0(VALU_DEP_2) | instskip(SKIP_1) | instid1(VALU_DEP_3)
	v_mul_lo_u32 v11, s29, v3
	v_mad_u64_u32 v[7:8], null, s28, v3, 0
	v_mul_lo_u32 v12, s28, v5
	s_delay_alu instid0(VALU_DEP_2) | instskip(NEXT) | instid1(VALU_DEP_2)
	v_sub_co_u32 v7, vcc_lo, v9, v7
	v_add3_u32 v8, v8, v12, v11
	s_delay_alu instid0(VALU_DEP_1) | instskip(NEXT) | instid1(VALU_DEP_1)
	v_sub_nc_u32_e32 v11, v16, v8
	v_subrev_co_ci_u32_e64 v9, s0, s29, v11, vcc_lo
	v_add_co_u32 v11, s0, v3, 2
	s_delay_alu instid0(VALU_DEP_1) | instskip(SKIP_3) | instid1(VALU_DEP_3)
	v_add_co_ci_u32_e64 v12, s0, 0, v5, s0
	v_sub_co_u32 v13, s0, v7, s28
	v_sub_co_ci_u32_e32 v8, vcc_lo, v16, v8, vcc_lo
	v_subrev_co_ci_u32_e64 v9, s0, 0, v9, s0
	v_cmp_le_u32_e32 vcc_lo, s28, v13
	s_delay_alu instid0(VALU_DEP_3) | instskip(SKIP_1) | instid1(VALU_DEP_4)
	v_cmp_eq_u32_e64 s0, s29, v8
	v_cndmask_b32_e64 v13, 0, -1, vcc_lo
	v_cmp_le_u32_e32 vcc_lo, s29, v9
	v_cndmask_b32_e64 v14, 0, -1, vcc_lo
	v_cmp_le_u32_e32 vcc_lo, s28, v7
	;; [unrolled: 2-line block ×3, first 2 shown]
	v_cndmask_b32_e64 v16, 0, -1, vcc_lo
	v_cmp_eq_u32_e32 vcc_lo, s29, v9
	s_delay_alu instid0(VALU_DEP_2) | instskip(SKIP_3) | instid1(VALU_DEP_3)
	v_cndmask_b32_e64 v7, v16, v7, s0
	v_cndmask_b32_e32 v9, v14, v13, vcc_lo
	v_add_co_u32 v13, vcc_lo, v3, 1
	v_add_co_ci_u32_e32 v14, vcc_lo, 0, v5, vcc_lo
	v_cmp_ne_u32_e32 vcc_lo, 0, v9
	s_delay_alu instid0(VALU_DEP_2) | instskip(SKIP_2) | instid1(VALU_DEP_3)
	v_dual_cndmask_b32 v8, v14, v12 :: v_dual_cndmask_b32 v9, v13, v11
	v_cmp_ne_u32_e32 vcc_lo, 0, v7
	v_xor_b32_e32 v7, s26, v15
	v_cndmask_b32_e32 v3, v3, v9, vcc_lo
	s_delay_alu instid0(VALU_DEP_4) | instskip(SKIP_1) | instid1(VALU_DEP_3)
	v_cndmask_b32_e32 v5, v5, v8, vcc_lo
	v_xor_b32_e32 v9, s27, v15
	v_xor_b32_e32 v3, v3, v7
	s_delay_alu instid0(VALU_DEP_2) | instskip(NEXT) | instid1(VALU_DEP_2)
	v_xor_b32_e32 v5, v5, v9
	v_sub_co_u32 v8, vcc_lo, v3, v7
	s_delay_alu instid0(VALU_DEP_2)
	v_sub_co_ci_u32_e32 v9, vcc_lo, v5, v9, vcc_lo
.LBB85_16:                              ;   in Loop: Header=BB85_14 Depth=2
	s_and_not1_saveexec_b32 s0, s44
	s_cbranch_execz .LBB85_18
; %bb.17:                               ;   in Loop: Header=BB85_14 Depth=2
	v_cvt_f32_u32_e32 v3, s43
	s_sub_i32 s26, 0, s43
	v_mov_b32_e32 v9, v2
	s_delay_alu instid0(VALU_DEP_2) | instskip(SKIP_2) | instid1(VALU_DEP_1)
	v_rcp_iflag_f32_e32 v3, v3
	s_waitcnt_depctr 0xfff
	v_mul_f32_e32 v3, 0x4f7ffffe, v3
	v_cvt_u32_f32_e32 v3, v3
	s_delay_alu instid0(VALU_DEP_1) | instskip(NEXT) | instid1(VALU_DEP_1)
	v_mul_lo_u32 v5, s26, v3
	v_mul_hi_u32 v5, v3, v5
	s_delay_alu instid0(VALU_DEP_1) | instskip(NEXT) | instid1(VALU_DEP_1)
	v_add_nc_u32_e32 v3, v3, v5
	v_mul_hi_u32 v3, v10, v3
	s_delay_alu instid0(VALU_DEP_1) | instskip(SKIP_1) | instid1(VALU_DEP_2)
	v_mul_lo_u32 v5, v3, s43
	v_add_nc_u32_e32 v7, 1, v3
	v_sub_nc_u32_e32 v5, v10, v5
	s_delay_alu instid0(VALU_DEP_1) | instskip(SKIP_1) | instid1(VALU_DEP_4)
	v_cmp_le_u32_e32 vcc_lo, s43, v5
	v_subrev_nc_u32_e32 v8, s43, v5
	v_cndmask_b32_e32 v3, v3, v7, vcc_lo
	s_delay_alu instid0(VALU_DEP_1) | instskip(NEXT) | instid1(VALU_DEP_3)
	v_add_nc_u32_e32 v7, 1, v3
	v_cndmask_b32_e32 v5, v5, v8, vcc_lo
	s_delay_alu instid0(VALU_DEP_1) | instskip(NEXT) | instid1(VALU_DEP_3)
	v_cmp_le_u32_e32 vcc_lo, s43, v5
	v_cndmask_b32_e32 v8, v3, v7, vcc_lo
.LBB85_18:                              ;   in Loop: Header=BB85_14 Depth=2
	s_or_b32 exec_lo, exec_lo, s0
	s_add_u32 s24, s36, s24
	s_addc_u32 s25, s37, s25
	s_clause 0x1
	s_load_b32 s0, s[22:23], 0x6c
	s_load_b32 s22, s[24:25], 0x0
	v_mul_lo_u32 v3, v8, s43
	s_add_i32 s16, s16, -1
	s_delay_alu instid0(VALU_DEP_1) | instskip(SKIP_1) | instid1(VALU_DEP_1)
	v_sub_nc_u32_e32 v3, v10, v3
	s_waitcnt lgkmcnt(0)
	v_mad_u64_u32 v[10:11], null, s0, v3, v[6:7]
	v_mad_u64_u32 v[5:6], null, s22, v3, v[4:5]
	s_xor_b32 s0, s39, s13
	s_add_i32 s13, s13, 1
	s_cmp_lg_u32 s0, 2
	s_delay_alu instid0(VALU_DEP_2) | instskip(NEXT) | instid1(VALU_DEP_2)
	v_mov_b32_e32 v6, v10
	v_mov_b32_e32 v4, v5
	s_cbranch_scc0 .LBB85_21
; %bb.19:                               ;   in Loop: Header=BB85_14 Depth=2
	v_dual_mov_b32 v11, v9 :: v_dual_mov_b32 v10, v8
	s_branch .LBB85_14
.LBB85_20:                              ;   in Loop: Header=BB85_3 Depth=1
	s_mov_b32 s16, s38
.LBB85_21:                              ;   in Loop: Header=BB85_3 Depth=1
	s_and_b32 vcc_lo, exec_lo, s42
	s_cbranch_vccz .LBB85_40
.LBB85_22:                              ;   Parent Loop BB85_3 Depth=1
                                        ; =>  This Inner Loop Header: Depth=2
	s_lshl_b64 s[22:23], s[16:17], 2
                                        ; implicit-def: $vgpr10_vgpr11
	s_mov_b32 s26, exec_lo
	s_add_u32 s24, s31, s22
	s_addc_u32 s25, s33, s23
	s_load_b32 s13, s[24:25], 0x8
	s_waitcnt lgkmcnt(0)
	s_ashr_i32 s0, s13, 31
	s_delay_alu instid0(SALU_CYCLE_1) | instskip(NEXT) | instid1(VALU_DEP_1)
	v_or_b32_e32 v3, s0, v9
	v_cmpx_ne_u64_e32 0, v[2:3]
	s_xor_b32 s43, exec_lo, s26
	s_cbranch_execz .LBB85_24
; %bb.23:                               ;   in Loop: Header=BB85_22 Depth=2
	s_add_u32 s28, s13, s0
	s_mov_b32 s26, s0
	s_mov_b32 s27, s0
	s_addc_u32 s29, s0, s0
	s_delay_alu instid0(SALU_CYCLE_1) | instskip(NEXT) | instid1(SALU_CYCLE_1)
	s_xor_b64 s[28:29], s[28:29], s[26:27]
	v_cvt_f32_u32_e32 v3, s28
	v_cvt_f32_u32_e32 v5, s29
	s_sub_u32 s0, 0, s28
	s_subb_u32 s44, 0, s29
	s_delay_alu instid0(VALU_DEP_1) | instskip(NEXT) | instid1(VALU_DEP_1)
	v_fmac_f32_e32 v3, 0x4f800000, v5
	v_rcp_f32_e32 v3, v3
	s_waitcnt_depctr 0xfff
	v_mul_f32_e32 v3, 0x5f7ffffc, v3
	s_delay_alu instid0(VALU_DEP_1) | instskip(NEXT) | instid1(VALU_DEP_1)
	v_mul_f32_e32 v5, 0x2f800000, v3
	v_trunc_f32_e32 v5, v5
	s_delay_alu instid0(VALU_DEP_1) | instskip(SKIP_1) | instid1(VALU_DEP_2)
	v_fmac_f32_e32 v3, 0xcf800000, v5
	v_cvt_u32_f32_e32 v5, v5
	v_cvt_u32_f32_e32 v3, v3
	s_delay_alu instid0(VALU_DEP_2) | instskip(NEXT) | instid1(VALU_DEP_2)
	v_mul_lo_u32 v7, s0, v5
	v_mul_hi_u32 v10, s0, v3
	v_mul_lo_u32 v11, s44, v3
	s_delay_alu instid0(VALU_DEP_2) | instskip(SKIP_1) | instid1(VALU_DEP_2)
	v_add_nc_u32_e32 v7, v10, v7
	v_mul_lo_u32 v10, s0, v3
	v_add_nc_u32_e32 v7, v7, v11
	s_delay_alu instid0(VALU_DEP_2) | instskip(NEXT) | instid1(VALU_DEP_2)
	v_mul_hi_u32 v11, v3, v10
	v_mul_lo_u32 v12, v3, v7
	v_mul_hi_u32 v13, v3, v7
	v_mul_hi_u32 v14, v5, v10
	v_mul_lo_u32 v10, v5, v10
	v_mul_hi_u32 v15, v5, v7
	v_mul_lo_u32 v7, v5, v7
	v_add_co_u32 v11, vcc_lo, v11, v12
	v_add_co_ci_u32_e32 v12, vcc_lo, 0, v13, vcc_lo
	s_delay_alu instid0(VALU_DEP_2) | instskip(NEXT) | instid1(VALU_DEP_2)
	v_add_co_u32 v10, vcc_lo, v11, v10
	v_add_co_ci_u32_e32 v10, vcc_lo, v12, v14, vcc_lo
	v_add_co_ci_u32_e32 v11, vcc_lo, 0, v15, vcc_lo
	v_ashrrev_i32_e32 v15, 31, v9
	s_delay_alu instid0(VALU_DEP_3) | instskip(NEXT) | instid1(VALU_DEP_3)
	v_add_co_u32 v7, vcc_lo, v10, v7
	v_add_co_ci_u32_e32 v10, vcc_lo, 0, v11, vcc_lo
	s_delay_alu instid0(VALU_DEP_2) | instskip(NEXT) | instid1(VALU_DEP_2)
	v_add_co_u32 v3, vcc_lo, v3, v7
	v_add_co_ci_u32_e32 v5, vcc_lo, v5, v10, vcc_lo
	s_delay_alu instid0(VALU_DEP_2) | instskip(SKIP_1) | instid1(VALU_DEP_3)
	v_mul_hi_u32 v7, s0, v3
	v_mul_lo_u32 v11, s44, v3
	v_mul_lo_u32 v10, s0, v5
	s_delay_alu instid0(VALU_DEP_1) | instskip(SKIP_1) | instid1(VALU_DEP_2)
	v_add_nc_u32_e32 v7, v7, v10
	v_mul_lo_u32 v10, s0, v3
	v_add_nc_u32_e32 v7, v7, v11
	s_delay_alu instid0(VALU_DEP_2) | instskip(NEXT) | instid1(VALU_DEP_2)
	v_mul_hi_u32 v11, v3, v10
	v_mul_lo_u32 v12, v3, v7
	v_mul_hi_u32 v13, v3, v7
	v_mul_hi_u32 v14, v5, v10
	v_mul_lo_u32 v10, v5, v10
	v_mul_hi_u32 v16, v5, v7
	v_mul_lo_u32 v7, v5, v7
	v_add_co_u32 v11, vcc_lo, v11, v12
	v_add_co_ci_u32_e32 v12, vcc_lo, 0, v13, vcc_lo
	s_delay_alu instid0(VALU_DEP_2) | instskip(NEXT) | instid1(VALU_DEP_2)
	v_add_co_u32 v10, vcc_lo, v11, v10
	v_add_co_ci_u32_e32 v10, vcc_lo, v12, v14, vcc_lo
	v_add_co_ci_u32_e32 v11, vcc_lo, 0, v16, vcc_lo
	v_add_co_u32 v12, vcc_lo, v8, v15
	v_add_co_ci_u32_e32 v9, vcc_lo, v9, v15, vcc_lo
	s_delay_alu instid0(VALU_DEP_4) | instskip(NEXT) | instid1(VALU_DEP_4)
	v_add_co_u32 v7, vcc_lo, v10, v7
	v_add_co_ci_u32_e32 v10, vcc_lo, 0, v11, vcc_lo
	s_delay_alu instid0(VALU_DEP_4) | instskip(NEXT) | instid1(VALU_DEP_3)
	v_xor_b32_e32 v16, v12, v15
	v_add_co_u32 v3, vcc_lo, v3, v7
	s_delay_alu instid0(VALU_DEP_3) | instskip(SKIP_1) | instid1(VALU_DEP_3)
	v_add_co_ci_u32_e32 v5, vcc_lo, v5, v10, vcc_lo
	v_xor_b32_e32 v7, v9, v15
	v_mul_hi_u32 v17, v16, v3
	s_delay_alu instid0(VALU_DEP_3) | instskip(NEXT) | instid1(VALU_DEP_3)
	v_mad_u64_u32 v[9:10], null, v16, v5, 0
	v_mad_u64_u32 v[11:12], null, v7, v3, 0
	;; [unrolled: 1-line block ×3, first 2 shown]
	s_delay_alu instid0(VALU_DEP_3) | instskip(NEXT) | instid1(VALU_DEP_4)
	v_add_co_u32 v3, vcc_lo, v17, v9
	v_add_co_ci_u32_e32 v5, vcc_lo, 0, v10, vcc_lo
	s_delay_alu instid0(VALU_DEP_2) | instskip(NEXT) | instid1(VALU_DEP_2)
	v_add_co_u32 v3, vcc_lo, v3, v11
	v_add_co_ci_u32_e32 v3, vcc_lo, v5, v12, vcc_lo
	v_add_co_ci_u32_e32 v5, vcc_lo, 0, v14, vcc_lo
	s_delay_alu instid0(VALU_DEP_2) | instskip(NEXT) | instid1(VALU_DEP_2)
	v_add_co_u32 v3, vcc_lo, v3, v13
	v_add_co_ci_u32_e32 v5, vcc_lo, 0, v5, vcc_lo
	s_delay_alu instid0(VALU_DEP_2) | instskip(SKIP_1) | instid1(VALU_DEP_3)
	v_mul_lo_u32 v11, s29, v3
	v_mad_u64_u32 v[9:10], null, s28, v3, 0
	v_mul_lo_u32 v12, s28, v5
	s_delay_alu instid0(VALU_DEP_2) | instskip(NEXT) | instid1(VALU_DEP_2)
	v_sub_co_u32 v9, vcc_lo, v16, v9
	v_add3_u32 v10, v10, v12, v11
	s_delay_alu instid0(VALU_DEP_1) | instskip(NEXT) | instid1(VALU_DEP_1)
	v_sub_nc_u32_e32 v11, v7, v10
	v_subrev_co_ci_u32_e64 v11, s0, s29, v11, vcc_lo
	v_add_co_u32 v12, s0, v3, 2
	s_delay_alu instid0(VALU_DEP_1) | instskip(SKIP_3) | instid1(VALU_DEP_3)
	v_add_co_ci_u32_e64 v13, s0, 0, v5, s0
	v_sub_co_u32 v14, s0, v9, s28
	v_sub_co_ci_u32_e32 v7, vcc_lo, v7, v10, vcc_lo
	v_subrev_co_ci_u32_e64 v11, s0, 0, v11, s0
	v_cmp_le_u32_e32 vcc_lo, s28, v14
	s_delay_alu instid0(VALU_DEP_3) | instskip(SKIP_1) | instid1(VALU_DEP_4)
	v_cmp_eq_u32_e64 s0, s29, v7
	v_cndmask_b32_e64 v10, 0, -1, vcc_lo
	v_cmp_le_u32_e32 vcc_lo, s29, v11
	v_cndmask_b32_e64 v14, 0, -1, vcc_lo
	v_cmp_le_u32_e32 vcc_lo, s28, v9
	;; [unrolled: 2-line block ×3, first 2 shown]
	v_cndmask_b32_e64 v16, 0, -1, vcc_lo
	v_cmp_eq_u32_e32 vcc_lo, s29, v11
	s_delay_alu instid0(VALU_DEP_2) | instskip(SKIP_3) | instid1(VALU_DEP_3)
	v_cndmask_b32_e64 v7, v16, v9, s0
	v_cndmask_b32_e32 v10, v14, v10, vcc_lo
	v_add_co_u32 v11, vcc_lo, v3, 1
	v_add_co_ci_u32_e32 v14, vcc_lo, 0, v5, vcc_lo
	v_cmp_ne_u32_e32 vcc_lo, 0, v10
	s_delay_alu instid0(VALU_DEP_2) | instskip(SKIP_2) | instid1(VALU_DEP_3)
	v_dual_cndmask_b32 v10, v11, v12 :: v_dual_cndmask_b32 v9, v14, v13
	v_cmp_ne_u32_e32 vcc_lo, 0, v7
	v_xor_b32_e32 v7, s26, v15
	v_cndmask_b32_e32 v3, v3, v10, vcc_lo
	s_delay_alu instid0(VALU_DEP_4) | instskip(SKIP_1) | instid1(VALU_DEP_3)
	v_cndmask_b32_e32 v5, v5, v9, vcc_lo
	v_xor_b32_e32 v9, s27, v15
	v_xor_b32_e32 v3, v3, v7
	s_delay_alu instid0(VALU_DEP_2) | instskip(NEXT) | instid1(VALU_DEP_2)
	v_xor_b32_e32 v5, v5, v9
	v_sub_co_u32 v10, vcc_lo, v3, v7
	s_delay_alu instid0(VALU_DEP_2)
	v_sub_co_ci_u32_e32 v11, vcc_lo, v5, v9, vcc_lo
.LBB85_24:                              ;   in Loop: Header=BB85_22 Depth=2
	s_and_not1_saveexec_b32 s0, s43
	s_cbranch_execz .LBB85_26
; %bb.25:                               ;   in Loop: Header=BB85_22 Depth=2
	v_cvt_f32_u32_e32 v3, s13
	s_sub_i32 s26, 0, s13
	v_mov_b32_e32 v11, v2
	s_delay_alu instid0(VALU_DEP_2) | instskip(SKIP_2) | instid1(VALU_DEP_1)
	v_rcp_iflag_f32_e32 v3, v3
	s_waitcnt_depctr 0xfff
	v_mul_f32_e32 v3, 0x4f7ffffe, v3
	v_cvt_u32_f32_e32 v3, v3
	s_delay_alu instid0(VALU_DEP_1) | instskip(NEXT) | instid1(VALU_DEP_1)
	v_mul_lo_u32 v5, s26, v3
	v_mul_hi_u32 v5, v3, v5
	s_delay_alu instid0(VALU_DEP_1) | instskip(NEXT) | instid1(VALU_DEP_1)
	v_add_nc_u32_e32 v3, v3, v5
	v_mul_hi_u32 v3, v8, v3
	s_delay_alu instid0(VALU_DEP_1) | instskip(SKIP_1) | instid1(VALU_DEP_2)
	v_mul_lo_u32 v5, v3, s13
	v_add_nc_u32_e32 v7, 1, v3
	v_sub_nc_u32_e32 v5, v8, v5
	s_delay_alu instid0(VALU_DEP_1) | instskip(SKIP_1) | instid1(VALU_DEP_4)
	v_cmp_le_u32_e32 vcc_lo, s13, v5
	v_subrev_nc_u32_e32 v9, s13, v5
	v_cndmask_b32_e32 v3, v3, v7, vcc_lo
	s_delay_alu instid0(VALU_DEP_1) | instskip(NEXT) | instid1(VALU_DEP_3)
	v_add_nc_u32_e32 v7, 1, v3
	v_cndmask_b32_e32 v5, v5, v9, vcc_lo
	s_delay_alu instid0(VALU_DEP_1) | instskip(NEXT) | instid1(VALU_DEP_3)
	v_cmp_le_u32_e32 vcc_lo, s13, v5
	v_cndmask_b32_e32 v10, v3, v7, vcc_lo
.LBB85_26:                              ;   in Loop: Header=BB85_22 Depth=2
	s_or_b32 exec_lo, exec_lo, s0
	s_add_u32 s28, s36, s22
	s_addc_u32 s29, s37, s23
	s_add_i32 s22, s16, -1
	s_mov_b32 s23, s17
                                        ; implicit-def: $vgpr12_vgpr13
	s_delay_alu instid0(SALU_CYCLE_1) | instskip(NEXT) | instid1(SALU_CYCLE_1)
	s_lshl_b64 s[26:27], s[22:23], 2
	s_add_u32 s22, s31, s26
	s_addc_u32 s23, s33, s27
	s_clause 0x2
	s_load_b32 s45, s[22:23], 0x8
	s_load_b32 s43, s[24:25], 0x6c
	;; [unrolled: 1-line block ×3, first 2 shown]
	s_mov_b32 s24, exec_lo
	s_waitcnt lgkmcnt(0)
	s_ashr_i32 s0, s45, 31
	s_delay_alu instid0(SALU_CYCLE_1) | instskip(NEXT) | instid1(VALU_DEP_1)
	v_or_b32_e32 v3, s0, v11
	v_cmpx_ne_u64_e32 0, v[2:3]
	s_xor_b32 s46, exec_lo, s24
	s_cbranch_execz .LBB85_28
; %bb.27:                               ;   in Loop: Header=BB85_22 Depth=2
	s_add_u32 s28, s45, s0
	s_mov_b32 s24, s0
	s_mov_b32 s25, s0
	s_addc_u32 s29, s0, s0
	v_ashrrev_i32_e32 v17, 31, v11
	s_xor_b64 s[28:29], s[28:29], s[24:25]
	s_delay_alu instid0(SALU_CYCLE_1) | instskip(SKIP_3) | instid1(VALU_DEP_1)
	v_cvt_f32_u32_e32 v3, s28
	v_cvt_f32_u32_e32 v5, s29
	s_sub_u32 s0, 0, s28
	s_subb_u32 s47, 0, s29
	v_fmac_f32_e32 v3, 0x4f800000, v5
	s_delay_alu instid0(VALU_DEP_1) | instskip(SKIP_2) | instid1(VALU_DEP_1)
	v_rcp_f32_e32 v3, v3
	s_waitcnt_depctr 0xfff
	v_mul_f32_e32 v3, 0x5f7ffffc, v3
	v_mul_f32_e32 v5, 0x2f800000, v3
	s_delay_alu instid0(VALU_DEP_1) | instskip(NEXT) | instid1(VALU_DEP_1)
	v_trunc_f32_e32 v5, v5
	v_fmac_f32_e32 v3, 0xcf800000, v5
	v_cvt_u32_f32_e32 v5, v5
	s_delay_alu instid0(VALU_DEP_2) | instskip(NEXT) | instid1(VALU_DEP_2)
	v_cvt_u32_f32_e32 v3, v3
	v_mul_lo_u32 v7, s0, v5
	s_delay_alu instid0(VALU_DEP_2) | instskip(SKIP_1) | instid1(VALU_DEP_2)
	v_mul_hi_u32 v9, s0, v3
	v_mul_lo_u32 v12, s47, v3
	v_add_nc_u32_e32 v7, v9, v7
	v_mul_lo_u32 v9, s0, v3
	s_delay_alu instid0(VALU_DEP_2) | instskip(NEXT) | instid1(VALU_DEP_2)
	v_add_nc_u32_e32 v7, v7, v12
	v_mul_hi_u32 v12, v3, v9
	s_delay_alu instid0(VALU_DEP_2)
	v_mul_lo_u32 v13, v3, v7
	v_mul_hi_u32 v14, v3, v7
	v_mul_hi_u32 v15, v5, v9
	v_mul_lo_u32 v9, v5, v9
	v_mul_hi_u32 v16, v5, v7
	v_mul_lo_u32 v7, v5, v7
	v_add_co_u32 v12, vcc_lo, v12, v13
	v_add_co_ci_u32_e32 v13, vcc_lo, 0, v14, vcc_lo
	s_delay_alu instid0(VALU_DEP_2) | instskip(NEXT) | instid1(VALU_DEP_2)
	v_add_co_u32 v9, vcc_lo, v12, v9
	v_add_co_ci_u32_e32 v9, vcc_lo, v13, v15, vcc_lo
	v_add_co_ci_u32_e32 v12, vcc_lo, 0, v16, vcc_lo
	s_delay_alu instid0(VALU_DEP_2) | instskip(NEXT) | instid1(VALU_DEP_2)
	v_add_co_u32 v7, vcc_lo, v9, v7
	v_add_co_ci_u32_e32 v9, vcc_lo, 0, v12, vcc_lo
	s_delay_alu instid0(VALU_DEP_2) | instskip(NEXT) | instid1(VALU_DEP_2)
	v_add_co_u32 v3, vcc_lo, v3, v7
	v_add_co_ci_u32_e32 v5, vcc_lo, v5, v9, vcc_lo
	s_delay_alu instid0(VALU_DEP_2) | instskip(SKIP_1) | instid1(VALU_DEP_3)
	v_mul_hi_u32 v7, s0, v3
	v_mul_lo_u32 v12, s47, v3
	v_mul_lo_u32 v9, s0, v5
	s_delay_alu instid0(VALU_DEP_1) | instskip(SKIP_1) | instid1(VALU_DEP_2)
	v_add_nc_u32_e32 v7, v7, v9
	v_mul_lo_u32 v9, s0, v3
	v_add_nc_u32_e32 v7, v7, v12
	s_delay_alu instid0(VALU_DEP_2) | instskip(NEXT) | instid1(VALU_DEP_2)
	v_mul_hi_u32 v12, v3, v9
	v_mul_lo_u32 v13, v3, v7
	v_mul_hi_u32 v14, v3, v7
	v_mul_hi_u32 v15, v5, v9
	v_mul_lo_u32 v9, v5, v9
	v_mul_hi_u32 v16, v5, v7
	v_mul_lo_u32 v7, v5, v7
	v_add_co_u32 v12, vcc_lo, v12, v13
	v_add_co_ci_u32_e32 v13, vcc_lo, 0, v14, vcc_lo
	s_delay_alu instid0(VALU_DEP_2) | instskip(NEXT) | instid1(VALU_DEP_2)
	v_add_co_u32 v9, vcc_lo, v12, v9
	v_add_co_ci_u32_e32 v9, vcc_lo, v13, v15, vcc_lo
	v_add_co_ci_u32_e32 v12, vcc_lo, 0, v16, vcc_lo
	v_add_co_u32 v13, vcc_lo, v10, v17
	v_add_co_ci_u32_e32 v11, vcc_lo, v11, v17, vcc_lo
	s_delay_alu instid0(VALU_DEP_4) | instskip(NEXT) | instid1(VALU_DEP_4)
	v_add_co_u32 v7, vcc_lo, v9, v7
	v_add_co_ci_u32_e32 v9, vcc_lo, 0, v12, vcc_lo
	s_delay_alu instid0(VALU_DEP_4) | instskip(NEXT) | instid1(VALU_DEP_3)
	v_xor_b32_e32 v21, v13, v17
	v_add_co_u32 v3, vcc_lo, v3, v7
	s_delay_alu instid0(VALU_DEP_3) | instskip(SKIP_1) | instid1(VALU_DEP_3)
	v_add_co_ci_u32_e32 v5, vcc_lo, v5, v9, vcc_lo
	v_xor_b32_e32 v7, v11, v17
	v_mul_hi_u32 v9, v21, v3
	s_delay_alu instid0(VALU_DEP_3) | instskip(NEXT) | instid1(VALU_DEP_3)
	v_mad_u64_u32 v[11:12], null, v21, v5, 0
	v_mad_u64_u32 v[13:14], null, v7, v3, 0
	v_mad_u64_u32 v[15:16], null, v7, v5, 0
	s_delay_alu instid0(VALU_DEP_3) | instskip(NEXT) | instid1(VALU_DEP_4)
	v_add_co_u32 v3, vcc_lo, v9, v11
	v_add_co_ci_u32_e32 v5, vcc_lo, 0, v12, vcc_lo
	s_delay_alu instid0(VALU_DEP_2) | instskip(NEXT) | instid1(VALU_DEP_2)
	v_add_co_u32 v3, vcc_lo, v3, v13
	v_add_co_ci_u32_e32 v3, vcc_lo, v5, v14, vcc_lo
	v_add_co_ci_u32_e32 v5, vcc_lo, 0, v16, vcc_lo
	s_delay_alu instid0(VALU_DEP_2) | instskip(NEXT) | instid1(VALU_DEP_2)
	v_add_co_u32 v3, vcc_lo, v3, v15
	v_add_co_ci_u32_e32 v5, vcc_lo, 0, v5, vcc_lo
	s_delay_alu instid0(VALU_DEP_2) | instskip(SKIP_1) | instid1(VALU_DEP_3)
	v_mul_lo_u32 v9, s29, v3
	v_mad_u64_u32 v[11:12], null, s28, v3, 0
	v_mul_lo_u32 v13, s28, v5
	s_delay_alu instid0(VALU_DEP_2) | instskip(NEXT) | instid1(VALU_DEP_2)
	v_sub_co_u32 v11, vcc_lo, v21, v11
	v_add3_u32 v9, v12, v13, v9
	s_delay_alu instid0(VALU_DEP_1) | instskip(NEXT) | instid1(VALU_DEP_1)
	v_sub_nc_u32_e32 v12, v7, v9
	v_subrev_co_ci_u32_e64 v12, s0, s29, v12, vcc_lo
	v_add_co_u32 v13, s0, v3, 2
	s_delay_alu instid0(VALU_DEP_1) | instskip(SKIP_3) | instid1(VALU_DEP_3)
	v_add_co_ci_u32_e64 v14, s0, 0, v5, s0
	v_sub_co_u32 v15, s0, v11, s28
	v_sub_co_ci_u32_e32 v7, vcc_lo, v7, v9, vcc_lo
	v_subrev_co_ci_u32_e64 v12, s0, 0, v12, s0
	v_cmp_le_u32_e32 vcc_lo, s28, v15
	s_delay_alu instid0(VALU_DEP_3) | instskip(SKIP_1) | instid1(VALU_DEP_4)
	v_cmp_eq_u32_e64 s0, s29, v7
	v_cndmask_b32_e64 v9, 0, -1, vcc_lo
	v_cmp_le_u32_e32 vcc_lo, s29, v12
	v_cndmask_b32_e64 v15, 0, -1, vcc_lo
	v_cmp_le_u32_e32 vcc_lo, s28, v11
	;; [unrolled: 2-line block ×3, first 2 shown]
	v_cndmask_b32_e64 v16, 0, -1, vcc_lo
	v_cmp_eq_u32_e32 vcc_lo, s29, v12
	s_delay_alu instid0(VALU_DEP_2) | instskip(SKIP_3) | instid1(VALU_DEP_3)
	v_cndmask_b32_e64 v7, v16, v11, s0
	v_cndmask_b32_e32 v9, v15, v9, vcc_lo
	v_add_co_u32 v12, vcc_lo, v3, 1
	v_add_co_ci_u32_e32 v15, vcc_lo, 0, v5, vcc_lo
	v_cmp_ne_u32_e32 vcc_lo, 0, v9
	s_delay_alu instid0(VALU_DEP_2) | instskip(NEXT) | instid1(VALU_DEP_4)
	v_cndmask_b32_e32 v9, v15, v14, vcc_lo
	v_cndmask_b32_e32 v11, v12, v13, vcc_lo
	v_cmp_ne_u32_e32 vcc_lo, 0, v7
	v_xor_b32_e32 v7, s24, v17
	s_delay_alu instid0(VALU_DEP_3) | instskip(SKIP_2) | instid1(VALU_DEP_3)
	v_cndmask_b32_e32 v3, v3, v11, vcc_lo
	v_cndmask_b32_e32 v5, v5, v9, vcc_lo
	v_xor_b32_e32 v9, s25, v17
	v_xor_b32_e32 v3, v3, v7
	s_delay_alu instid0(VALU_DEP_2) | instskip(NEXT) | instid1(VALU_DEP_2)
	v_xor_b32_e32 v5, v5, v9
	v_sub_co_u32 v12, vcc_lo, v3, v7
	s_delay_alu instid0(VALU_DEP_2)
	v_sub_co_ci_u32_e32 v13, vcc_lo, v5, v9, vcc_lo
.LBB85_28:                              ;   in Loop: Header=BB85_22 Depth=2
	s_and_not1_saveexec_b32 s0, s46
	s_cbranch_execz .LBB85_30
; %bb.29:                               ;   in Loop: Header=BB85_22 Depth=2
	v_cvt_f32_u32_e32 v3, s45
	s_sub_i32 s24, 0, s45
	v_mov_b32_e32 v13, v2
	s_delay_alu instid0(VALU_DEP_2) | instskip(SKIP_2) | instid1(VALU_DEP_1)
	v_rcp_iflag_f32_e32 v3, v3
	s_waitcnt_depctr 0xfff
	v_mul_f32_e32 v3, 0x4f7ffffe, v3
	v_cvt_u32_f32_e32 v3, v3
	s_delay_alu instid0(VALU_DEP_1) | instskip(NEXT) | instid1(VALU_DEP_1)
	v_mul_lo_u32 v5, s24, v3
	v_mul_hi_u32 v5, v3, v5
	s_delay_alu instid0(VALU_DEP_1) | instskip(NEXT) | instid1(VALU_DEP_1)
	v_add_nc_u32_e32 v3, v3, v5
	v_mul_hi_u32 v3, v10, v3
	s_delay_alu instid0(VALU_DEP_1) | instskip(SKIP_1) | instid1(VALU_DEP_2)
	v_mul_lo_u32 v5, v3, s45
	v_add_nc_u32_e32 v7, 1, v3
	v_sub_nc_u32_e32 v5, v10, v5
	s_delay_alu instid0(VALU_DEP_1) | instskip(SKIP_1) | instid1(VALU_DEP_4)
	v_cmp_le_u32_e32 vcc_lo, s45, v5
	v_subrev_nc_u32_e32 v9, s45, v5
	v_cndmask_b32_e32 v3, v3, v7, vcc_lo
	s_delay_alu instid0(VALU_DEP_1) | instskip(NEXT) | instid1(VALU_DEP_3)
	v_add_nc_u32_e32 v7, 1, v3
	v_cndmask_b32_e32 v5, v5, v9, vcc_lo
	s_delay_alu instid0(VALU_DEP_1) | instskip(NEXT) | instid1(VALU_DEP_3)
	v_cmp_le_u32_e32 vcc_lo, s45, v5
	v_cndmask_b32_e32 v12, v3, v7, vcc_lo
.LBB85_30:                              ;   in Loop: Header=BB85_22 Depth=2
	s_or_b32 exec_lo, exec_lo, s0
	s_add_u32 s28, s36, s26
	s_addc_u32 s29, s37, s27
	s_add_i32 s24, s16, -2
	s_mov_b32 s25, s17
                                        ; implicit-def: $vgpr14_vgpr15
	s_delay_alu instid0(SALU_CYCLE_1) | instskip(NEXT) | instid1(SALU_CYCLE_1)
	s_lshl_b64 s[24:25], s[24:25], 2
	s_add_u32 s26, s31, s24
	s_addc_u32 s27, s33, s25
	s_clause 0x2
	s_load_b32 s48, s[26:27], 0x8
	s_load_b32 s46, s[22:23], 0x6c
	;; [unrolled: 1-line block ×3, first 2 shown]
	s_mov_b32 s22, exec_lo
	s_waitcnt lgkmcnt(0)
	s_ashr_i32 s0, s48, 31
	s_delay_alu instid0(SALU_CYCLE_1) | instskip(NEXT) | instid1(VALU_DEP_1)
	v_or_b32_e32 v3, s0, v13
	v_cmpx_ne_u64_e32 0, v[2:3]
	s_xor_b32 s49, exec_lo, s22
	s_cbranch_execz .LBB85_32
; %bb.31:                               ;   in Loop: Header=BB85_22 Depth=2
	s_add_u32 s28, s48, s0
	s_mov_b32 s22, s0
	s_mov_b32 s23, s0
	s_addc_u32 s29, s0, s0
	s_delay_alu instid0(SALU_CYCLE_1) | instskip(NEXT) | instid1(SALU_CYCLE_1)
	s_xor_b64 s[28:29], s[28:29], s[22:23]
	v_cvt_f32_u32_e32 v3, s28
	v_cvt_f32_u32_e32 v5, s29
	s_sub_u32 s0, 0, s28
	s_subb_u32 s50, 0, s29
	s_delay_alu instid0(VALU_DEP_1) | instskip(NEXT) | instid1(VALU_DEP_1)
	v_fmac_f32_e32 v3, 0x4f800000, v5
	v_rcp_f32_e32 v3, v3
	s_waitcnt_depctr 0xfff
	v_mul_f32_e32 v3, 0x5f7ffffc, v3
	s_delay_alu instid0(VALU_DEP_1) | instskip(NEXT) | instid1(VALU_DEP_1)
	v_mul_f32_e32 v5, 0x2f800000, v3
	v_trunc_f32_e32 v5, v5
	s_delay_alu instid0(VALU_DEP_1) | instskip(SKIP_1) | instid1(VALU_DEP_2)
	v_fmac_f32_e32 v3, 0xcf800000, v5
	v_cvt_u32_f32_e32 v5, v5
	v_cvt_u32_f32_e32 v3, v3
	s_delay_alu instid0(VALU_DEP_2) | instskip(NEXT) | instid1(VALU_DEP_2)
	v_mul_lo_u32 v7, s0, v5
	v_mul_hi_u32 v9, s0, v3
	v_mul_lo_u32 v11, s50, v3
	s_delay_alu instid0(VALU_DEP_2) | instskip(SKIP_1) | instid1(VALU_DEP_2)
	v_add_nc_u32_e32 v7, v9, v7
	v_mul_lo_u32 v9, s0, v3
	v_add_nc_u32_e32 v7, v7, v11
	s_delay_alu instid0(VALU_DEP_2) | instskip(NEXT) | instid1(VALU_DEP_2)
	v_mul_hi_u32 v11, v3, v9
	v_mul_lo_u32 v14, v3, v7
	v_mul_hi_u32 v15, v3, v7
	v_mul_hi_u32 v16, v5, v9
	v_mul_lo_u32 v9, v5, v9
	v_mul_hi_u32 v17, v5, v7
	v_mul_lo_u32 v7, v5, v7
	v_add_co_u32 v11, vcc_lo, v11, v14
	v_add_co_ci_u32_e32 v14, vcc_lo, 0, v15, vcc_lo
	s_delay_alu instid0(VALU_DEP_2) | instskip(NEXT) | instid1(VALU_DEP_2)
	v_add_co_u32 v9, vcc_lo, v11, v9
	v_add_co_ci_u32_e32 v9, vcc_lo, v14, v16, vcc_lo
	v_add_co_ci_u32_e32 v11, vcc_lo, 0, v17, vcc_lo
	v_ashrrev_i32_e32 v17, 31, v13
	s_delay_alu instid0(VALU_DEP_3) | instskip(NEXT) | instid1(VALU_DEP_3)
	v_add_co_u32 v7, vcc_lo, v9, v7
	v_add_co_ci_u32_e32 v9, vcc_lo, 0, v11, vcc_lo
	s_delay_alu instid0(VALU_DEP_2) | instskip(NEXT) | instid1(VALU_DEP_2)
	v_add_co_u32 v3, vcc_lo, v3, v7
	v_add_co_ci_u32_e32 v5, vcc_lo, v5, v9, vcc_lo
	s_delay_alu instid0(VALU_DEP_2) | instskip(SKIP_1) | instid1(VALU_DEP_3)
	v_mul_hi_u32 v7, s0, v3
	v_mul_lo_u32 v11, s50, v3
	v_mul_lo_u32 v9, s0, v5
	s_delay_alu instid0(VALU_DEP_1) | instskip(SKIP_1) | instid1(VALU_DEP_2)
	v_add_nc_u32_e32 v7, v7, v9
	v_mul_lo_u32 v9, s0, v3
	v_add_nc_u32_e32 v7, v7, v11
	s_delay_alu instid0(VALU_DEP_2) | instskip(NEXT) | instid1(VALU_DEP_2)
	v_mul_hi_u32 v11, v3, v9
	v_mul_lo_u32 v14, v3, v7
	v_mul_hi_u32 v15, v3, v7
	v_mul_hi_u32 v16, v5, v9
	v_mul_lo_u32 v9, v5, v9
	v_mul_hi_u32 v21, v5, v7
	v_mul_lo_u32 v7, v5, v7
	v_add_co_u32 v11, vcc_lo, v11, v14
	v_add_co_ci_u32_e32 v14, vcc_lo, 0, v15, vcc_lo
	s_delay_alu instid0(VALU_DEP_2) | instskip(NEXT) | instid1(VALU_DEP_2)
	v_add_co_u32 v9, vcc_lo, v11, v9
	v_add_co_ci_u32_e32 v9, vcc_lo, v14, v16, vcc_lo
	v_add_co_ci_u32_e32 v11, vcc_lo, 0, v21, vcc_lo
	v_add_co_u32 v14, vcc_lo, v12, v17
	v_add_co_ci_u32_e32 v13, vcc_lo, v13, v17, vcc_lo
	s_delay_alu instid0(VALU_DEP_4) | instskip(NEXT) | instid1(VALU_DEP_4)
	v_add_co_u32 v7, vcc_lo, v9, v7
	v_add_co_ci_u32_e32 v9, vcc_lo, 0, v11, vcc_lo
	s_delay_alu instid0(VALU_DEP_4) | instskip(NEXT) | instid1(VALU_DEP_3)
	v_xor_b32_e32 v11, v14, v17
	v_add_co_u32 v3, vcc_lo, v3, v7
	s_delay_alu instid0(VALU_DEP_3) | instskip(SKIP_1) | instid1(VALU_DEP_3)
	v_add_co_ci_u32_e32 v5, vcc_lo, v5, v9, vcc_lo
	v_xor_b32_e32 v7, v13, v17
	v_mul_hi_u32 v9, v11, v3
	s_delay_alu instid0(VALU_DEP_3) | instskip(NEXT) | instid1(VALU_DEP_3)
	v_mad_u64_u32 v[13:14], null, v11, v5, 0
	v_mad_u64_u32 v[15:16], null, v7, v3, 0
	;; [unrolled: 1-line block ×3, first 2 shown]
	s_delay_alu instid0(VALU_DEP_3) | instskip(NEXT) | instid1(VALU_DEP_4)
	v_add_co_u32 v3, vcc_lo, v9, v13
	v_add_co_ci_u32_e32 v5, vcc_lo, 0, v14, vcc_lo
	s_delay_alu instid0(VALU_DEP_2) | instskip(NEXT) | instid1(VALU_DEP_2)
	v_add_co_u32 v3, vcc_lo, v3, v15
	v_add_co_ci_u32_e32 v3, vcc_lo, v5, v16, vcc_lo
	v_add_co_ci_u32_e32 v5, vcc_lo, 0, v22, vcc_lo
	s_delay_alu instid0(VALU_DEP_2) | instskip(NEXT) | instid1(VALU_DEP_2)
	v_add_co_u32 v3, vcc_lo, v3, v21
	v_add_co_ci_u32_e32 v5, vcc_lo, 0, v5, vcc_lo
	s_delay_alu instid0(VALU_DEP_2) | instskip(SKIP_1) | instid1(VALU_DEP_3)
	v_mul_lo_u32 v9, s29, v3
	v_mad_u64_u32 v[13:14], null, s28, v3, 0
	v_mul_lo_u32 v15, s28, v5
	s_delay_alu instid0(VALU_DEP_2) | instskip(NEXT) | instid1(VALU_DEP_2)
	v_sub_co_u32 v11, vcc_lo, v11, v13
	v_add3_u32 v9, v14, v15, v9
	s_delay_alu instid0(VALU_DEP_1) | instskip(NEXT) | instid1(VALU_DEP_1)
	v_sub_nc_u32_e32 v14, v7, v9
	v_subrev_co_ci_u32_e64 v13, s0, s29, v14, vcc_lo
	v_add_co_u32 v14, s0, v3, 2
	s_delay_alu instid0(VALU_DEP_1) | instskip(SKIP_3) | instid1(VALU_DEP_3)
	v_add_co_ci_u32_e64 v15, s0, 0, v5, s0
	v_sub_co_u32 v16, s0, v11, s28
	v_sub_co_ci_u32_e32 v7, vcc_lo, v7, v9, vcc_lo
	v_subrev_co_ci_u32_e64 v13, s0, 0, v13, s0
	v_cmp_le_u32_e32 vcc_lo, s28, v16
	s_delay_alu instid0(VALU_DEP_3) | instskip(SKIP_1) | instid1(VALU_DEP_4)
	v_cmp_eq_u32_e64 s0, s29, v7
	v_cndmask_b32_e64 v9, 0, -1, vcc_lo
	v_cmp_le_u32_e32 vcc_lo, s29, v13
	v_cndmask_b32_e64 v16, 0, -1, vcc_lo
	v_cmp_le_u32_e32 vcc_lo, s28, v11
	;; [unrolled: 2-line block ×3, first 2 shown]
	v_cndmask_b32_e64 v21, 0, -1, vcc_lo
	v_cmp_eq_u32_e32 vcc_lo, s29, v13
	s_delay_alu instid0(VALU_DEP_2) | instskip(SKIP_3) | instid1(VALU_DEP_3)
	v_cndmask_b32_e64 v7, v21, v11, s0
	v_cndmask_b32_e32 v9, v16, v9, vcc_lo
	v_add_co_u32 v13, vcc_lo, v3, 1
	v_add_co_ci_u32_e32 v16, vcc_lo, 0, v5, vcc_lo
	v_cmp_ne_u32_e32 vcc_lo, 0, v9
	s_delay_alu instid0(VALU_DEP_2) | instskip(NEXT) | instid1(VALU_DEP_4)
	v_cndmask_b32_e32 v9, v16, v15, vcc_lo
	v_cndmask_b32_e32 v11, v13, v14, vcc_lo
	v_cmp_ne_u32_e32 vcc_lo, 0, v7
	v_xor_b32_e32 v7, s22, v17
	s_delay_alu instid0(VALU_DEP_3) | instskip(SKIP_2) | instid1(VALU_DEP_3)
	v_cndmask_b32_e32 v3, v3, v11, vcc_lo
	v_cndmask_b32_e32 v5, v5, v9, vcc_lo
	v_xor_b32_e32 v9, s23, v17
	v_xor_b32_e32 v3, v3, v7
	s_delay_alu instid0(VALU_DEP_2) | instskip(NEXT) | instid1(VALU_DEP_2)
	v_xor_b32_e32 v5, v5, v9
	v_sub_co_u32 v14, vcc_lo, v3, v7
	s_delay_alu instid0(VALU_DEP_2)
	v_sub_co_ci_u32_e32 v15, vcc_lo, v5, v9, vcc_lo
.LBB85_32:                              ;   in Loop: Header=BB85_22 Depth=2
	s_and_not1_saveexec_b32 s0, s49
	s_cbranch_execz .LBB85_34
; %bb.33:                               ;   in Loop: Header=BB85_22 Depth=2
	v_cvt_f32_u32_e32 v3, s48
	s_sub_i32 s22, 0, s48
	v_mov_b32_e32 v15, v2
	s_delay_alu instid0(VALU_DEP_2) | instskip(SKIP_2) | instid1(VALU_DEP_1)
	v_rcp_iflag_f32_e32 v3, v3
	s_waitcnt_depctr 0xfff
	v_mul_f32_e32 v3, 0x4f7ffffe, v3
	v_cvt_u32_f32_e32 v3, v3
	s_delay_alu instid0(VALU_DEP_1) | instskip(NEXT) | instid1(VALU_DEP_1)
	v_mul_lo_u32 v5, s22, v3
	v_mul_hi_u32 v5, v3, v5
	s_delay_alu instid0(VALU_DEP_1) | instskip(NEXT) | instid1(VALU_DEP_1)
	v_add_nc_u32_e32 v3, v3, v5
	v_mul_hi_u32 v3, v12, v3
	s_delay_alu instid0(VALU_DEP_1) | instskip(SKIP_1) | instid1(VALU_DEP_2)
	v_mul_lo_u32 v5, v3, s48
	v_add_nc_u32_e32 v7, 1, v3
	v_sub_nc_u32_e32 v5, v12, v5
	s_delay_alu instid0(VALU_DEP_1) | instskip(SKIP_1) | instid1(VALU_DEP_4)
	v_cmp_le_u32_e32 vcc_lo, s48, v5
	v_subrev_nc_u32_e32 v9, s48, v5
	v_cndmask_b32_e32 v3, v3, v7, vcc_lo
	s_delay_alu instid0(VALU_DEP_1) | instskip(NEXT) | instid1(VALU_DEP_3)
	v_add_nc_u32_e32 v7, 1, v3
	v_cndmask_b32_e32 v5, v5, v9, vcc_lo
	s_delay_alu instid0(VALU_DEP_1) | instskip(NEXT) | instid1(VALU_DEP_3)
	v_cmp_le_u32_e32 vcc_lo, s48, v5
	v_cndmask_b32_e32 v14, v3, v7, vcc_lo
.LBB85_34:                              ;   in Loop: Header=BB85_22 Depth=2
	s_or_b32 exec_lo, exec_lo, s0
	s_add_u32 s28, s36, s24
	s_addc_u32 s29, s37, s25
	s_add_i32 s22, s16, -3
	s_mov_b32 s23, s17
                                        ; implicit-def: $vgpr16_vgpr17
	s_delay_alu instid0(SALU_CYCLE_1) | instskip(NEXT) | instid1(SALU_CYCLE_1)
	s_lshl_b64 s[24:25], s[22:23], 2
	s_add_u32 s22, s31, s24
	s_addc_u32 s23, s33, s25
	s_clause 0x2
	s_load_b32 s51, s[22:23], 0x8
	s_load_b32 s49, s[26:27], 0x6c
	;; [unrolled: 1-line block ×3, first 2 shown]
	s_mov_b32 s26, exec_lo
	s_waitcnt lgkmcnt(0)
	s_ashr_i32 s0, s51, 31
	s_delay_alu instid0(SALU_CYCLE_1) | instskip(NEXT) | instid1(VALU_DEP_1)
	v_or_b32_e32 v3, s0, v15
	v_cmpx_ne_u64_e32 0, v[2:3]
	s_xor_b32 s52, exec_lo, s26
	s_cbranch_execz .LBB85_36
; %bb.35:                               ;   in Loop: Header=BB85_22 Depth=2
	s_add_u32 s28, s51, s0
	s_mov_b32 s26, s0
	s_mov_b32 s27, s0
	s_addc_u32 s29, s0, s0
	s_delay_alu instid0(SALU_CYCLE_1) | instskip(NEXT) | instid1(SALU_CYCLE_1)
	s_xor_b64 s[28:29], s[28:29], s[26:27]
	v_cvt_f32_u32_e32 v3, s28
	v_cvt_f32_u32_e32 v5, s29
	s_sub_u32 s0, 0, s28
	s_subb_u32 s53, 0, s29
	s_delay_alu instid0(VALU_DEP_1) | instskip(NEXT) | instid1(VALU_DEP_1)
	v_fmac_f32_e32 v3, 0x4f800000, v5
	v_rcp_f32_e32 v3, v3
	s_waitcnt_depctr 0xfff
	v_mul_f32_e32 v3, 0x5f7ffffc, v3
	s_delay_alu instid0(VALU_DEP_1) | instskip(NEXT) | instid1(VALU_DEP_1)
	v_mul_f32_e32 v5, 0x2f800000, v3
	v_trunc_f32_e32 v5, v5
	s_delay_alu instid0(VALU_DEP_1) | instskip(SKIP_1) | instid1(VALU_DEP_2)
	v_fmac_f32_e32 v3, 0xcf800000, v5
	v_cvt_u32_f32_e32 v5, v5
	v_cvt_u32_f32_e32 v3, v3
	s_delay_alu instid0(VALU_DEP_2) | instskip(NEXT) | instid1(VALU_DEP_2)
	v_mul_lo_u32 v7, s0, v5
	v_mul_hi_u32 v9, s0, v3
	v_mul_lo_u32 v11, s53, v3
	s_delay_alu instid0(VALU_DEP_2) | instskip(SKIP_1) | instid1(VALU_DEP_2)
	v_add_nc_u32_e32 v7, v9, v7
	v_mul_lo_u32 v9, s0, v3
	v_add_nc_u32_e32 v7, v7, v11
	s_delay_alu instid0(VALU_DEP_2) | instskip(NEXT) | instid1(VALU_DEP_2)
	v_mul_hi_u32 v11, v3, v9
	v_mul_lo_u32 v13, v3, v7
	v_mul_hi_u32 v16, v3, v7
	v_mul_hi_u32 v17, v5, v9
	v_mul_lo_u32 v9, v5, v9
	v_mul_hi_u32 v21, v5, v7
	v_mul_lo_u32 v7, v5, v7
	v_add_co_u32 v11, vcc_lo, v11, v13
	v_add_co_ci_u32_e32 v13, vcc_lo, 0, v16, vcc_lo
	s_delay_alu instid0(VALU_DEP_2) | instskip(NEXT) | instid1(VALU_DEP_2)
	v_add_co_u32 v9, vcc_lo, v11, v9
	v_add_co_ci_u32_e32 v9, vcc_lo, v13, v17, vcc_lo
	v_add_co_ci_u32_e32 v11, vcc_lo, 0, v21, vcc_lo
	v_ashrrev_i32_e32 v17, 31, v15
	s_delay_alu instid0(VALU_DEP_3) | instskip(NEXT) | instid1(VALU_DEP_3)
	v_add_co_u32 v7, vcc_lo, v9, v7
	v_add_co_ci_u32_e32 v9, vcc_lo, 0, v11, vcc_lo
	s_delay_alu instid0(VALU_DEP_2) | instskip(NEXT) | instid1(VALU_DEP_2)
	v_add_co_u32 v3, vcc_lo, v3, v7
	v_add_co_ci_u32_e32 v5, vcc_lo, v5, v9, vcc_lo
	s_delay_alu instid0(VALU_DEP_2) | instskip(SKIP_1) | instid1(VALU_DEP_3)
	v_mul_hi_u32 v7, s0, v3
	v_mul_lo_u32 v11, s53, v3
	v_mul_lo_u32 v9, s0, v5
	s_delay_alu instid0(VALU_DEP_1) | instskip(SKIP_1) | instid1(VALU_DEP_2)
	v_add_nc_u32_e32 v7, v7, v9
	v_mul_lo_u32 v9, s0, v3
	v_add_nc_u32_e32 v7, v7, v11
	s_delay_alu instid0(VALU_DEP_2) | instskip(NEXT) | instid1(VALU_DEP_2)
	v_mul_hi_u32 v11, v3, v9
	v_mul_lo_u32 v13, v3, v7
	v_mul_hi_u32 v16, v3, v7
	v_mul_hi_u32 v21, v5, v9
	v_mul_lo_u32 v9, v5, v9
	v_mul_hi_u32 v22, v5, v7
	v_mul_lo_u32 v7, v5, v7
	v_add_co_u32 v11, vcc_lo, v11, v13
	v_add_co_ci_u32_e32 v13, vcc_lo, 0, v16, vcc_lo
	s_delay_alu instid0(VALU_DEP_2) | instskip(NEXT) | instid1(VALU_DEP_2)
	v_add_co_u32 v9, vcc_lo, v11, v9
	v_add_co_ci_u32_e32 v9, vcc_lo, v13, v21, vcc_lo
	v_add_co_ci_u32_e32 v11, vcc_lo, 0, v22, vcc_lo
	v_add_co_u32 v13, vcc_lo, v14, v17
	v_add_co_ci_u32_e32 v15, vcc_lo, v15, v17, vcc_lo
	s_delay_alu instid0(VALU_DEP_4) | instskip(NEXT) | instid1(VALU_DEP_4)
	v_add_co_u32 v7, vcc_lo, v9, v7
	v_add_co_ci_u32_e32 v9, vcc_lo, 0, v11, vcc_lo
	s_delay_alu instid0(VALU_DEP_4) | instskip(NEXT) | instid1(VALU_DEP_3)
	v_xor_b32_e32 v11, v13, v17
	v_add_co_u32 v3, vcc_lo, v3, v7
	s_delay_alu instid0(VALU_DEP_3) | instskip(SKIP_1) | instid1(VALU_DEP_3)
	v_add_co_ci_u32_e32 v5, vcc_lo, v5, v9, vcc_lo
	v_xor_b32_e32 v7, v15, v17
	v_mul_hi_u32 v9, v11, v3
	s_delay_alu instid0(VALU_DEP_3) | instskip(NEXT) | instid1(VALU_DEP_3)
	v_mad_u64_u32 v[15:16], null, v11, v5, 0
	v_mad_u64_u32 v[21:22], null, v7, v3, 0
	;; [unrolled: 1-line block ×3, first 2 shown]
	s_delay_alu instid0(VALU_DEP_3) | instskip(NEXT) | instid1(VALU_DEP_4)
	v_add_co_u32 v3, vcc_lo, v9, v15
	v_add_co_ci_u32_e32 v5, vcc_lo, 0, v16, vcc_lo
	s_delay_alu instid0(VALU_DEP_2) | instskip(NEXT) | instid1(VALU_DEP_2)
	v_add_co_u32 v3, vcc_lo, v3, v21
	v_add_co_ci_u32_e32 v3, vcc_lo, v5, v22, vcc_lo
	v_add_co_ci_u32_e32 v5, vcc_lo, 0, v24, vcc_lo
	s_delay_alu instid0(VALU_DEP_2) | instskip(NEXT) | instid1(VALU_DEP_2)
	v_add_co_u32 v3, vcc_lo, v3, v23
	v_add_co_ci_u32_e32 v5, vcc_lo, 0, v5, vcc_lo
	s_delay_alu instid0(VALU_DEP_2) | instskip(SKIP_1) | instid1(VALU_DEP_3)
	v_mul_lo_u32 v9, s29, v3
	v_mad_u64_u32 v[15:16], null, s28, v3, 0
	v_mul_lo_u32 v13, s28, v5
	s_delay_alu instid0(VALU_DEP_2) | instskip(NEXT) | instid1(VALU_DEP_2)
	v_sub_co_u32 v11, vcc_lo, v11, v15
	v_add3_u32 v9, v16, v13, v9
	s_delay_alu instid0(VALU_DEP_1) | instskip(NEXT) | instid1(VALU_DEP_1)
	v_sub_nc_u32_e32 v13, v7, v9
	v_subrev_co_ci_u32_e64 v13, s0, s29, v13, vcc_lo
	v_add_co_u32 v15, s0, v3, 2
	s_delay_alu instid0(VALU_DEP_1) | instskip(SKIP_3) | instid1(VALU_DEP_3)
	v_add_co_ci_u32_e64 v16, s0, 0, v5, s0
	v_sub_co_u32 v21, s0, v11, s28
	v_sub_co_ci_u32_e32 v7, vcc_lo, v7, v9, vcc_lo
	v_subrev_co_ci_u32_e64 v13, s0, 0, v13, s0
	v_cmp_le_u32_e32 vcc_lo, s28, v21
	s_delay_alu instid0(VALU_DEP_3) | instskip(SKIP_1) | instid1(VALU_DEP_4)
	v_cmp_eq_u32_e64 s0, s29, v7
	v_cndmask_b32_e64 v9, 0, -1, vcc_lo
	v_cmp_le_u32_e32 vcc_lo, s29, v13
	v_cndmask_b32_e64 v21, 0, -1, vcc_lo
	v_cmp_le_u32_e32 vcc_lo, s28, v11
	;; [unrolled: 2-line block ×3, first 2 shown]
	v_cndmask_b32_e64 v22, 0, -1, vcc_lo
	v_cmp_eq_u32_e32 vcc_lo, s29, v13
	s_delay_alu instid0(VALU_DEP_2) | instskip(SKIP_3) | instid1(VALU_DEP_3)
	v_cndmask_b32_e64 v7, v22, v11, s0
	v_cndmask_b32_e32 v9, v21, v9, vcc_lo
	v_add_co_u32 v13, vcc_lo, v3, 1
	v_add_co_ci_u32_e32 v21, vcc_lo, 0, v5, vcc_lo
	v_cmp_ne_u32_e32 vcc_lo, 0, v9
	s_delay_alu instid0(VALU_DEP_2) | instskip(NEXT) | instid1(VALU_DEP_4)
	v_cndmask_b32_e32 v9, v21, v16, vcc_lo
	v_cndmask_b32_e32 v11, v13, v15, vcc_lo
	v_cmp_ne_u32_e32 vcc_lo, 0, v7
	v_xor_b32_e32 v7, s26, v17
	s_delay_alu instid0(VALU_DEP_3) | instskip(SKIP_2) | instid1(VALU_DEP_3)
	v_cndmask_b32_e32 v3, v3, v11, vcc_lo
	v_cndmask_b32_e32 v5, v5, v9, vcc_lo
	v_xor_b32_e32 v9, s27, v17
	v_xor_b32_e32 v3, v3, v7
	s_delay_alu instid0(VALU_DEP_2) | instskip(NEXT) | instid1(VALU_DEP_2)
	v_xor_b32_e32 v5, v5, v9
	v_sub_co_u32 v16, vcc_lo, v3, v7
	s_delay_alu instid0(VALU_DEP_2)
	v_sub_co_ci_u32_e32 v17, vcc_lo, v5, v9, vcc_lo
.LBB85_36:                              ;   in Loop: Header=BB85_22 Depth=2
	s_and_not1_saveexec_b32 s0, s52
	s_cbranch_execz .LBB85_38
; %bb.37:                               ;   in Loop: Header=BB85_22 Depth=2
	v_cvt_f32_u32_e32 v3, s51
	s_sub_i32 s26, 0, s51
	v_mov_b32_e32 v17, v2
	s_delay_alu instid0(VALU_DEP_2) | instskip(SKIP_2) | instid1(VALU_DEP_1)
	v_rcp_iflag_f32_e32 v3, v3
	s_waitcnt_depctr 0xfff
	v_mul_f32_e32 v3, 0x4f7ffffe, v3
	v_cvt_u32_f32_e32 v3, v3
	s_delay_alu instid0(VALU_DEP_1) | instskip(NEXT) | instid1(VALU_DEP_1)
	v_mul_lo_u32 v5, s26, v3
	v_mul_hi_u32 v5, v3, v5
	s_delay_alu instid0(VALU_DEP_1) | instskip(NEXT) | instid1(VALU_DEP_1)
	v_add_nc_u32_e32 v3, v3, v5
	v_mul_hi_u32 v3, v14, v3
	s_delay_alu instid0(VALU_DEP_1) | instskip(SKIP_1) | instid1(VALU_DEP_2)
	v_mul_lo_u32 v5, v3, s51
	v_add_nc_u32_e32 v7, 1, v3
	v_sub_nc_u32_e32 v5, v14, v5
	s_delay_alu instid0(VALU_DEP_1) | instskip(SKIP_1) | instid1(VALU_DEP_4)
	v_cmp_le_u32_e32 vcc_lo, s51, v5
	v_subrev_nc_u32_e32 v9, s51, v5
	v_cndmask_b32_e32 v3, v3, v7, vcc_lo
	s_delay_alu instid0(VALU_DEP_1) | instskip(NEXT) | instid1(VALU_DEP_3)
	v_add_nc_u32_e32 v7, 1, v3
	v_cndmask_b32_e32 v5, v5, v9, vcc_lo
	s_delay_alu instid0(VALU_DEP_1) | instskip(NEXT) | instid1(VALU_DEP_3)
	v_cmp_le_u32_e32 vcc_lo, s51, v5
	v_cndmask_b32_e32 v16, v3, v7, vcc_lo
.LBB85_38:                              ;   in Loop: Header=BB85_22 Depth=2
	s_or_b32 exec_lo, exec_lo, s0
	s_add_u32 s24, s36, s24
	s_addc_u32 s25, s37, s25
	v_mul_lo_u32 v3, v10, s13
	s_clause 0x1
	s_load_b32 s0, s[22:23], 0x6c
	s_load_b32 s13, s[24:25], 0x0
	v_mul_lo_u32 v5, v12, s45
	v_mul_lo_u32 v7, v14, s48
	;; [unrolled: 1-line block ×3, first 2 shown]
	s_add_i32 s16, s16, -4
	s_delay_alu instid0(SALU_CYCLE_1) | instskip(SKIP_1) | instid1(VALU_DEP_4)
	s_cmp_eq_u32 s16, -1
	v_sub_nc_u32_e32 v3, v8, v3
	v_sub_nc_u32_e32 v5, v10, v5
	s_delay_alu instid0(VALU_DEP_4) | instskip(NEXT) | instid1(VALU_DEP_4)
	v_sub_nc_u32_e32 v7, v12, v7
	v_sub_nc_u32_e32 v8, v14, v9
	s_delay_alu instid0(VALU_DEP_4)
	v_mul_lo_u32 v9, s43, v3
	v_mul_lo_u32 v3, s44, v3
	;; [unrolled: 1-line block ×6, first 2 shown]
	s_waitcnt lgkmcnt(0)
	v_mul_lo_u32 v12, s0, v8
	v_mul_lo_u32 v8, s13, v8
	v_add3_u32 v6, v9, v6, v10
	v_add3_u32 v3, v3, v4, v5
	s_delay_alu instid0(VALU_DEP_2) | instskip(NEXT) | instid1(VALU_DEP_2)
	v_add3_u32 v6, v11, v6, v12
	v_add3_u32 v4, v7, v3, v8
	s_cbranch_scc1 .LBB85_40
; %bb.39:                               ;   in Loop: Header=BB85_22 Depth=2
	v_dual_mov_b32 v8, v16 :: v_dual_mov_b32 v9, v17
	s_branch .LBB85_22
.LBB85_40:                              ;   in Loop: Header=BB85_3 Depth=1
	v_sub_nc_u32_e32 v5, v19, v20
	v_dual_mov_b32 v7, 0 :: v_dual_mov_b32 v12, 0
	v_mov_b32_e32 v11, 0
	s_mov_b32 s13, exec_lo
	s_delay_alu instid0(VALU_DEP_3) | instskip(NEXT) | instid1(VALU_DEP_1)
	v_dual_mov_b32 v8, 0 :: v_dual_add_nc_u32 v9, 2, v5
	v_ashrrev_i32_e32 v10, 31, v9
	s_delay_alu instid0(VALU_DEP_1)
	v_cmpx_le_i64_e64 s[4:5], v[9:10]
	s_cbranch_execz .LBB85_46
; %bb.41:                               ;   in Loop: Header=BB85_3 Depth=1
	v_dual_mov_b32 v8, 0 :: v_dual_mov_b32 v7, 0
	v_dual_mov_b32 v10, 0 :: v_dual_mov_b32 v9, 0
	s_mov_b32 s0, exec_lo
	v_cmpx_gt_i32_e64 s9, v19
	s_cbranch_execz .LBB85_45
; %bb.42:                               ;   in Loop: Header=BB85_3 Depth=1
	v_ashrrev_i32_e32 v7, 31, v6
	v_dual_mov_b32 v10, 0 :: v_dual_add_nc_u32 v3, 1, v19
	v_mov_b32_e32 v9, 0
	s_mov_b32 s16, exec_lo
	s_delay_alu instid0(VALU_DEP_3) | instskip(NEXT) | instid1(VALU_DEP_1)
	v_lshlrev_b64 v[6:7], 3, v[6:7]
	v_add_co_u32 v11, vcc_lo, s2, v6
	s_delay_alu instid0(VALU_DEP_2)
	v_add_co_ci_u32_e32 v12, vcc_lo, s3, v7, vcc_lo
	global_load_b64 v[7:8], v[11:12], off
	v_cmpx_gt_i32_e64 s9, v3
	s_xor_b32 s16, exec_lo, s16
	s_cbranch_execz .LBB85_44
; %bb.43:                               ;   in Loop: Header=BB85_3 Depth=1
	s_lshl_b64 s[22:23], s[18:19], 3
	s_delay_alu instid0(SALU_CYCLE_1)
	v_add_co_u32 v9, vcc_lo, v11, s22
	v_add_co_ci_u32_e32 v10, vcc_lo, s23, v12, vcc_lo
	global_load_b64 v[9:10], v[9:10], off
.LBB85_44:                              ;   in Loop: Header=BB85_3 Depth=1
	s_or_b32 exec_lo, exec_lo, s16
.LBB85_45:                              ;   in Loop: Header=BB85_3 Depth=1
	s_delay_alu instid0(SALU_CYCLE_1) | instskip(SKIP_2) | instid1(VALU_DEP_2)
	s_or_b32 exec_lo, exec_lo, s0
	v_add_nc_u32_e32 v11, 1, v5
	v_ashrrev_i32_e32 v6, 31, v5
	v_ashrrev_i32_e32 v12, 31, v11
	s_delay_alu instid0(VALU_DEP_2) | instskip(NEXT) | instid1(VALU_DEP_2)
	v_cmp_gt_i64_e32 vcc_lo, s[4:5], v[5:6]
	v_cmp_gt_i64_e64 s0, s[4:5], v[11:12]
	s_waitcnt vmcnt(0)
	v_cndmask_b32_e64 v11, v7, 0, vcc_lo
	v_cndmask_b32_e64 v12, v8, 0, vcc_lo
	s_delay_alu instid0(VALU_DEP_3)
	v_cndmask_b32_e64 v7, v9, 0, s0
	v_cndmask_b32_e64 v8, v10, 0, s0
.LBB85_46:                              ;   in Loop: Header=BB85_3 Depth=1
	s_or_b32 exec_lo, exec_lo, s13
	s_delay_alu instid0(SALU_CYCLE_1)
	s_mov_b32 s0, exec_lo
	v_cmpx_gt_i32_e64 s9, v19
	s_cbranch_execz .LBB85_2
; %bb.47:                               ;   in Loop: Header=BB85_3 Depth=1
	v_ashrrev_i32_e32 v5, 31, v4
	s_mov_b32 s13, exec_lo
	s_delay_alu instid0(VALU_DEP_1) | instskip(SKIP_1) | instid1(VALU_DEP_2)
	v_lshlrev_b64 v[3:4], 3, v[4:5]
	v_add_nc_u32_e32 v5, 1, v19
	v_add_co_u32 v3, vcc_lo, s14, v3
	s_delay_alu instid0(VALU_DEP_3)
	v_add_co_ci_u32_e32 v4, vcc_lo, s15, v4, vcc_lo
	global_store_b64 v[3:4], v[11:12], off
	v_cmpx_gt_i32_e64 s9, v5
	s_xor_b32 s13, exec_lo, s13
	s_cbranch_execz .LBB85_2
; %bb.48:                               ;   in Loop: Header=BB85_3 Depth=1
	s_lshl_b64 s[22:23], s[20:21], 3
	s_delay_alu instid0(SALU_CYCLE_1)
	v_add_co_u32 v3, vcc_lo, v3, s22
	v_add_co_ci_u32_e32 v4, vcc_lo, s23, v4, vcc_lo
	global_store_b64 v[3:4], v[7:8], off
	s_branch .LBB85_2
.LBB85_49:
	s_nop 0
	s_sendmsg sendmsg(MSG_DEALLOC_VGPRS)
	s_endpgm
	.section	.rodata,"a",@progbits
	.p2align	6, 0x0
	.amdhsa_kernel _ZN2at6native16triu_tril_kernelIN3c107complexIfEEiLb1ELi2ELb0EEEvNS_4cuda6detail10TensorInfoIT_T0_EENS7_IKS8_S9_EEllS9_
		.amdhsa_group_segment_fixed_size 0
		.amdhsa_private_segment_fixed_size 0
		.amdhsa_kernarg_size 712
		.amdhsa_user_sgpr_count 15
		.amdhsa_user_sgpr_dispatch_ptr 0
		.amdhsa_user_sgpr_queue_ptr 0
		.amdhsa_user_sgpr_kernarg_segment_ptr 1
		.amdhsa_user_sgpr_dispatch_id 0
		.amdhsa_user_sgpr_private_segment_size 0
		.amdhsa_wavefront_size32 1
		.amdhsa_uses_dynamic_stack 0
		.amdhsa_enable_private_segment 0
		.amdhsa_system_sgpr_workgroup_id_x 1
		.amdhsa_system_sgpr_workgroup_id_y 0
		.amdhsa_system_sgpr_workgroup_id_z 0
		.amdhsa_system_sgpr_workgroup_info 0
		.amdhsa_system_vgpr_workitem_id 0
		.amdhsa_next_free_vgpr 25
		.amdhsa_next_free_sgpr 54
		.amdhsa_reserve_vcc 1
		.amdhsa_float_round_mode_32 0
		.amdhsa_float_round_mode_16_64 0
		.amdhsa_float_denorm_mode_32 3
		.amdhsa_float_denorm_mode_16_64 3
		.amdhsa_dx10_clamp 1
		.amdhsa_ieee_mode 1
		.amdhsa_fp16_overflow 0
		.amdhsa_workgroup_processor_mode 1
		.amdhsa_memory_ordered 1
		.amdhsa_forward_progress 0
		.amdhsa_shared_vgpr_count 0
		.amdhsa_exception_fp_ieee_invalid_op 0
		.amdhsa_exception_fp_denorm_src 0
		.amdhsa_exception_fp_ieee_div_zero 0
		.amdhsa_exception_fp_ieee_overflow 0
		.amdhsa_exception_fp_ieee_underflow 0
		.amdhsa_exception_fp_ieee_inexact 0
		.amdhsa_exception_int_div_zero 0
	.end_amdhsa_kernel
	.section	.text._ZN2at6native16triu_tril_kernelIN3c107complexIfEEiLb1ELi2ELb0EEEvNS_4cuda6detail10TensorInfoIT_T0_EENS7_IKS8_S9_EEllS9_,"axG",@progbits,_ZN2at6native16triu_tril_kernelIN3c107complexIfEEiLb1ELi2ELb0EEEvNS_4cuda6detail10TensorInfoIT_T0_EENS7_IKS8_S9_EEllS9_,comdat
.Lfunc_end85:
	.size	_ZN2at6native16triu_tril_kernelIN3c107complexIfEEiLb1ELi2ELb0EEEvNS_4cuda6detail10TensorInfoIT_T0_EENS7_IKS8_S9_EEllS9_, .Lfunc_end85-_ZN2at6native16triu_tril_kernelIN3c107complexIfEEiLb1ELi2ELb0EEEvNS_4cuda6detail10TensorInfoIT_T0_EENS7_IKS8_S9_EEllS9_
                                        ; -- End function
	.section	.AMDGPU.csdata,"",@progbits
; Kernel info:
; codeLenInByte = 8404
; NumSgprs: 56
; NumVgprs: 25
; ScratchSize: 0
; MemoryBound: 0
; FloatMode: 240
; IeeeMode: 1
; LDSByteSize: 0 bytes/workgroup (compile time only)
; SGPRBlocks: 6
; VGPRBlocks: 3
; NumSGPRsForWavesPerEU: 56
; NumVGPRsForWavesPerEU: 25
; Occupancy: 16
; WaveLimiterHint : 0
; COMPUTE_PGM_RSRC2:SCRATCH_EN: 0
; COMPUTE_PGM_RSRC2:USER_SGPR: 15
; COMPUTE_PGM_RSRC2:TRAP_HANDLER: 0
; COMPUTE_PGM_RSRC2:TGID_X_EN: 1
; COMPUTE_PGM_RSRC2:TGID_Y_EN: 0
; COMPUTE_PGM_RSRC2:TGID_Z_EN: 0
; COMPUTE_PGM_RSRC2:TIDIG_COMP_CNT: 0
	.section	.text._ZN2at6native16triu_tril_kernelIN3c107complexIfEElLb1ELi2ELb1EEEvNS_4cuda6detail10TensorInfoIT_T0_EENS7_IKS8_S9_EEllS9_,"axG",@progbits,_ZN2at6native16triu_tril_kernelIN3c107complexIfEElLb1ELi2ELb1EEEvNS_4cuda6detail10TensorInfoIT_T0_EENS7_IKS8_S9_EEllS9_,comdat
	.protected	_ZN2at6native16triu_tril_kernelIN3c107complexIfEElLb1ELi2ELb1EEEvNS_4cuda6detail10TensorInfoIT_T0_EENS7_IKS8_S9_EEllS9_ ; -- Begin function _ZN2at6native16triu_tril_kernelIN3c107complexIfEElLb1ELi2ELb1EEEvNS_4cuda6detail10TensorInfoIT_T0_EENS7_IKS8_S9_EEllS9_
	.globl	_ZN2at6native16triu_tril_kernelIN3c107complexIfEElLb1ELi2ELb1EEEvNS_4cuda6detail10TensorInfoIT_T0_EENS7_IKS8_S9_EEllS9_
	.p2align	8
	.type	_ZN2at6native16triu_tril_kernelIN3c107complexIfEElLb1ELi2ELb1EEEvNS_4cuda6detail10TensorInfoIT_T0_EENS7_IKS8_S9_EEllS9_,@function
_ZN2at6native16triu_tril_kernelIN3c107complexIfEElLb1ELi2ELb1EEEvNS_4cuda6detail10TensorInfoIT_T0_EENS7_IKS8_S9_EEllS9_: ; @_ZN2at6native16triu_tril_kernelIN3c107complexIfEElLb1ELi2ELb1EEEvNS_4cuda6detail10TensorInfoIT_T0_EENS7_IKS8_S9_EEllS9_
; %bb.0:
	s_clause 0x1
	s_load_b32 s2, s[0:1], 0x364
	s_load_b128 s[4:7], s[0:1], 0x340
	v_mov_b32_e32 v2, 0
	s_add_u32 s8, s0, 0x358
	s_addc_u32 s9, s1, 0
	s_delay_alu instid0(VALU_DEP_1) | instskip(SKIP_3) | instid1(VALU_DEP_1)
	v_mov_b32_e32 v1, v2
	s_waitcnt lgkmcnt(0)
	s_and_b32 s10, s2, 0xffff
	s_mov_b32 s2, exec_lo
	v_mad_u64_u32 v[3:4], null, s10, s15, v[0:1]
	s_delay_alu instid0(VALU_DEP_1) | instskip(NEXT) | instid1(VALU_DEP_1)
	v_lshlrev_b64 v[0:1], 1, v[3:4]
	v_cmpx_gt_i64_e64 s[6:7], v[0:1]
	s_cbranch_execz .LBB86_21
; %bb.1:
	s_clause 0x1
	s_load_b32 s24, s[0:1], 0x338
	s_load_b64 s[2:3], s[0:1], 0x350
	s_load_b32 s11, s[8:9], 0x0
	s_load_b64 s[8:9], s[0:1], 0x0
	s_mov_b32 s45, 0
	s_waitcnt lgkmcnt(0)
	s_ashr_i32 s25, s24, 31
	s_add_u32 s20, s0, 0x1a8
	s_addc_u32 s21, s1, 0
	s_lshl_b64 s[12:13], s[24:25], 3
	v_cvt_f32_u32_e32 v3, s2
	s_add_u32 s14, s12, -16
	s_addc_u32 s15, s13, -1
	s_add_u32 s22, s20, s14
	s_addc_u32 s23, s21, s15
	v_rcp_iflag_f32_e32 v3, v3
	s_add_u32 s17, s12, -8
	s_addc_u32 s18, s13, -1
	s_add_u32 s26, s0, 0xd0
	s_addc_u32 s27, s1, 0
	s_mul_i32 s16, s11, s10
	s_add_u32 s10, s26, s17
	s_addc_u32 s11, s27, s18
	s_add_u32 s12, s26, s14
	s_addc_u32 s13, s27, s15
	s_add_i32 s0, s24, -3
	s_waitcnt_depctr 0xfff
	v_mul_f32_e32 v3, 0x4f7ffffe, v3
	s_ashr_i32 s1, s0, 31
	s_add_u32 s14, s20, s17
	s_addc_u32 s15, s21, s18
	s_lshl_b64 s[18:19], s[0:1], 3
	s_lshl_b32 s33, s16, 1
	s_add_u32 s16, s26, s18
	s_addc_u32 s17, s27, s19
	v_cvt_u32_f32_e32 v3, v3
	s_add_u32 s18, s20, s18
	s_addc_u32 s19, s21, s19
	s_add_u32 s20, s0, 1
	s_addc_u32 s21, s1, 0
	s_sub_i32 s0, 0, s2
	s_load_b64 s[22:23], s[22:23], 0x0
	v_mul_lo_u32 v4, s0, v3
	v_cmp_gt_i64_e64 s44, s[24:25], 2
	s_ashr_i32 s24, s3, 31
	s_delay_alu instid0(VALU_DEP_2) | instskip(NEXT) | instid1(VALU_DEP_1)
	v_mul_hi_u32 v4, v3, v4
	v_add_nc_u32_e32 v14, v3, v4
	s_waitcnt lgkmcnt(0)
	s_ashr_i32 s26, s23, 31
	s_branch .LBB86_3
.LBB86_2:                               ;   in Loop: Header=BB86_3 Depth=1
	s_or_b32 exec_lo, exec_lo, s25
	v_add_co_u32 v0, vcc_lo, v0, s33
	v_add_co_ci_u32_e32 v1, vcc_lo, 0, v1, vcc_lo
	s_delay_alu instid0(VALU_DEP_1) | instskip(SKIP_1) | instid1(SALU_CYCLE_1)
	v_cmp_le_i64_e32 vcc_lo, s[6:7], v[0:1]
	s_or_b32 s45, vcc_lo, s45
	s_and_not1_b32 exec_lo, exec_lo, s45
	s_cbranch_execz .LBB86_21
.LBB86_3:                               ; =>This Loop Header: Depth=1
                                        ;     Child Loop BB86_17 Depth 2
	v_or_b32_e32 v3, s3, v1
                                        ; implicit-def: $vgpr8_vgpr9
	s_mov_b32 s0, exec_lo
	s_delay_alu instid0(VALU_DEP_1)
	v_cmpx_ne_u64_e32 0, v[2:3]
	s_xor_b32 s1, exec_lo, s0
	s_cbranch_execz .LBB86_5
; %bb.4:                                ;   in Loop: Header=BB86_3 Depth=1
	s_add_u32 s28, s2, s24
	s_mov_b32 s25, s24
	s_addc_u32 s29, s3, s24
	s_delay_alu instid0(SALU_CYCLE_1) | instskip(NEXT) | instid1(SALU_CYCLE_1)
	s_xor_b64 s[28:29], s[28:29], s[24:25]
	v_cvt_f32_u32_e32 v3, s28
	v_cvt_f32_u32_e32 v4, s29
	s_sub_u32 s0, 0, s28
	s_subb_u32 s25, 0, s29
	s_delay_alu instid0(VALU_DEP_1) | instskip(NEXT) | instid1(VALU_DEP_1)
	v_fmac_f32_e32 v3, 0x4f800000, v4
	v_rcp_f32_e32 v3, v3
	s_waitcnt_depctr 0xfff
	v_mul_f32_e32 v3, 0x5f7ffffc, v3
	s_delay_alu instid0(VALU_DEP_1) | instskip(NEXT) | instid1(VALU_DEP_1)
	v_mul_f32_e32 v4, 0x2f800000, v3
	v_trunc_f32_e32 v4, v4
	s_delay_alu instid0(VALU_DEP_1) | instskip(SKIP_1) | instid1(VALU_DEP_2)
	v_fmac_f32_e32 v3, 0xcf800000, v4
	v_cvt_u32_f32_e32 v4, v4
	v_cvt_u32_f32_e32 v3, v3
	s_delay_alu instid0(VALU_DEP_2) | instskip(NEXT) | instid1(VALU_DEP_2)
	v_mul_lo_u32 v5, s0, v4
	v_mul_hi_u32 v6, s0, v3
	v_mul_lo_u32 v7, s25, v3
	s_delay_alu instid0(VALU_DEP_2) | instskip(SKIP_1) | instid1(VALU_DEP_2)
	v_add_nc_u32_e32 v5, v6, v5
	v_mul_lo_u32 v6, s0, v3
	v_add_nc_u32_e32 v5, v5, v7
	s_delay_alu instid0(VALU_DEP_2) | instskip(NEXT) | instid1(VALU_DEP_2)
	v_mul_hi_u32 v7, v3, v6
	v_mul_lo_u32 v8, v3, v5
	v_mul_hi_u32 v9, v3, v5
	v_mul_hi_u32 v10, v4, v6
	v_mul_lo_u32 v6, v4, v6
	v_mul_hi_u32 v11, v4, v5
	v_mul_lo_u32 v5, v4, v5
	v_add_co_u32 v7, vcc_lo, v7, v8
	v_add_co_ci_u32_e32 v8, vcc_lo, 0, v9, vcc_lo
	s_delay_alu instid0(VALU_DEP_2) | instskip(NEXT) | instid1(VALU_DEP_2)
	v_add_co_u32 v6, vcc_lo, v7, v6
	v_add_co_ci_u32_e32 v6, vcc_lo, v8, v10, vcc_lo
	v_add_co_ci_u32_e32 v7, vcc_lo, 0, v11, vcc_lo
	v_ashrrev_i32_e32 v10, 31, v1
	s_delay_alu instid0(VALU_DEP_3) | instskip(NEXT) | instid1(VALU_DEP_3)
	v_add_co_u32 v5, vcc_lo, v6, v5
	v_add_co_ci_u32_e32 v6, vcc_lo, 0, v7, vcc_lo
	s_delay_alu instid0(VALU_DEP_2) | instskip(NEXT) | instid1(VALU_DEP_2)
	v_add_co_u32 v3, vcc_lo, v3, v5
	v_add_co_ci_u32_e32 v4, vcc_lo, v4, v6, vcc_lo
	s_delay_alu instid0(VALU_DEP_2) | instskip(SKIP_1) | instid1(VALU_DEP_3)
	v_mul_hi_u32 v5, s0, v3
	v_mul_lo_u32 v7, s25, v3
	v_mul_lo_u32 v6, s0, v4
	s_delay_alu instid0(VALU_DEP_1) | instskip(SKIP_1) | instid1(VALU_DEP_2)
	v_add_nc_u32_e32 v5, v5, v6
	v_mul_lo_u32 v6, s0, v3
	v_add_nc_u32_e32 v5, v5, v7
	s_delay_alu instid0(VALU_DEP_2) | instskip(NEXT) | instid1(VALU_DEP_2)
	v_mul_hi_u32 v7, v3, v6
	v_mul_lo_u32 v8, v3, v5
	v_mul_hi_u32 v9, v3, v5
	v_mul_hi_u32 v11, v4, v6
	v_mul_lo_u32 v6, v4, v6
	v_mul_hi_u32 v12, v4, v5
	v_mul_lo_u32 v5, v4, v5
	v_add_co_u32 v7, vcc_lo, v7, v8
	v_add_co_ci_u32_e32 v8, vcc_lo, 0, v9, vcc_lo
	s_delay_alu instid0(VALU_DEP_2) | instskip(NEXT) | instid1(VALU_DEP_2)
	v_add_co_u32 v6, vcc_lo, v7, v6
	v_add_co_ci_u32_e32 v6, vcc_lo, v8, v11, vcc_lo
	v_add_co_ci_u32_e32 v7, vcc_lo, 0, v12, vcc_lo
	v_add_co_u32 v8, vcc_lo, v0, v10
	v_add_co_ci_u32_e32 v9, vcc_lo, v1, v10, vcc_lo
	s_delay_alu instid0(VALU_DEP_4) | instskip(NEXT) | instid1(VALU_DEP_4)
	v_add_co_u32 v5, vcc_lo, v6, v5
	v_add_co_ci_u32_e32 v6, vcc_lo, 0, v7, vcc_lo
	s_delay_alu instid0(VALU_DEP_4) | instskip(NEXT) | instid1(VALU_DEP_3)
	v_xor_b32_e32 v11, v8, v10
	v_add_co_u32 v7, vcc_lo, v3, v5
	s_delay_alu instid0(VALU_DEP_3) | instskip(SKIP_1) | instid1(VALU_DEP_3)
	v_add_co_ci_u32_e32 v12, vcc_lo, v4, v6, vcc_lo
	v_xor_b32_e32 v9, v9, v10
	v_mul_hi_u32 v13, v11, v7
	s_delay_alu instid0(VALU_DEP_3) | instskip(NEXT) | instid1(VALU_DEP_3)
	v_mad_u64_u32 v[3:4], null, v11, v12, 0
	v_mad_u64_u32 v[5:6], null, v9, v7, 0
	;; [unrolled: 1-line block ×3, first 2 shown]
	s_delay_alu instid0(VALU_DEP_3) | instskip(NEXT) | instid1(VALU_DEP_4)
	v_add_co_u32 v3, vcc_lo, v13, v3
	v_add_co_ci_u32_e32 v4, vcc_lo, 0, v4, vcc_lo
	s_delay_alu instid0(VALU_DEP_2) | instskip(NEXT) | instid1(VALU_DEP_2)
	v_add_co_u32 v3, vcc_lo, v3, v5
	v_add_co_ci_u32_e32 v3, vcc_lo, v4, v6, vcc_lo
	v_add_co_ci_u32_e32 v4, vcc_lo, 0, v8, vcc_lo
	s_delay_alu instid0(VALU_DEP_2) | instskip(NEXT) | instid1(VALU_DEP_2)
	v_add_co_u32 v5, vcc_lo, v3, v7
	v_add_co_ci_u32_e32 v6, vcc_lo, 0, v4, vcc_lo
	s_delay_alu instid0(VALU_DEP_2) | instskip(SKIP_1) | instid1(VALU_DEP_3)
	v_mul_lo_u32 v7, s29, v5
	v_mad_u64_u32 v[3:4], null, s28, v5, 0
	v_mul_lo_u32 v8, s28, v6
	s_delay_alu instid0(VALU_DEP_2) | instskip(NEXT) | instid1(VALU_DEP_2)
	v_sub_co_u32 v3, vcc_lo, v11, v3
	v_add3_u32 v4, v4, v8, v7
	s_delay_alu instid0(VALU_DEP_1) | instskip(NEXT) | instid1(VALU_DEP_1)
	v_sub_nc_u32_e32 v7, v9, v4
	v_subrev_co_ci_u32_e64 v7, s0, s29, v7, vcc_lo
	v_add_co_u32 v8, s0, v5, 2
	s_delay_alu instid0(VALU_DEP_1) | instskip(SKIP_3) | instid1(VALU_DEP_3)
	v_add_co_ci_u32_e64 v11, s0, 0, v6, s0
	v_sub_co_u32 v12, s0, v3, s28
	v_sub_co_ci_u32_e32 v4, vcc_lo, v9, v4, vcc_lo
	v_subrev_co_ci_u32_e64 v7, s0, 0, v7, s0
	v_cmp_le_u32_e32 vcc_lo, s28, v12
	s_delay_alu instid0(VALU_DEP_3) | instskip(SKIP_1) | instid1(VALU_DEP_4)
	v_cmp_eq_u32_e64 s0, s29, v4
	v_cndmask_b32_e64 v9, 0, -1, vcc_lo
	v_cmp_le_u32_e32 vcc_lo, s29, v7
	v_cndmask_b32_e64 v12, 0, -1, vcc_lo
	v_cmp_le_u32_e32 vcc_lo, s28, v3
	;; [unrolled: 2-line block ×3, first 2 shown]
	v_cndmask_b32_e64 v13, 0, -1, vcc_lo
	v_cmp_eq_u32_e32 vcc_lo, s29, v7
	s_delay_alu instid0(VALU_DEP_2) | instskip(SKIP_3) | instid1(VALU_DEP_3)
	v_cndmask_b32_e64 v3, v13, v3, s0
	v_cndmask_b32_e32 v7, v12, v9, vcc_lo
	v_add_co_u32 v9, vcc_lo, v5, 1
	v_add_co_ci_u32_e32 v12, vcc_lo, 0, v6, vcc_lo
	v_cmp_ne_u32_e32 vcc_lo, 0, v7
	s_delay_alu instid0(VALU_DEP_2) | instskip(SKIP_2) | instid1(VALU_DEP_3)
	v_dual_cndmask_b32 v4, v12, v11 :: v_dual_cndmask_b32 v7, v9, v8
	v_cmp_ne_u32_e32 vcc_lo, 0, v3
	v_xor_b32_e32 v3, s24, v10
	v_dual_cndmask_b32 v5, v5, v7 :: v_dual_cndmask_b32 v4, v6, v4
	s_delay_alu instid0(VALU_DEP_1) | instskip(NEXT) | instid1(VALU_DEP_2)
	v_xor_b32_e32 v5, v5, v3
	v_xor_b32_e32 v4, v4, v3
	s_delay_alu instid0(VALU_DEP_2) | instskip(NEXT) | instid1(VALU_DEP_2)
	v_sub_co_u32 v8, vcc_lo, v5, v3
	v_sub_co_ci_u32_e32 v9, vcc_lo, v4, v3, vcc_lo
.LBB86_5:                               ;   in Loop: Header=BB86_3 Depth=1
	s_and_not1_saveexec_b32 s0, s1
; %bb.6:                                ;   in Loop: Header=BB86_3 Depth=1
	v_mul_hi_u32 v3, v0, v14
	v_mov_b32_e32 v9, v2
	s_delay_alu instid0(VALU_DEP_2) | instskip(NEXT) | instid1(VALU_DEP_1)
	v_mul_lo_u32 v4, v3, s2
	v_sub_nc_u32_e32 v4, v0, v4
	s_delay_alu instid0(VALU_DEP_1) | instskip(SKIP_1) | instid1(VALU_DEP_2)
	v_subrev_nc_u32_e32 v6, s2, v4
	v_cmp_le_u32_e32 vcc_lo, s2, v4
	v_dual_cndmask_b32 v4, v4, v6 :: v_dual_add_nc_u32 v5, 1, v3
	s_delay_alu instid0(VALU_DEP_1) | instskip(NEXT) | instid1(VALU_DEP_2)
	v_cndmask_b32_e32 v3, v3, v5, vcc_lo
	v_cmp_le_u32_e32 vcc_lo, s2, v4
	s_delay_alu instid0(VALU_DEP_2) | instskip(NEXT) | instid1(VALU_DEP_1)
	v_add_nc_u32_e32 v5, 1, v3
	v_cndmask_b32_e32 v8, v3, v5, vcc_lo
; %bb.7:                                ;   in Loop: Header=BB86_3 Depth=1
	s_or_b32 exec_lo, exec_lo, s0
	v_or_b32_e32 v3, s23, v9
                                        ; implicit-def: $vgpr6_vgpr7
	s_mov_b32 s0, exec_lo
	s_delay_alu instid0(VALU_DEP_1)
	v_cmpx_ne_u64_e32 0, v[2:3]
	s_xor_b32 s1, exec_lo, s0
	s_cbranch_execz .LBB86_9
; %bb.8:                                ;   in Loop: Header=BB86_3 Depth=1
	s_add_u32 s28, s22, s26
	s_mov_b32 s27, s26
	s_addc_u32 s29, s23, s26
	s_delay_alu instid0(SALU_CYCLE_1) | instskip(NEXT) | instid1(SALU_CYCLE_1)
	s_xor_b64 s[28:29], s[28:29], s[26:27]
	v_cvt_f32_u32_e32 v3, s28
	v_cvt_f32_u32_e32 v4, s29
	s_sub_u32 s0, 0, s28
	s_subb_u32 s25, 0, s29
	s_delay_alu instid0(VALU_DEP_1) | instskip(NEXT) | instid1(VALU_DEP_1)
	v_fmac_f32_e32 v3, 0x4f800000, v4
	v_rcp_f32_e32 v3, v3
	s_waitcnt_depctr 0xfff
	v_mul_f32_e32 v3, 0x5f7ffffc, v3
	s_delay_alu instid0(VALU_DEP_1) | instskip(NEXT) | instid1(VALU_DEP_1)
	v_mul_f32_e32 v4, 0x2f800000, v3
	v_trunc_f32_e32 v4, v4
	s_delay_alu instid0(VALU_DEP_1) | instskip(SKIP_1) | instid1(VALU_DEP_2)
	v_fmac_f32_e32 v3, 0xcf800000, v4
	v_cvt_u32_f32_e32 v4, v4
	v_cvt_u32_f32_e32 v3, v3
	s_delay_alu instid0(VALU_DEP_2) | instskip(NEXT) | instid1(VALU_DEP_2)
	v_mul_lo_u32 v5, s0, v4
	v_mul_hi_u32 v6, s0, v3
	v_mul_lo_u32 v7, s25, v3
	s_delay_alu instid0(VALU_DEP_2) | instskip(SKIP_1) | instid1(VALU_DEP_2)
	v_add_nc_u32_e32 v5, v6, v5
	v_mul_lo_u32 v6, s0, v3
	v_add_nc_u32_e32 v5, v5, v7
	s_delay_alu instid0(VALU_DEP_2) | instskip(NEXT) | instid1(VALU_DEP_2)
	v_mul_hi_u32 v7, v3, v6
	v_mul_lo_u32 v10, v3, v5
	v_mul_hi_u32 v11, v3, v5
	v_mul_hi_u32 v12, v4, v6
	v_mul_lo_u32 v6, v4, v6
	v_mul_hi_u32 v13, v4, v5
	v_mul_lo_u32 v5, v4, v5
	v_add_co_u32 v7, vcc_lo, v7, v10
	v_add_co_ci_u32_e32 v10, vcc_lo, 0, v11, vcc_lo
	s_delay_alu instid0(VALU_DEP_2) | instskip(NEXT) | instid1(VALU_DEP_2)
	v_add_co_u32 v6, vcc_lo, v7, v6
	v_add_co_ci_u32_e32 v6, vcc_lo, v10, v12, vcc_lo
	v_add_co_ci_u32_e32 v7, vcc_lo, 0, v13, vcc_lo
	v_ashrrev_i32_e32 v12, 31, v9
	s_delay_alu instid0(VALU_DEP_3) | instskip(NEXT) | instid1(VALU_DEP_3)
	v_add_co_u32 v5, vcc_lo, v6, v5
	v_add_co_ci_u32_e32 v6, vcc_lo, 0, v7, vcc_lo
	s_delay_alu instid0(VALU_DEP_2) | instskip(NEXT) | instid1(VALU_DEP_2)
	v_add_co_u32 v3, vcc_lo, v3, v5
	v_add_co_ci_u32_e32 v4, vcc_lo, v4, v6, vcc_lo
	s_delay_alu instid0(VALU_DEP_2) | instskip(SKIP_1) | instid1(VALU_DEP_3)
	v_mul_hi_u32 v5, s0, v3
	v_mul_lo_u32 v7, s25, v3
	v_mul_lo_u32 v6, s0, v4
	s_delay_alu instid0(VALU_DEP_1) | instskip(SKIP_1) | instid1(VALU_DEP_2)
	v_add_nc_u32_e32 v5, v5, v6
	v_mul_lo_u32 v6, s0, v3
	v_add_nc_u32_e32 v5, v5, v7
	s_delay_alu instid0(VALU_DEP_2) | instskip(NEXT) | instid1(VALU_DEP_2)
	v_mul_hi_u32 v7, v3, v6
	v_mul_lo_u32 v10, v3, v5
	v_mul_hi_u32 v11, v3, v5
	v_mul_hi_u32 v13, v4, v6
	v_mul_lo_u32 v6, v4, v6
	v_mul_hi_u32 v15, v4, v5
	v_mul_lo_u32 v5, v4, v5
	v_add_co_u32 v7, vcc_lo, v7, v10
	v_add_co_ci_u32_e32 v10, vcc_lo, 0, v11, vcc_lo
	s_delay_alu instid0(VALU_DEP_2) | instskip(NEXT) | instid1(VALU_DEP_2)
	v_add_co_u32 v6, vcc_lo, v7, v6
	v_add_co_ci_u32_e32 v6, vcc_lo, v10, v13, vcc_lo
	v_add_co_ci_u32_e32 v7, vcc_lo, 0, v15, vcc_lo
	v_add_co_u32 v10, vcc_lo, v8, v12
	v_add_co_ci_u32_e32 v11, vcc_lo, v9, v12, vcc_lo
	s_delay_alu instid0(VALU_DEP_4) | instskip(NEXT) | instid1(VALU_DEP_4)
	v_add_co_u32 v5, vcc_lo, v6, v5
	v_add_co_ci_u32_e32 v6, vcc_lo, 0, v7, vcc_lo
	s_delay_alu instid0(VALU_DEP_4) | instskip(NEXT) | instid1(VALU_DEP_3)
	v_xor_b32_e32 v7, v10, v12
	v_add_co_u32 v10, vcc_lo, v3, v5
	s_delay_alu instid0(VALU_DEP_3) | instskip(SKIP_1) | instid1(VALU_DEP_3)
	v_add_co_ci_u32_e32 v13, vcc_lo, v4, v6, vcc_lo
	v_xor_b32_e32 v15, v11, v12
	v_mul_hi_u32 v16, v7, v10
	s_delay_alu instid0(VALU_DEP_3) | instskip(NEXT) | instid1(VALU_DEP_3)
	v_mad_u64_u32 v[3:4], null, v7, v13, 0
	v_mad_u64_u32 v[5:6], null, v15, v10, 0
	v_mad_u64_u32 v[10:11], null, v15, v13, 0
	s_delay_alu instid0(VALU_DEP_3) | instskip(NEXT) | instid1(VALU_DEP_4)
	v_add_co_u32 v3, vcc_lo, v16, v3
	v_add_co_ci_u32_e32 v4, vcc_lo, 0, v4, vcc_lo
	s_delay_alu instid0(VALU_DEP_2) | instskip(NEXT) | instid1(VALU_DEP_2)
	v_add_co_u32 v3, vcc_lo, v3, v5
	v_add_co_ci_u32_e32 v3, vcc_lo, v4, v6, vcc_lo
	v_add_co_ci_u32_e32 v4, vcc_lo, 0, v11, vcc_lo
	s_delay_alu instid0(VALU_DEP_2) | instskip(NEXT) | instid1(VALU_DEP_2)
	v_add_co_u32 v5, vcc_lo, v3, v10
	v_add_co_ci_u32_e32 v6, vcc_lo, 0, v4, vcc_lo
	s_delay_alu instid0(VALU_DEP_2) | instskip(SKIP_1) | instid1(VALU_DEP_3)
	v_mul_lo_u32 v10, s29, v5
	v_mad_u64_u32 v[3:4], null, s28, v5, 0
	v_mul_lo_u32 v11, s28, v6
	s_delay_alu instid0(VALU_DEP_2) | instskip(NEXT) | instid1(VALU_DEP_2)
	v_sub_co_u32 v3, vcc_lo, v7, v3
	v_add3_u32 v4, v4, v11, v10
	s_delay_alu instid0(VALU_DEP_1) | instskip(NEXT) | instid1(VALU_DEP_1)
	v_sub_nc_u32_e32 v10, v15, v4
	v_subrev_co_ci_u32_e64 v7, s0, s29, v10, vcc_lo
	v_add_co_u32 v10, s0, v5, 2
	s_delay_alu instid0(VALU_DEP_1) | instskip(SKIP_3) | instid1(VALU_DEP_3)
	v_add_co_ci_u32_e64 v11, s0, 0, v6, s0
	v_sub_co_u32 v13, s0, v3, s28
	v_sub_co_ci_u32_e32 v4, vcc_lo, v15, v4, vcc_lo
	v_subrev_co_ci_u32_e64 v7, s0, 0, v7, s0
	v_cmp_le_u32_e32 vcc_lo, s28, v13
	s_delay_alu instid0(VALU_DEP_3) | instskip(SKIP_1) | instid1(VALU_DEP_4)
	v_cmp_eq_u32_e64 s0, s29, v4
	v_cndmask_b32_e64 v13, 0, -1, vcc_lo
	v_cmp_le_u32_e32 vcc_lo, s29, v7
	v_cndmask_b32_e64 v15, 0, -1, vcc_lo
	v_cmp_le_u32_e32 vcc_lo, s28, v3
	;; [unrolled: 2-line block ×3, first 2 shown]
	v_cndmask_b32_e64 v16, 0, -1, vcc_lo
	v_cmp_eq_u32_e32 vcc_lo, s29, v7
	s_delay_alu instid0(VALU_DEP_2) | instskip(SKIP_3) | instid1(VALU_DEP_3)
	v_cndmask_b32_e64 v3, v16, v3, s0
	v_cndmask_b32_e32 v7, v15, v13, vcc_lo
	v_add_co_u32 v13, vcc_lo, v5, 1
	v_add_co_ci_u32_e32 v15, vcc_lo, 0, v6, vcc_lo
	v_cmp_ne_u32_e32 vcc_lo, 0, v7
	s_delay_alu instid0(VALU_DEP_2) | instskip(SKIP_2) | instid1(VALU_DEP_3)
	v_dual_cndmask_b32 v4, v15, v11 :: v_dual_cndmask_b32 v7, v13, v10
	v_cmp_ne_u32_e32 vcc_lo, 0, v3
	v_xor_b32_e32 v3, s26, v12
	v_dual_cndmask_b32 v5, v5, v7 :: v_dual_cndmask_b32 v4, v6, v4
	s_delay_alu instid0(VALU_DEP_1) | instskip(NEXT) | instid1(VALU_DEP_2)
	v_xor_b32_e32 v5, v5, v3
	v_xor_b32_e32 v4, v4, v3
	s_delay_alu instid0(VALU_DEP_2) | instskip(NEXT) | instid1(VALU_DEP_2)
	v_sub_co_u32 v6, vcc_lo, v5, v3
	v_sub_co_ci_u32_e32 v7, vcc_lo, v4, v3, vcc_lo
.LBB86_9:                               ;   in Loop: Header=BB86_3 Depth=1
	s_and_not1_saveexec_b32 s0, s1
	s_cbranch_execz .LBB86_11
; %bb.10:                               ;   in Loop: Header=BB86_3 Depth=1
	v_cvt_f32_u32_e32 v3, s22
	s_sub_i32 s1, 0, s22
	v_mov_b32_e32 v7, v2
	s_delay_alu instid0(VALU_DEP_2) | instskip(SKIP_2) | instid1(VALU_DEP_1)
	v_rcp_iflag_f32_e32 v3, v3
	s_waitcnt_depctr 0xfff
	v_mul_f32_e32 v3, 0x4f7ffffe, v3
	v_cvt_u32_f32_e32 v3, v3
	s_delay_alu instid0(VALU_DEP_1) | instskip(NEXT) | instid1(VALU_DEP_1)
	v_mul_lo_u32 v4, s1, v3
	v_mul_hi_u32 v4, v3, v4
	s_delay_alu instid0(VALU_DEP_1) | instskip(NEXT) | instid1(VALU_DEP_1)
	v_add_nc_u32_e32 v3, v3, v4
	v_mul_hi_u32 v3, v8, v3
	s_delay_alu instid0(VALU_DEP_1) | instskip(SKIP_1) | instid1(VALU_DEP_2)
	v_mul_lo_u32 v4, v3, s22
	v_add_nc_u32_e32 v5, 1, v3
	v_sub_nc_u32_e32 v4, v8, v4
	s_delay_alu instid0(VALU_DEP_1) | instskip(SKIP_1) | instid1(VALU_DEP_2)
	v_subrev_nc_u32_e32 v6, s22, v4
	v_cmp_le_u32_e32 vcc_lo, s22, v4
	v_dual_cndmask_b32 v4, v4, v6 :: v_dual_cndmask_b32 v3, v3, v5
	s_delay_alu instid0(VALU_DEP_1) | instskip(NEXT) | instid1(VALU_DEP_2)
	v_cmp_le_u32_e32 vcc_lo, s22, v4
	v_add_nc_u32_e32 v5, 1, v3
	s_delay_alu instid0(VALU_DEP_1)
	v_cndmask_b32_e32 v6, v3, v5, vcc_lo
.LBB86_11:                              ;   in Loop: Header=BB86_3 Depth=1
	s_or_b32 exec_lo, exec_lo, s0
	v_mul_lo_u32 v5, v9, s2
	v_mul_lo_u32 v12, v8, s3
	v_mad_u64_u32 v[3:4], null, v8, s2, 0
	v_mul_lo_u32 v13, v7, s22
	v_mul_lo_u32 v15, v6, s23
	v_mad_u64_u32 v[10:11], null, v6, s22, 0
	s_mov_b32 s25, exec_lo
	s_delay_alu instid0(VALU_DEP_4) | instskip(SKIP_1) | instid1(VALU_DEP_3)
	v_add3_u32 v5, v4, v12, v5
	v_sub_co_u32 v4, vcc_lo, v0, v3
	v_add3_u32 v11, v11, v15, v13
	s_delay_alu instid0(VALU_DEP_3) | instskip(SKIP_1) | instid1(VALU_DEP_3)
	v_sub_co_ci_u32_e32 v5, vcc_lo, v1, v5, vcc_lo
	v_sub_co_u32 v15, vcc_lo, v8, v10
	v_sub_co_ci_u32_e32 v16, vcc_lo, v9, v11, vcc_lo
	s_delay_alu instid0(VALU_DEP_2) | instskip(NEXT) | instid1(VALU_DEP_2)
	v_sub_co_u32 v8, vcc_lo, v4, v15
	v_sub_co_ci_u32_e32 v9, vcc_lo, v5, v16, vcc_lo
	s_delay_alu instid0(VALU_DEP_1)
	v_cmpx_gt_i64_e64 s[4:5], v[8:9]
	s_cbranch_execz .LBB86_2
; %bb.12:                               ;   in Loop: Header=BB86_3 Depth=1
	s_clause 0x1
	s_load_b64 s[28:29], s[10:11], 0x0
	s_load_b64 s[0:1], s[12:13], 0x0
	s_and_b32 vcc_lo, exec_lo, s44
	s_mov_b64 s[30:31], s[20:21]
	s_mov_b64 s[34:35], s[18:19]
	;; [unrolled: 1-line block ×3, first 2 shown]
	s_waitcnt lgkmcnt(0)
	v_mul_lo_u32 v3, s29, v4
	v_mul_lo_u32 v10, s28, v5
	v_mad_u64_u32 v[8:9], null, s28, v4, 0
	s_delay_alu instid0(VALU_DEP_1) | instskip(SKIP_1) | instid1(VALU_DEP_2)
	v_add3_u32 v9, v9, v10, v3
	v_mul_lo_u32 v3, s0, v16
	v_mad_u64_u32 v[12:13], null, s0, v15, v[8:9]
	v_mul_lo_u32 v8, s1, v15
	s_delay_alu instid0(VALU_DEP_1) | instskip(NEXT) | instid1(VALU_DEP_1)
	v_add3_u32 v13, v8, v13, v3
	v_dual_mov_b32 v8, v12 :: v_dual_mov_b32 v9, v13
	s_cbranch_vccnz .LBB86_17
.LBB86_13:                              ;   in Loop: Header=BB86_3 Depth=1
	s_load_b64 s[0:1], s[14:15], 0x0
	s_waitcnt lgkmcnt(0)
	v_cmp_gt_i64_e32 vcc_lo, s[0:1], v[4:5]
	s_and_b32 exec_lo, exec_lo, vcc_lo
	s_cbranch_execz .LBB86_2
; %bb.14:                               ;   in Loop: Header=BB86_3 Depth=1
	v_add_co_u32 v3, vcc_lo, v4, 1
	v_add_co_ci_u32_e32 v4, vcc_lo, 0, v5, vcc_lo
	v_lshlrev_b64 v[7:8], 3, v[12:13]
	s_delay_alu instid0(VALU_DEP_3) | instskip(NEXT) | instid1(VALU_DEP_3)
	v_sub_co_u32 v5, vcc_lo, v3, v15
	v_sub_co_ci_u32_e32 v6, vcc_lo, v4, v16, vcc_lo
	v_cmp_gt_i64_e32 vcc_lo, s[0:1], v[3:4]
	s_delay_alu instid0(VALU_DEP_4) | instskip(NEXT) | instid1(VALU_DEP_3)
	v_add_co_u32 v4, s1, s8, v7
	v_cmp_gt_i64_e64 s0, s[4:5], v[5:6]
	v_add_co_ci_u32_e64 v5, s1, s9, v8, s1
	v_mov_b32_e32 v3, v2
	s_delay_alu instid0(VALU_DEP_3)
	s_and_b32 s0, vcc_lo, s0
	global_store_b64 v[4:5], v[2:3], off
	s_and_b32 exec_lo, exec_lo, s0
	s_cbranch_execz .LBB86_2
; %bb.15:                               ;   in Loop: Header=BB86_3 Depth=1
	s_lshl_b64 s[0:1], s[28:29], 3
	s_delay_alu instid0(SALU_CYCLE_1)
	v_add_co_u32 v4, vcc_lo, v4, s0
	v_add_co_ci_u32_e32 v5, vcc_lo, s1, v5, vcc_lo
	global_store_b64 v[4:5], v[2:3], off
	s_branch .LBB86_2
.LBB86_16:                              ;   in Loop: Header=BB86_17 Depth=2
	s_or_b32 exec_lo, exec_lo, s0
	s_load_b64 s[0:1], s[36:37], 0x0
	s_delay_alu instid0(VALU_DEP_1)
	v_mul_lo_u32 v3, v11, s38
	v_mul_lo_u32 v17, v10, s39
	v_mad_u64_u32 v[12:13], null, v10, s38, 0
	s_add_u32 s36, s36, -8
	s_addc_u32 s37, s37, -1
	s_add_u32 s34, s34, -8
	s_addc_u32 s35, s35, -1
	;; [unrolled: 2-line block ×3, first 2 shown]
	s_delay_alu instid0(VALU_DEP_1) | instskip(SKIP_1) | instid1(VALU_DEP_2)
	v_add3_u32 v3, v13, v17, v3
	v_sub_co_u32 v6, vcc_lo, v6, v12
	v_sub_co_ci_u32_e32 v3, vcc_lo, v7, v3, vcc_lo
	s_waitcnt lgkmcnt(0)
	s_delay_alu instid0(VALU_DEP_2) | instskip(NEXT) | instid1(VALU_DEP_2)
	v_mul_lo_u32 v7, s1, v6
	v_mul_lo_u32 v3, s0, v3
	v_mad_u64_u32 v[12:13], null, s0, v6, v[8:9]
	v_cmp_lt_i64_e64 s0, s[30:31], 1
	s_delay_alu instid0(VALU_DEP_1) | instskip(NEXT) | instid1(VALU_DEP_2)
	s_and_b32 vcc_lo, exec_lo, s0
	v_add3_u32 v13, v7, v13, v3
	s_delay_alu instid0(VALU_DEP_3) | instskip(SKIP_1) | instid1(VALU_DEP_3)
	v_mov_b32_e32 v8, v12
	v_dual_mov_b32 v6, v10 :: v_dual_mov_b32 v7, v11
	v_mov_b32_e32 v9, v13
	s_cbranch_vccnz .LBB86_13
.LBB86_17:                              ;   Parent Loop BB86_3 Depth=1
                                        ; =>  This Inner Loop Header: Depth=2
	s_load_b64 s[38:39], s[34:35], 0x0
                                        ; implicit-def: $vgpr10_vgpr11
	s_mov_b32 s0, exec_lo
	s_waitcnt lgkmcnt(0)
	v_or_b32_e32 v3, s39, v7
	s_delay_alu instid0(VALU_DEP_1)
	v_cmpx_ne_u64_e32 0, v[2:3]
	s_xor_b32 s1, exec_lo, s0
	s_cbranch_execz .LBB86_19
; %bb.18:                               ;   in Loop: Header=BB86_17 Depth=2
	s_ashr_i32 s40, s39, 31
	s_delay_alu instid0(SALU_CYCLE_1) | instskip(SKIP_2) | instid1(SALU_CYCLE_1)
	s_add_u32 s42, s38, s40
	s_mov_b32 s41, s40
	s_addc_u32 s43, s39, s40
	s_xor_b64 s[42:43], s[42:43], s[40:41]
	s_delay_alu instid0(SALU_CYCLE_1) | instskip(SKIP_3) | instid1(VALU_DEP_1)
	v_cvt_f32_u32_e32 v3, s42
	v_cvt_f32_u32_e32 v10, s43
	s_sub_u32 s0, 0, s42
	s_subb_u32 s27, 0, s43
	v_fmac_f32_e32 v3, 0x4f800000, v10
	s_delay_alu instid0(VALU_DEP_1) | instskip(SKIP_2) | instid1(VALU_DEP_1)
	v_rcp_f32_e32 v3, v3
	s_waitcnt_depctr 0xfff
	v_mul_f32_e32 v3, 0x5f7ffffc, v3
	v_mul_f32_e32 v10, 0x2f800000, v3
	s_delay_alu instid0(VALU_DEP_1) | instskip(NEXT) | instid1(VALU_DEP_1)
	v_trunc_f32_e32 v10, v10
	v_fmac_f32_e32 v3, 0xcf800000, v10
	v_cvt_u32_f32_e32 v10, v10
	s_delay_alu instid0(VALU_DEP_2) | instskip(NEXT) | instid1(VALU_DEP_2)
	v_cvt_u32_f32_e32 v3, v3
	v_mul_lo_u32 v11, s0, v10
	s_delay_alu instid0(VALU_DEP_2) | instskip(SKIP_1) | instid1(VALU_DEP_2)
	v_mul_hi_u32 v12, s0, v3
	v_mul_lo_u32 v13, s27, v3
	v_add_nc_u32_e32 v11, v12, v11
	v_mul_lo_u32 v12, s0, v3
	s_delay_alu instid0(VALU_DEP_2) | instskip(NEXT) | instid1(VALU_DEP_2)
	v_add_nc_u32_e32 v11, v11, v13
	v_mul_hi_u32 v13, v3, v12
	s_delay_alu instid0(VALU_DEP_2)
	v_mul_lo_u32 v17, v3, v11
	v_mul_hi_u32 v18, v3, v11
	v_mul_hi_u32 v19, v10, v12
	v_mul_lo_u32 v12, v10, v12
	v_mul_hi_u32 v20, v10, v11
	v_mul_lo_u32 v11, v10, v11
	v_add_co_u32 v13, vcc_lo, v13, v17
	v_add_co_ci_u32_e32 v17, vcc_lo, 0, v18, vcc_lo
	s_delay_alu instid0(VALU_DEP_2) | instskip(NEXT) | instid1(VALU_DEP_2)
	v_add_co_u32 v12, vcc_lo, v13, v12
	v_add_co_ci_u32_e32 v12, vcc_lo, v17, v19, vcc_lo
	v_add_co_ci_u32_e32 v13, vcc_lo, 0, v20, vcc_lo
	v_ashrrev_i32_e32 v19, 31, v7
	s_delay_alu instid0(VALU_DEP_3) | instskip(NEXT) | instid1(VALU_DEP_3)
	v_add_co_u32 v11, vcc_lo, v12, v11
	v_add_co_ci_u32_e32 v12, vcc_lo, 0, v13, vcc_lo
	s_delay_alu instid0(VALU_DEP_2) | instskip(NEXT) | instid1(VALU_DEP_2)
	v_add_co_u32 v3, vcc_lo, v3, v11
	v_add_co_ci_u32_e32 v10, vcc_lo, v10, v12, vcc_lo
	s_delay_alu instid0(VALU_DEP_2) | instskip(SKIP_1) | instid1(VALU_DEP_3)
	v_mul_hi_u32 v11, s0, v3
	v_mul_lo_u32 v13, s27, v3
	v_mul_lo_u32 v12, s0, v10
	s_delay_alu instid0(VALU_DEP_1) | instskip(SKIP_1) | instid1(VALU_DEP_2)
	v_add_nc_u32_e32 v11, v11, v12
	v_mul_lo_u32 v12, s0, v3
	v_add_nc_u32_e32 v11, v11, v13
	s_delay_alu instid0(VALU_DEP_2) | instskip(NEXT) | instid1(VALU_DEP_2)
	v_mul_hi_u32 v13, v3, v12
	v_mul_lo_u32 v17, v3, v11
	v_mul_hi_u32 v18, v3, v11
	v_mul_hi_u32 v20, v10, v12
	v_mul_lo_u32 v12, v10, v12
	v_mul_hi_u32 v21, v10, v11
	v_mul_lo_u32 v11, v10, v11
	v_add_co_u32 v13, vcc_lo, v13, v17
	v_add_co_ci_u32_e32 v17, vcc_lo, 0, v18, vcc_lo
	s_delay_alu instid0(VALU_DEP_2) | instskip(NEXT) | instid1(VALU_DEP_2)
	v_add_co_u32 v12, vcc_lo, v13, v12
	v_add_co_ci_u32_e32 v12, vcc_lo, v17, v20, vcc_lo
	v_add_co_ci_u32_e32 v13, vcc_lo, 0, v21, vcc_lo
	v_add_co_u32 v17, vcc_lo, v6, v19
	v_add_co_ci_u32_e32 v18, vcc_lo, v7, v19, vcc_lo
	s_delay_alu instid0(VALU_DEP_4) | instskip(NEXT) | instid1(VALU_DEP_4)
	v_add_co_u32 v11, vcc_lo, v12, v11
	v_add_co_ci_u32_e32 v12, vcc_lo, 0, v13, vcc_lo
	s_delay_alu instid0(VALU_DEP_4) | instskip(NEXT) | instid1(VALU_DEP_3)
	v_xor_b32_e32 v20, v17, v19
	v_add_co_u32 v3, vcc_lo, v3, v11
	s_delay_alu instid0(VALU_DEP_3) | instskip(SKIP_1) | instid1(VALU_DEP_3)
	v_add_co_ci_u32_e32 v21, vcc_lo, v10, v12, vcc_lo
	v_xor_b32_e32 v22, v18, v19
	v_mul_hi_u32 v23, v20, v3
	s_delay_alu instid0(VALU_DEP_3) | instskip(NEXT) | instid1(VALU_DEP_3)
	v_mad_u64_u32 v[10:11], null, v20, v21, 0
	v_mad_u64_u32 v[12:13], null, v22, v3, 0
	;; [unrolled: 1-line block ×3, first 2 shown]
	s_delay_alu instid0(VALU_DEP_3) | instskip(NEXT) | instid1(VALU_DEP_4)
	v_add_co_u32 v3, vcc_lo, v23, v10
	v_add_co_ci_u32_e32 v10, vcc_lo, 0, v11, vcc_lo
	s_delay_alu instid0(VALU_DEP_2) | instskip(NEXT) | instid1(VALU_DEP_2)
	v_add_co_u32 v3, vcc_lo, v3, v12
	v_add_co_ci_u32_e32 v3, vcc_lo, v10, v13, vcc_lo
	v_add_co_ci_u32_e32 v10, vcc_lo, 0, v18, vcc_lo
	s_delay_alu instid0(VALU_DEP_2) | instskip(NEXT) | instid1(VALU_DEP_2)
	v_add_co_u32 v3, vcc_lo, v3, v17
	v_add_co_ci_u32_e32 v12, vcc_lo, 0, v10, vcc_lo
	s_delay_alu instid0(VALU_DEP_2) | instskip(SKIP_1) | instid1(VALU_DEP_3)
	v_mul_lo_u32 v13, s43, v3
	v_mad_u64_u32 v[10:11], null, s42, v3, 0
	v_mul_lo_u32 v17, s42, v12
	s_delay_alu instid0(VALU_DEP_2) | instskip(NEXT) | instid1(VALU_DEP_2)
	v_sub_co_u32 v10, vcc_lo, v20, v10
	v_add3_u32 v11, v11, v17, v13
	s_delay_alu instid0(VALU_DEP_1) | instskip(NEXT) | instid1(VALU_DEP_1)
	v_sub_nc_u32_e32 v13, v22, v11
	v_subrev_co_ci_u32_e64 v13, s0, s43, v13, vcc_lo
	v_add_co_u32 v17, s0, v3, 2
	s_delay_alu instid0(VALU_DEP_1) | instskip(SKIP_3) | instid1(VALU_DEP_3)
	v_add_co_ci_u32_e64 v18, s0, 0, v12, s0
	v_sub_co_u32 v20, s0, v10, s42
	v_sub_co_ci_u32_e32 v11, vcc_lo, v22, v11, vcc_lo
	v_subrev_co_ci_u32_e64 v13, s0, 0, v13, s0
	v_cmp_le_u32_e32 vcc_lo, s42, v20
	s_delay_alu instid0(VALU_DEP_3) | instskip(SKIP_1) | instid1(VALU_DEP_4)
	v_cmp_eq_u32_e64 s0, s43, v11
	v_cndmask_b32_e64 v20, 0, -1, vcc_lo
	v_cmp_le_u32_e32 vcc_lo, s43, v13
	v_cndmask_b32_e64 v21, 0, -1, vcc_lo
	v_cmp_le_u32_e32 vcc_lo, s42, v10
	;; [unrolled: 2-line block ×3, first 2 shown]
	v_cndmask_b32_e64 v22, 0, -1, vcc_lo
	v_cmp_eq_u32_e32 vcc_lo, s43, v13
	s_delay_alu instid0(VALU_DEP_2) | instskip(SKIP_3) | instid1(VALU_DEP_3)
	v_cndmask_b32_e64 v10, v22, v10, s0
	v_cndmask_b32_e32 v13, v21, v20, vcc_lo
	v_add_co_u32 v20, vcc_lo, v3, 1
	v_add_co_ci_u32_e32 v21, vcc_lo, 0, v12, vcc_lo
	v_cmp_ne_u32_e32 vcc_lo, 0, v13
	s_delay_alu instid0(VALU_DEP_2) | instskip(NEXT) | instid1(VALU_DEP_4)
	v_cndmask_b32_e32 v11, v21, v18, vcc_lo
	v_cndmask_b32_e32 v13, v20, v17, vcc_lo
	v_cmp_ne_u32_e32 vcc_lo, 0, v10
	v_xor_b32_e32 v17, s40, v19
	s_delay_alu instid0(VALU_DEP_3) | instskip(NEXT) | instid1(VALU_DEP_1)
	v_dual_cndmask_b32 v3, v3, v13 :: v_dual_cndmask_b32 v10, v12, v11
	v_xor_b32_e32 v3, v3, v17
	s_delay_alu instid0(VALU_DEP_2) | instskip(NEXT) | instid1(VALU_DEP_2)
	v_xor_b32_e32 v11, v10, v17
	v_sub_co_u32 v10, vcc_lo, v3, v17
	s_delay_alu instid0(VALU_DEP_2)
	v_sub_co_ci_u32_e32 v11, vcc_lo, v11, v17, vcc_lo
.LBB86_19:                              ;   in Loop: Header=BB86_17 Depth=2
	s_and_not1_saveexec_b32 s0, s1
	s_cbranch_execz .LBB86_16
; %bb.20:                               ;   in Loop: Header=BB86_17 Depth=2
	v_cvt_f32_u32_e32 v3, s38
	s_sub_i32 s1, 0, s38
	s_delay_alu instid0(VALU_DEP_1) | instskip(SKIP_2) | instid1(VALU_DEP_1)
	v_rcp_iflag_f32_e32 v3, v3
	s_waitcnt_depctr 0xfff
	v_mul_f32_e32 v3, 0x4f7ffffe, v3
	v_cvt_u32_f32_e32 v3, v3
	s_delay_alu instid0(VALU_DEP_1) | instskip(NEXT) | instid1(VALU_DEP_1)
	v_mul_lo_u32 v10, s1, v3
	v_mul_hi_u32 v10, v3, v10
	s_delay_alu instid0(VALU_DEP_1) | instskip(NEXT) | instid1(VALU_DEP_1)
	v_add_nc_u32_e32 v3, v3, v10
	v_mul_hi_u32 v3, v6, v3
	s_delay_alu instid0(VALU_DEP_1) | instskip(SKIP_1) | instid1(VALU_DEP_2)
	v_mul_lo_u32 v10, v3, s38
	v_add_nc_u32_e32 v11, 1, v3
	v_sub_nc_u32_e32 v10, v6, v10
	s_delay_alu instid0(VALU_DEP_1) | instskip(SKIP_1) | instid1(VALU_DEP_2)
	v_subrev_nc_u32_e32 v12, s38, v10
	v_cmp_le_u32_e32 vcc_lo, s38, v10
	v_dual_cndmask_b32 v10, v10, v12 :: v_dual_cndmask_b32 v3, v3, v11
	s_delay_alu instid0(VALU_DEP_1) | instskip(NEXT) | instid1(VALU_DEP_2)
	v_cmp_le_u32_e32 vcc_lo, s38, v10
	v_add_nc_u32_e32 v11, 1, v3
	s_delay_alu instid0(VALU_DEP_1)
	v_dual_cndmask_b32 v10, v3, v11 :: v_dual_mov_b32 v11, v2
	s_branch .LBB86_16
.LBB86_21:
	s_nop 0
	s_sendmsg sendmsg(MSG_DEALLOC_VGPRS)
	s_endpgm
	.section	.rodata,"a",@progbits
	.p2align	6, 0x0
	.amdhsa_kernel _ZN2at6native16triu_tril_kernelIN3c107complexIfEElLb1ELi2ELb1EEEvNS_4cuda6detail10TensorInfoIT_T0_EENS7_IKS8_S9_EEllS9_
		.amdhsa_group_segment_fixed_size 0
		.amdhsa_private_segment_fixed_size 0
		.amdhsa_kernarg_size 1112
		.amdhsa_user_sgpr_count 15
		.amdhsa_user_sgpr_dispatch_ptr 0
		.amdhsa_user_sgpr_queue_ptr 0
		.amdhsa_user_sgpr_kernarg_segment_ptr 1
		.amdhsa_user_sgpr_dispatch_id 0
		.amdhsa_user_sgpr_private_segment_size 0
		.amdhsa_wavefront_size32 1
		.amdhsa_uses_dynamic_stack 0
		.amdhsa_enable_private_segment 0
		.amdhsa_system_sgpr_workgroup_id_x 1
		.amdhsa_system_sgpr_workgroup_id_y 0
		.amdhsa_system_sgpr_workgroup_id_z 0
		.amdhsa_system_sgpr_workgroup_info 0
		.amdhsa_system_vgpr_workitem_id 0
		.amdhsa_next_free_vgpr 24
		.amdhsa_next_free_sgpr 46
		.amdhsa_reserve_vcc 1
		.amdhsa_float_round_mode_32 0
		.amdhsa_float_round_mode_16_64 0
		.amdhsa_float_denorm_mode_32 3
		.amdhsa_float_denorm_mode_16_64 3
		.amdhsa_dx10_clamp 1
		.amdhsa_ieee_mode 1
		.amdhsa_fp16_overflow 0
		.amdhsa_workgroup_processor_mode 1
		.amdhsa_memory_ordered 1
		.amdhsa_forward_progress 0
		.amdhsa_shared_vgpr_count 0
		.amdhsa_exception_fp_ieee_invalid_op 0
		.amdhsa_exception_fp_denorm_src 0
		.amdhsa_exception_fp_ieee_div_zero 0
		.amdhsa_exception_fp_ieee_overflow 0
		.amdhsa_exception_fp_ieee_underflow 0
		.amdhsa_exception_fp_ieee_inexact 0
		.amdhsa_exception_int_div_zero 0
	.end_amdhsa_kernel
	.section	.text._ZN2at6native16triu_tril_kernelIN3c107complexIfEElLb1ELi2ELb1EEEvNS_4cuda6detail10TensorInfoIT_T0_EENS7_IKS8_S9_EEllS9_,"axG",@progbits,_ZN2at6native16triu_tril_kernelIN3c107complexIfEElLb1ELi2ELb1EEEvNS_4cuda6detail10TensorInfoIT_T0_EENS7_IKS8_S9_EEllS9_,comdat
.Lfunc_end86:
	.size	_ZN2at6native16triu_tril_kernelIN3c107complexIfEElLb1ELi2ELb1EEEvNS_4cuda6detail10TensorInfoIT_T0_EENS7_IKS8_S9_EEllS9_, .Lfunc_end86-_ZN2at6native16triu_tril_kernelIN3c107complexIfEElLb1ELi2ELb1EEEvNS_4cuda6detail10TensorInfoIT_T0_EENS7_IKS8_S9_EEllS9_
                                        ; -- End function
	.section	.AMDGPU.csdata,"",@progbits
; Kernel info:
; codeLenInByte = 3880
; NumSgprs: 48
; NumVgprs: 24
; ScratchSize: 0
; MemoryBound: 0
; FloatMode: 240
; IeeeMode: 1
; LDSByteSize: 0 bytes/workgroup (compile time only)
; SGPRBlocks: 5
; VGPRBlocks: 2
; NumSGPRsForWavesPerEU: 48
; NumVGPRsForWavesPerEU: 24
; Occupancy: 16
; WaveLimiterHint : 0
; COMPUTE_PGM_RSRC2:SCRATCH_EN: 0
; COMPUTE_PGM_RSRC2:USER_SGPR: 15
; COMPUTE_PGM_RSRC2:TRAP_HANDLER: 0
; COMPUTE_PGM_RSRC2:TGID_X_EN: 1
; COMPUTE_PGM_RSRC2:TGID_Y_EN: 0
; COMPUTE_PGM_RSRC2:TGID_Z_EN: 0
; COMPUTE_PGM_RSRC2:TIDIG_COMP_CNT: 0
	.section	.text._ZN2at6native16triu_tril_kernelIN3c107complexIfEElLb1ELi2ELb0EEEvNS_4cuda6detail10TensorInfoIT_T0_EENS7_IKS8_S9_EEllS9_,"axG",@progbits,_ZN2at6native16triu_tril_kernelIN3c107complexIfEElLb1ELi2ELb0EEEvNS_4cuda6detail10TensorInfoIT_T0_EENS7_IKS8_S9_EEllS9_,comdat
	.protected	_ZN2at6native16triu_tril_kernelIN3c107complexIfEElLb1ELi2ELb0EEEvNS_4cuda6detail10TensorInfoIT_T0_EENS7_IKS8_S9_EEllS9_ ; -- Begin function _ZN2at6native16triu_tril_kernelIN3c107complexIfEElLb1ELi2ELb0EEEvNS_4cuda6detail10TensorInfoIT_T0_EENS7_IKS8_S9_EEllS9_
	.globl	_ZN2at6native16triu_tril_kernelIN3c107complexIfEElLb1ELi2ELb0EEEvNS_4cuda6detail10TensorInfoIT_T0_EENS7_IKS8_S9_EEllS9_
	.p2align	8
	.type	_ZN2at6native16triu_tril_kernelIN3c107complexIfEElLb1ELi2ELb0EEEvNS_4cuda6detail10TensorInfoIT_T0_EENS7_IKS8_S9_EEllS9_,@function
_ZN2at6native16triu_tril_kernelIN3c107complexIfEElLb1ELi2ELb0EEEvNS_4cuda6detail10TensorInfoIT_T0_EENS7_IKS8_S9_EEllS9_: ; @_ZN2at6native16triu_tril_kernelIN3c107complexIfEElLb1ELi2ELb0EEEvNS_4cuda6detail10TensorInfoIT_T0_EENS7_IKS8_S9_EEllS9_
; %bb.0:
	s_clause 0x1
	s_load_b32 s2, s[0:1], 0x364
	s_load_b128 s[4:7], s[0:1], 0x340
	v_mov_b32_e32 v2, 0
	s_add_u32 s8, s0, 0x358
	s_addc_u32 s9, s1, 0
	s_delay_alu instid0(VALU_DEP_1) | instskip(SKIP_3) | instid1(VALU_DEP_1)
	v_mov_b32_e32 v1, v2
	s_waitcnt lgkmcnt(0)
	s_and_b32 s24, s2, 0xffff
	s_mov_b32 s2, exec_lo
	v_mad_u64_u32 v[3:4], null, s24, s15, v[0:1]
	s_delay_alu instid0(VALU_DEP_1) | instskip(NEXT) | instid1(VALU_DEP_1)
	v_lshlrev_b64 v[0:1], 1, v[3:4]
	v_cmpx_gt_i64_e64 s[6:7], v[0:1]
	s_cbranch_execz .LBB87_26
; %bb.1:
	s_clause 0x1
	s_load_b32 s26, s[0:1], 0x338
	s_load_b64 s[2:3], s[0:1], 0x350
	s_add_u32 s10, s0, 0x1a0
	s_addc_u32 s11, s1, 0
	s_load_b32 s25, s[8:9], 0x0
	s_clause 0x1
	s_load_b64 s[20:21], s[0:1], 0x1a0
	s_load_b64 s[22:23], s[0:1], 0x0
	s_mov_b32 s46, 0
	s_waitcnt lgkmcnt(0)
	s_ashr_i32 s27, s26, 31
	s_add_u32 s30, s0, 0x1a8
	s_addc_u32 s31, s1, 0
	s_lshl_b64 s[8:9], s[26:27], 3
	v_cvt_f32_u32_e32 v3, s2
	s_add_u32 s14, s8, -16
	s_addc_u32 s15, s9, -1
	s_add_u32 s8, s30, s14
	s_addc_u32 s9, s31, s15
	s_add_u32 s12, s10, s14
	s_addc_u32 s13, s11, s15
	;; [unrolled: 2-line block ×4, first 2 shown]
	s_clause 0x2
	s_load_b128 s[8:11], s[8:9], 0x0
	s_load_b128 s[12:15], s[12:13], 0xd0
	s_load_b128 s[16:19], s[0:1], 0x0
	v_rcp_iflag_f32_e32 v3, v3
	s_add_i32 s28, s26, -3
	s_mul_i32 s25, s25, s24
	s_ashr_i32 s29, s28, 31
	v_cmp_gt_i64_e64 s1, s[26:27], 2
	s_lshl_b64 s[26:27], s[28:29], 3
	s_lshl_b32 s33, s25, 1
	s_add_u32 s24, s34, s26
	s_addc_u32 s25, s35, s27
	s_add_u32 s26, s30, s26
	s_waitcnt_depctr 0xfff
	v_mul_f32_e32 v3, 0x4f7ffffe, v3
	s_addc_u32 s27, s31, s27
	s_add_u32 s28, s28, 1
	s_addc_u32 s29, s29, 0
	s_ashr_i32 s30, s3, 31
	v_cvt_u32_f32_e32 v18, v3
	s_branch .LBB87_3
.LBB87_2:                               ;   in Loop: Header=BB87_3 Depth=1
	s_or_b32 exec_lo, exec_lo, s0
	v_add_co_u32 v0, vcc_lo, v0, s33
	v_add_co_ci_u32_e32 v1, vcc_lo, 0, v1, vcc_lo
	s_delay_alu instid0(VALU_DEP_1) | instskip(SKIP_1) | instid1(SALU_CYCLE_1)
	v_cmp_le_i64_e32 vcc_lo, s[6:7], v[0:1]
	s_or_b32 s46, vcc_lo, s46
	s_and_not1_b32 exec_lo, exec_lo, s46
	s_cbranch_execz .LBB87_26
.LBB87_3:                               ; =>This Loop Header: Depth=1
                                        ;     Child Loop BB87_22 Depth 2
	v_or_b32_e32 v3, s3, v1
                                        ; implicit-def: $vgpr8_vgpr9
	s_mov_b32 s0, exec_lo
	s_delay_alu instid0(VALU_DEP_1)
	v_cmpx_ne_u64_e32 0, v[2:3]
	s_xor_b32 s36, exec_lo, s0
	s_cbranch_execz .LBB87_5
; %bb.4:                                ;   in Loop: Header=BB87_3 Depth=1
	s_add_u32 s34, s2, s30
	s_mov_b32 s31, s30
	s_addc_u32 s35, s3, s30
	s_delay_alu instid0(SALU_CYCLE_1) | instskip(NEXT) | instid1(SALU_CYCLE_1)
	s_xor_b64 s[34:35], s[34:35], s[30:31]
	v_cvt_f32_u32_e32 v3, s34
	v_cvt_f32_u32_e32 v4, s35
	s_sub_u32 s0, 0, s34
	s_subb_u32 s31, 0, s35
	s_delay_alu instid0(VALU_DEP_1) | instskip(NEXT) | instid1(VALU_DEP_1)
	v_fmac_f32_e32 v3, 0x4f800000, v4
	v_rcp_f32_e32 v3, v3
	s_waitcnt_depctr 0xfff
	v_mul_f32_e32 v3, 0x5f7ffffc, v3
	s_delay_alu instid0(VALU_DEP_1) | instskip(NEXT) | instid1(VALU_DEP_1)
	v_mul_f32_e32 v4, 0x2f800000, v3
	v_trunc_f32_e32 v4, v4
	s_delay_alu instid0(VALU_DEP_1) | instskip(SKIP_1) | instid1(VALU_DEP_2)
	v_fmac_f32_e32 v3, 0xcf800000, v4
	v_cvt_u32_f32_e32 v4, v4
	v_cvt_u32_f32_e32 v3, v3
	s_delay_alu instid0(VALU_DEP_2) | instskip(NEXT) | instid1(VALU_DEP_2)
	v_mul_lo_u32 v5, s0, v4
	v_mul_hi_u32 v6, s0, v3
	v_mul_lo_u32 v7, s31, v3
	s_delay_alu instid0(VALU_DEP_2) | instskip(SKIP_1) | instid1(VALU_DEP_2)
	v_add_nc_u32_e32 v5, v6, v5
	v_mul_lo_u32 v6, s0, v3
	v_add_nc_u32_e32 v5, v5, v7
	s_delay_alu instid0(VALU_DEP_2) | instskip(NEXT) | instid1(VALU_DEP_2)
	v_mul_hi_u32 v7, v3, v6
	v_mul_lo_u32 v8, v3, v5
	v_mul_hi_u32 v9, v3, v5
	v_mul_hi_u32 v10, v4, v6
	v_mul_lo_u32 v6, v4, v6
	v_mul_hi_u32 v11, v4, v5
	v_mul_lo_u32 v5, v4, v5
	v_add_co_u32 v7, vcc_lo, v7, v8
	v_add_co_ci_u32_e32 v8, vcc_lo, 0, v9, vcc_lo
	s_delay_alu instid0(VALU_DEP_2) | instskip(NEXT) | instid1(VALU_DEP_2)
	v_add_co_u32 v6, vcc_lo, v7, v6
	v_add_co_ci_u32_e32 v6, vcc_lo, v8, v10, vcc_lo
	v_add_co_ci_u32_e32 v7, vcc_lo, 0, v11, vcc_lo
	v_ashrrev_i32_e32 v10, 31, v1
	s_delay_alu instid0(VALU_DEP_3) | instskip(NEXT) | instid1(VALU_DEP_3)
	v_add_co_u32 v5, vcc_lo, v6, v5
	v_add_co_ci_u32_e32 v6, vcc_lo, 0, v7, vcc_lo
	s_delay_alu instid0(VALU_DEP_2) | instskip(NEXT) | instid1(VALU_DEP_2)
	v_add_co_u32 v3, vcc_lo, v3, v5
	v_add_co_ci_u32_e32 v4, vcc_lo, v4, v6, vcc_lo
	s_delay_alu instid0(VALU_DEP_2) | instskip(SKIP_1) | instid1(VALU_DEP_3)
	v_mul_hi_u32 v5, s0, v3
	v_mul_lo_u32 v7, s31, v3
	v_mul_lo_u32 v6, s0, v4
	s_delay_alu instid0(VALU_DEP_1) | instskip(SKIP_1) | instid1(VALU_DEP_2)
	v_add_nc_u32_e32 v5, v5, v6
	v_mul_lo_u32 v6, s0, v3
	v_add_nc_u32_e32 v5, v5, v7
	s_delay_alu instid0(VALU_DEP_2) | instskip(NEXT) | instid1(VALU_DEP_2)
	v_mul_hi_u32 v7, v3, v6
	v_mul_lo_u32 v8, v3, v5
	v_mul_hi_u32 v9, v3, v5
	v_mul_hi_u32 v11, v4, v6
	v_mul_lo_u32 v6, v4, v6
	v_mul_hi_u32 v12, v4, v5
	v_mul_lo_u32 v5, v4, v5
	v_add_co_u32 v7, vcc_lo, v7, v8
	v_add_co_ci_u32_e32 v8, vcc_lo, 0, v9, vcc_lo
	s_delay_alu instid0(VALU_DEP_2) | instskip(NEXT) | instid1(VALU_DEP_2)
	v_add_co_u32 v6, vcc_lo, v7, v6
	v_add_co_ci_u32_e32 v6, vcc_lo, v8, v11, vcc_lo
	v_add_co_ci_u32_e32 v7, vcc_lo, 0, v12, vcc_lo
	v_add_co_u32 v8, vcc_lo, v0, v10
	v_add_co_ci_u32_e32 v9, vcc_lo, v1, v10, vcc_lo
	s_delay_alu instid0(VALU_DEP_4) | instskip(NEXT) | instid1(VALU_DEP_4)
	v_add_co_u32 v5, vcc_lo, v6, v5
	v_add_co_ci_u32_e32 v6, vcc_lo, 0, v7, vcc_lo
	s_delay_alu instid0(VALU_DEP_4) | instskip(NEXT) | instid1(VALU_DEP_3)
	v_xor_b32_e32 v11, v8, v10
	v_add_co_u32 v7, vcc_lo, v3, v5
	s_delay_alu instid0(VALU_DEP_3) | instskip(SKIP_1) | instid1(VALU_DEP_3)
	v_add_co_ci_u32_e32 v12, vcc_lo, v4, v6, vcc_lo
	v_xor_b32_e32 v9, v9, v10
	v_mul_hi_u32 v13, v11, v7
	s_delay_alu instid0(VALU_DEP_3) | instskip(NEXT) | instid1(VALU_DEP_3)
	v_mad_u64_u32 v[3:4], null, v11, v12, 0
	v_mad_u64_u32 v[5:6], null, v9, v7, 0
	;; [unrolled: 1-line block ×3, first 2 shown]
	s_delay_alu instid0(VALU_DEP_3) | instskip(NEXT) | instid1(VALU_DEP_4)
	v_add_co_u32 v3, vcc_lo, v13, v3
	v_add_co_ci_u32_e32 v4, vcc_lo, 0, v4, vcc_lo
	s_delay_alu instid0(VALU_DEP_2) | instskip(NEXT) | instid1(VALU_DEP_2)
	v_add_co_u32 v3, vcc_lo, v3, v5
	v_add_co_ci_u32_e32 v3, vcc_lo, v4, v6, vcc_lo
	v_add_co_ci_u32_e32 v4, vcc_lo, 0, v8, vcc_lo
	s_delay_alu instid0(VALU_DEP_2) | instskip(NEXT) | instid1(VALU_DEP_2)
	v_add_co_u32 v5, vcc_lo, v3, v7
	v_add_co_ci_u32_e32 v6, vcc_lo, 0, v4, vcc_lo
	s_delay_alu instid0(VALU_DEP_2) | instskip(SKIP_1) | instid1(VALU_DEP_3)
	v_mul_lo_u32 v7, s35, v5
	v_mad_u64_u32 v[3:4], null, s34, v5, 0
	v_mul_lo_u32 v8, s34, v6
	s_delay_alu instid0(VALU_DEP_2) | instskip(NEXT) | instid1(VALU_DEP_2)
	v_sub_co_u32 v3, vcc_lo, v11, v3
	v_add3_u32 v4, v4, v8, v7
	s_delay_alu instid0(VALU_DEP_1) | instskip(NEXT) | instid1(VALU_DEP_1)
	v_sub_nc_u32_e32 v7, v9, v4
	v_subrev_co_ci_u32_e64 v7, s0, s35, v7, vcc_lo
	v_add_co_u32 v8, s0, v5, 2
	s_delay_alu instid0(VALU_DEP_1) | instskip(SKIP_3) | instid1(VALU_DEP_3)
	v_add_co_ci_u32_e64 v11, s0, 0, v6, s0
	v_sub_co_u32 v12, s0, v3, s34
	v_sub_co_ci_u32_e32 v4, vcc_lo, v9, v4, vcc_lo
	v_subrev_co_ci_u32_e64 v7, s0, 0, v7, s0
	v_cmp_le_u32_e32 vcc_lo, s34, v12
	s_delay_alu instid0(VALU_DEP_3) | instskip(SKIP_1) | instid1(VALU_DEP_4)
	v_cmp_eq_u32_e64 s0, s35, v4
	v_cndmask_b32_e64 v9, 0, -1, vcc_lo
	v_cmp_le_u32_e32 vcc_lo, s35, v7
	v_cndmask_b32_e64 v12, 0, -1, vcc_lo
	v_cmp_le_u32_e32 vcc_lo, s34, v3
	;; [unrolled: 2-line block ×3, first 2 shown]
	v_cndmask_b32_e64 v13, 0, -1, vcc_lo
	v_cmp_eq_u32_e32 vcc_lo, s35, v7
	s_delay_alu instid0(VALU_DEP_2) | instskip(SKIP_3) | instid1(VALU_DEP_3)
	v_cndmask_b32_e64 v3, v13, v3, s0
	v_cndmask_b32_e32 v7, v12, v9, vcc_lo
	v_add_co_u32 v9, vcc_lo, v5, 1
	v_add_co_ci_u32_e32 v12, vcc_lo, 0, v6, vcc_lo
	v_cmp_ne_u32_e32 vcc_lo, 0, v7
	s_delay_alu instid0(VALU_DEP_2) | instskip(SKIP_2) | instid1(VALU_DEP_3)
	v_dual_cndmask_b32 v4, v12, v11 :: v_dual_cndmask_b32 v7, v9, v8
	v_cmp_ne_u32_e32 vcc_lo, 0, v3
	v_xor_b32_e32 v3, s30, v10
	v_dual_cndmask_b32 v5, v5, v7 :: v_dual_cndmask_b32 v4, v6, v4
	s_delay_alu instid0(VALU_DEP_1) | instskip(NEXT) | instid1(VALU_DEP_2)
	v_xor_b32_e32 v5, v5, v3
	v_xor_b32_e32 v4, v4, v3
	s_delay_alu instid0(VALU_DEP_2) | instskip(NEXT) | instid1(VALU_DEP_2)
	v_sub_co_u32 v8, vcc_lo, v5, v3
	v_sub_co_ci_u32_e32 v9, vcc_lo, v4, v3, vcc_lo
.LBB87_5:                               ;   in Loop: Header=BB87_3 Depth=1
	s_and_not1_saveexec_b32 s0, s36
	s_cbranch_execz .LBB87_7
; %bb.6:                                ;   in Loop: Header=BB87_3 Depth=1
	s_sub_i32 s31, 0, s2
	v_mov_b32_e32 v9, v2
	v_mul_lo_u32 v3, s31, v18
	s_delay_alu instid0(VALU_DEP_1) | instskip(NEXT) | instid1(VALU_DEP_1)
	v_mul_hi_u32 v3, v18, v3
	v_add_nc_u32_e32 v3, v18, v3
	s_delay_alu instid0(VALU_DEP_1) | instskip(NEXT) | instid1(VALU_DEP_1)
	v_mul_hi_u32 v3, v0, v3
	v_mul_lo_u32 v4, v3, s2
	v_add_nc_u32_e32 v5, 1, v3
	s_delay_alu instid0(VALU_DEP_2) | instskip(NEXT) | instid1(VALU_DEP_1)
	v_sub_nc_u32_e32 v4, v0, v4
	v_subrev_nc_u32_e32 v6, s2, v4
	v_cmp_le_u32_e32 vcc_lo, s2, v4
	s_delay_alu instid0(VALU_DEP_2) | instskip(NEXT) | instid1(VALU_DEP_1)
	v_dual_cndmask_b32 v4, v4, v6 :: v_dual_cndmask_b32 v3, v3, v5
	v_cmp_le_u32_e32 vcc_lo, s2, v4
	s_delay_alu instid0(VALU_DEP_2) | instskip(NEXT) | instid1(VALU_DEP_1)
	v_add_nc_u32_e32 v5, 1, v3
	v_cndmask_b32_e32 v8, v3, v5, vcc_lo
.LBB87_7:                               ;   in Loop: Header=BB87_3 Depth=1
	s_or_b32 exec_lo, exec_lo, s0
	s_waitcnt lgkmcnt(0)
	v_or_b32_e32 v3, s9, v9
                                        ; implicit-def: $vgpr6_vgpr7
	s_mov_b32 s0, exec_lo
	s_delay_alu instid0(VALU_DEP_1)
	v_cmpx_ne_u64_e32 0, v[2:3]
	s_xor_b32 s31, exec_lo, s0
	s_cbranch_execz .LBB87_9
; %bb.8:                                ;   in Loop: Header=BB87_3 Depth=1
	s_ashr_i32 s34, s9, 31
	s_delay_alu instid0(SALU_CYCLE_1) | instskip(SKIP_2) | instid1(SALU_CYCLE_1)
	s_add_u32 s36, s8, s34
	s_mov_b32 s35, s34
	s_addc_u32 s37, s9, s34
	s_xor_b64 s[36:37], s[36:37], s[34:35]
	s_delay_alu instid0(SALU_CYCLE_1) | instskip(SKIP_3) | instid1(VALU_DEP_1)
	v_cvt_f32_u32_e32 v3, s36
	v_cvt_f32_u32_e32 v4, s37
	s_sub_u32 s0, 0, s36
	s_subb_u32 s35, 0, s37
	v_fmac_f32_e32 v3, 0x4f800000, v4
	s_delay_alu instid0(VALU_DEP_1) | instskip(SKIP_2) | instid1(VALU_DEP_1)
	v_rcp_f32_e32 v3, v3
	s_waitcnt_depctr 0xfff
	v_mul_f32_e32 v3, 0x5f7ffffc, v3
	v_mul_f32_e32 v4, 0x2f800000, v3
	s_delay_alu instid0(VALU_DEP_1) | instskip(NEXT) | instid1(VALU_DEP_1)
	v_trunc_f32_e32 v4, v4
	v_fmac_f32_e32 v3, 0xcf800000, v4
	v_cvt_u32_f32_e32 v4, v4
	s_delay_alu instid0(VALU_DEP_2) | instskip(NEXT) | instid1(VALU_DEP_2)
	v_cvt_u32_f32_e32 v3, v3
	v_mul_lo_u32 v5, s0, v4
	s_delay_alu instid0(VALU_DEP_2) | instskip(SKIP_1) | instid1(VALU_DEP_2)
	v_mul_hi_u32 v6, s0, v3
	v_mul_lo_u32 v7, s35, v3
	v_add_nc_u32_e32 v5, v6, v5
	v_mul_lo_u32 v6, s0, v3
	s_delay_alu instid0(VALU_DEP_2) | instskip(NEXT) | instid1(VALU_DEP_2)
	v_add_nc_u32_e32 v5, v5, v7
	v_mul_hi_u32 v7, v3, v6
	s_delay_alu instid0(VALU_DEP_2)
	v_mul_lo_u32 v10, v3, v5
	v_mul_hi_u32 v11, v3, v5
	v_mul_hi_u32 v12, v4, v6
	v_mul_lo_u32 v6, v4, v6
	v_mul_hi_u32 v13, v4, v5
	v_mul_lo_u32 v5, v4, v5
	v_add_co_u32 v7, vcc_lo, v7, v10
	v_add_co_ci_u32_e32 v10, vcc_lo, 0, v11, vcc_lo
	s_delay_alu instid0(VALU_DEP_2) | instskip(NEXT) | instid1(VALU_DEP_2)
	v_add_co_u32 v6, vcc_lo, v7, v6
	v_add_co_ci_u32_e32 v6, vcc_lo, v10, v12, vcc_lo
	v_add_co_ci_u32_e32 v7, vcc_lo, 0, v13, vcc_lo
	v_ashrrev_i32_e32 v12, 31, v9
	s_delay_alu instid0(VALU_DEP_3) | instskip(NEXT) | instid1(VALU_DEP_3)
	v_add_co_u32 v5, vcc_lo, v6, v5
	v_add_co_ci_u32_e32 v6, vcc_lo, 0, v7, vcc_lo
	s_delay_alu instid0(VALU_DEP_2) | instskip(NEXT) | instid1(VALU_DEP_2)
	v_add_co_u32 v3, vcc_lo, v3, v5
	v_add_co_ci_u32_e32 v4, vcc_lo, v4, v6, vcc_lo
	s_delay_alu instid0(VALU_DEP_2) | instskip(SKIP_1) | instid1(VALU_DEP_3)
	v_mul_hi_u32 v5, s0, v3
	v_mul_lo_u32 v7, s35, v3
	v_mul_lo_u32 v6, s0, v4
	s_delay_alu instid0(VALU_DEP_1) | instskip(SKIP_1) | instid1(VALU_DEP_2)
	v_add_nc_u32_e32 v5, v5, v6
	v_mul_lo_u32 v6, s0, v3
	v_add_nc_u32_e32 v5, v5, v7
	s_delay_alu instid0(VALU_DEP_2) | instskip(NEXT) | instid1(VALU_DEP_2)
	v_mul_hi_u32 v7, v3, v6
	v_mul_lo_u32 v10, v3, v5
	v_mul_hi_u32 v11, v3, v5
	v_mul_hi_u32 v13, v4, v6
	v_mul_lo_u32 v6, v4, v6
	v_mul_hi_u32 v14, v4, v5
	v_mul_lo_u32 v5, v4, v5
	v_add_co_u32 v7, vcc_lo, v7, v10
	v_add_co_ci_u32_e32 v10, vcc_lo, 0, v11, vcc_lo
	s_delay_alu instid0(VALU_DEP_2) | instskip(NEXT) | instid1(VALU_DEP_2)
	v_add_co_u32 v6, vcc_lo, v7, v6
	v_add_co_ci_u32_e32 v6, vcc_lo, v10, v13, vcc_lo
	v_add_co_ci_u32_e32 v7, vcc_lo, 0, v14, vcc_lo
	v_add_co_u32 v10, vcc_lo, v8, v12
	v_add_co_ci_u32_e32 v11, vcc_lo, v9, v12, vcc_lo
	s_delay_alu instid0(VALU_DEP_4) | instskip(NEXT) | instid1(VALU_DEP_4)
	v_add_co_u32 v5, vcc_lo, v6, v5
	v_add_co_ci_u32_e32 v6, vcc_lo, 0, v7, vcc_lo
	s_delay_alu instid0(VALU_DEP_4) | instskip(NEXT) | instid1(VALU_DEP_3)
	v_xor_b32_e32 v7, v10, v12
	v_add_co_u32 v10, vcc_lo, v3, v5
	s_delay_alu instid0(VALU_DEP_3) | instskip(SKIP_1) | instid1(VALU_DEP_3)
	v_add_co_ci_u32_e32 v13, vcc_lo, v4, v6, vcc_lo
	v_xor_b32_e32 v14, v11, v12
	v_mul_hi_u32 v15, v7, v10
	s_delay_alu instid0(VALU_DEP_3) | instskip(NEXT) | instid1(VALU_DEP_3)
	v_mad_u64_u32 v[3:4], null, v7, v13, 0
	v_mad_u64_u32 v[5:6], null, v14, v10, 0
	;; [unrolled: 1-line block ×3, first 2 shown]
	s_delay_alu instid0(VALU_DEP_3) | instskip(NEXT) | instid1(VALU_DEP_4)
	v_add_co_u32 v3, vcc_lo, v15, v3
	v_add_co_ci_u32_e32 v4, vcc_lo, 0, v4, vcc_lo
	s_delay_alu instid0(VALU_DEP_2) | instskip(NEXT) | instid1(VALU_DEP_2)
	v_add_co_u32 v3, vcc_lo, v3, v5
	v_add_co_ci_u32_e32 v3, vcc_lo, v4, v6, vcc_lo
	v_add_co_ci_u32_e32 v4, vcc_lo, 0, v11, vcc_lo
	s_delay_alu instid0(VALU_DEP_2) | instskip(NEXT) | instid1(VALU_DEP_2)
	v_add_co_u32 v5, vcc_lo, v3, v10
	v_add_co_ci_u32_e32 v6, vcc_lo, 0, v4, vcc_lo
	s_delay_alu instid0(VALU_DEP_2) | instskip(SKIP_1) | instid1(VALU_DEP_3)
	v_mul_lo_u32 v10, s37, v5
	v_mad_u64_u32 v[3:4], null, s36, v5, 0
	v_mul_lo_u32 v11, s36, v6
	s_delay_alu instid0(VALU_DEP_2) | instskip(NEXT) | instid1(VALU_DEP_2)
	v_sub_co_u32 v3, vcc_lo, v7, v3
	v_add3_u32 v4, v4, v11, v10
	s_delay_alu instid0(VALU_DEP_1) | instskip(NEXT) | instid1(VALU_DEP_1)
	v_sub_nc_u32_e32 v10, v14, v4
	v_subrev_co_ci_u32_e64 v7, s0, s37, v10, vcc_lo
	v_add_co_u32 v10, s0, v5, 2
	s_delay_alu instid0(VALU_DEP_1) | instskip(SKIP_3) | instid1(VALU_DEP_3)
	v_add_co_ci_u32_e64 v11, s0, 0, v6, s0
	v_sub_co_u32 v13, s0, v3, s36
	v_sub_co_ci_u32_e32 v4, vcc_lo, v14, v4, vcc_lo
	v_subrev_co_ci_u32_e64 v7, s0, 0, v7, s0
	v_cmp_le_u32_e32 vcc_lo, s36, v13
	s_delay_alu instid0(VALU_DEP_3) | instskip(SKIP_1) | instid1(VALU_DEP_4)
	v_cmp_eq_u32_e64 s0, s37, v4
	v_cndmask_b32_e64 v13, 0, -1, vcc_lo
	v_cmp_le_u32_e32 vcc_lo, s37, v7
	v_cndmask_b32_e64 v14, 0, -1, vcc_lo
	v_cmp_le_u32_e32 vcc_lo, s36, v3
	;; [unrolled: 2-line block ×3, first 2 shown]
	v_cndmask_b32_e64 v15, 0, -1, vcc_lo
	v_cmp_eq_u32_e32 vcc_lo, s37, v7
	s_delay_alu instid0(VALU_DEP_2) | instskip(SKIP_3) | instid1(VALU_DEP_3)
	v_cndmask_b32_e64 v3, v15, v3, s0
	v_cndmask_b32_e32 v7, v14, v13, vcc_lo
	v_add_co_u32 v13, vcc_lo, v5, 1
	v_add_co_ci_u32_e32 v14, vcc_lo, 0, v6, vcc_lo
	v_cmp_ne_u32_e32 vcc_lo, 0, v7
	s_delay_alu instid0(VALU_DEP_2) | instskip(SKIP_2) | instid1(VALU_DEP_3)
	v_dual_cndmask_b32 v4, v14, v11 :: v_dual_cndmask_b32 v7, v13, v10
	v_cmp_ne_u32_e32 vcc_lo, 0, v3
	v_xor_b32_e32 v3, s34, v12
	v_dual_cndmask_b32 v5, v5, v7 :: v_dual_cndmask_b32 v4, v6, v4
	s_delay_alu instid0(VALU_DEP_1) | instskip(NEXT) | instid1(VALU_DEP_2)
	v_xor_b32_e32 v5, v5, v3
	v_xor_b32_e32 v4, v4, v3
	s_delay_alu instid0(VALU_DEP_2) | instskip(NEXT) | instid1(VALU_DEP_2)
	v_sub_co_u32 v6, vcc_lo, v5, v3
	v_sub_co_ci_u32_e32 v7, vcc_lo, v4, v3, vcc_lo
.LBB87_9:                               ;   in Loop: Header=BB87_3 Depth=1
	s_and_not1_saveexec_b32 s0, s31
	s_cbranch_execz .LBB87_11
; %bb.10:                               ;   in Loop: Header=BB87_3 Depth=1
	v_cvt_f32_u32_e32 v3, s8
	s_sub_i32 s31, 0, s8
	v_mov_b32_e32 v7, v2
	s_delay_alu instid0(VALU_DEP_2) | instskip(SKIP_2) | instid1(VALU_DEP_1)
	v_rcp_iflag_f32_e32 v3, v3
	s_waitcnt_depctr 0xfff
	v_mul_f32_e32 v3, 0x4f7ffffe, v3
	v_cvt_u32_f32_e32 v3, v3
	s_delay_alu instid0(VALU_DEP_1) | instskip(NEXT) | instid1(VALU_DEP_1)
	v_mul_lo_u32 v4, s31, v3
	v_mul_hi_u32 v4, v3, v4
	s_delay_alu instid0(VALU_DEP_1) | instskip(NEXT) | instid1(VALU_DEP_1)
	v_add_nc_u32_e32 v3, v3, v4
	v_mul_hi_u32 v3, v8, v3
	s_delay_alu instid0(VALU_DEP_1) | instskip(SKIP_1) | instid1(VALU_DEP_2)
	v_mul_lo_u32 v4, v3, s8
	v_add_nc_u32_e32 v5, 1, v3
	v_sub_nc_u32_e32 v4, v8, v4
	s_delay_alu instid0(VALU_DEP_1) | instskip(SKIP_1) | instid1(VALU_DEP_2)
	v_subrev_nc_u32_e32 v6, s8, v4
	v_cmp_le_u32_e32 vcc_lo, s8, v4
	v_dual_cndmask_b32 v4, v4, v6 :: v_dual_cndmask_b32 v3, v3, v5
	s_delay_alu instid0(VALU_DEP_1) | instskip(NEXT) | instid1(VALU_DEP_2)
	v_cmp_le_u32_e32 vcc_lo, s8, v4
	v_add_nc_u32_e32 v5, 1, v3
	s_delay_alu instid0(VALU_DEP_1)
	v_cndmask_b32_e32 v6, v3, v5, vcc_lo
.LBB87_11:                              ;   in Loop: Header=BB87_3 Depth=1
	s_or_b32 exec_lo, exec_lo, s0
	v_mul_lo_u32 v5, v9, s2
	v_mul_lo_u32 v12, v8, s3
	v_mad_u64_u32 v[3:4], null, v8, s2, 0
	v_mul_lo_u32 v13, v7, s8
	v_mul_lo_u32 v14, v6, s9
	v_mad_u64_u32 v[10:11], null, v6, s8, 0
	s_mov_b64 s[34:35], s[28:29]
	s_mov_b64 s[36:37], s[26:27]
	s_delay_alu instid0(VALU_DEP_4) | instskip(SKIP_2) | instid1(VALU_DEP_3)
	v_add3_u32 v5, v4, v12, v5
	v_sub_co_u32 v4, vcc_lo, v0, v3
	s_mov_b64 s[38:39], s[24:25]
	v_add3_u32 v3, v11, v14, v13
	s_delay_alu instid0(VALU_DEP_3) | instskip(NEXT) | instid1(VALU_DEP_3)
	v_sub_co_ci_u32_e32 v5, vcc_lo, v1, v5, vcc_lo
	v_mul_lo_u32 v11, s15, v4
	v_mul_lo_u32 v12, s19, v4
	v_mad_u64_u32 v[14:15], null, s18, v4, 0
	s_delay_alu instid0(VALU_DEP_4)
	v_mul_lo_u32 v13, s14, v5
	v_mul_lo_u32 v21, s18, v5
	v_mad_u64_u32 v[16:17], null, s14, v4, 0
	v_sub_co_u32 v19, vcc_lo, v8, v10
	v_sub_co_ci_u32_e32 v20, vcc_lo, v9, v3, vcc_lo
	s_and_b32 vcc_lo, exec_lo, s1
	s_delay_alu instid0(VALU_DEP_4) | instskip(NEXT) | instid1(VALU_DEP_4)
	v_add3_u32 v15, v15, v21, v12
	v_add3_u32 v17, v17, v13, v11
	v_mul_lo_u32 v3, s13, v19
	v_mul_lo_u32 v8, s12, v20
	;; [unrolled: 1-line block ×3, first 2 shown]
	v_mad_u64_u32 v[12:13], null, s16, v19, v[14:15]
	v_mul_lo_u32 v10, s17, v19
	v_mad_u64_u32 v[14:15], null, s12, v19, v[16:17]
	s_delay_alu instid0(VALU_DEP_2) | instskip(NEXT) | instid1(VALU_DEP_2)
	v_add3_u32 v13, v10, v13, v9
	v_add3_u32 v15, v3, v15, v8
	v_mov_b32_e32 v8, v12
	s_delay_alu instid0(VALU_DEP_3) | instskip(NEXT) | instid1(VALU_DEP_3)
	v_dual_mov_b32 v10, v14 :: v_dual_mov_b32 v9, v13
	v_mov_b32_e32 v11, v15
	s_cbranch_vccnz .LBB87_22
.LBB87_12:                              ;   in Loop: Header=BB87_3 Depth=1
	v_sub_co_u32 v6, vcc_lo, v4, v19
	v_sub_co_ci_u32_e32 v7, vcc_lo, v5, v20, vcc_lo
	v_dual_mov_b32 v8, 0 :: v_dual_mov_b32 v9, 0
	s_delay_alu instid0(VALU_DEP_3) | instskip(NEXT) | instid1(VALU_DEP_3)
	v_add_co_u32 v10, vcc_lo, v6, 2
	v_add_co_ci_u32_e32 v11, vcc_lo, 0, v7, vcc_lo
	v_dual_mov_b32 v16, 0 :: v_dual_mov_b32 v17, 0
	s_mov_b32 s31, exec_lo
	s_delay_alu instid0(VALU_DEP_2)
	v_cmpx_le_i64_e64 s[4:5], v[10:11]
	s_cbranch_execz .LBB87_18
; %bb.13:                               ;   in Loop: Header=BB87_3 Depth=1
	v_dual_mov_b32 v9, 0 :: v_dual_mov_b32 v8, 0
	v_dual_mov_b32 v11, 0 :: v_dual_mov_b32 v10, 0
	s_mov_b32 s0, exec_lo
	v_cmpx_gt_i64_e64 s[10:11], v[4:5]
	s_cbranch_execz .LBB87_17
; %bb.14:                               ;   in Loop: Header=BB87_3 Depth=1
	v_lshlrev_b64 v[8:9], 3, v[14:15]
	s_delay_alu instid0(VALU_DEP_1) | instskip(NEXT) | instid1(VALU_DEP_2)
	v_add_co_u32 v14, vcc_lo, s20, v8
	v_add_co_ci_u32_e32 v15, vcc_lo, s21, v9, vcc_lo
	v_add_co_u32 v10, vcc_lo, v4, 1
	v_add_co_ci_u32_e32 v11, vcc_lo, 0, v5, vcc_lo
	global_load_b64 v[8:9], v[14:15], off
	v_cmp_gt_i64_e32 vcc_lo, s[10:11], v[10:11]
	v_dual_mov_b32 v10, 0 :: v_dual_mov_b32 v11, 0
	s_and_saveexec_b32 s34, vcc_lo
	s_delay_alu instid0(SALU_CYCLE_1)
	s_xor_b32 s34, exec_lo, s34
	s_cbranch_execz .LBB87_16
; %bb.15:                               ;   in Loop: Header=BB87_3 Depth=1
	s_lshl_b64 s[36:37], s[14:15], 3
	s_delay_alu instid0(SALU_CYCLE_1)
	v_add_co_u32 v10, vcc_lo, v14, s36
	v_add_co_ci_u32_e32 v11, vcc_lo, s37, v15, vcc_lo
	global_load_b64 v[10:11], v[10:11], off
.LBB87_16:                              ;   in Loop: Header=BB87_3 Depth=1
	s_or_b32 exec_lo, exec_lo, s34
.LBB87_17:                              ;   in Loop: Header=BB87_3 Depth=1
	s_delay_alu instid0(SALU_CYCLE_1) | instskip(SKIP_3) | instid1(VALU_DEP_2)
	s_or_b32 exec_lo, exec_lo, s0
	v_add_co_u32 v14, vcc_lo, v6, 1
	v_add_co_ci_u32_e32 v15, vcc_lo, 0, v7, vcc_lo
	v_cmp_gt_i64_e32 vcc_lo, s[4:5], v[6:7]
	v_cmp_gt_i64_e64 s0, s[4:5], v[14:15]
	s_waitcnt vmcnt(0)
	v_cndmask_b32_e64 v16, v8, 0, vcc_lo
	v_cndmask_b32_e64 v17, v9, 0, vcc_lo
	s_delay_alu instid0(VALU_DEP_3)
	v_cndmask_b32_e64 v8, v10, 0, s0
	v_cndmask_b32_e64 v9, v11, 0, s0
.LBB87_18:                              ;   in Loop: Header=BB87_3 Depth=1
	s_or_b32 exec_lo, exec_lo, s31
	s_delay_alu instid0(SALU_CYCLE_1)
	s_mov_b32 s0, exec_lo
	v_cmpx_gt_i64_e64 s[10:11], v[4:5]
	s_cbranch_execz .LBB87_2
; %bb.19:                               ;   in Loop: Header=BB87_3 Depth=1
	v_lshlrev_b64 v[6:7], 3, v[12:13]
	v_add_co_u32 v10, vcc_lo, v4, 1
	v_add_co_ci_u32_e32 v11, vcc_lo, 0, v5, vcc_lo
	s_mov_b32 s31, exec_lo
	s_delay_alu instid0(VALU_DEP_3) | instskip(NEXT) | instid1(VALU_DEP_4)
	v_add_co_u32 v3, vcc_lo, s22, v6
	v_add_co_ci_u32_e32 v4, vcc_lo, s23, v7, vcc_lo
	global_store_b64 v[3:4], v[16:17], off
	v_cmpx_gt_i64_e64 s[10:11], v[10:11]
	s_xor_b32 s31, exec_lo, s31
	s_cbranch_execz .LBB87_2
; %bb.20:                               ;   in Loop: Header=BB87_3 Depth=1
	s_lshl_b64 s[34:35], s[18:19], 3
	s_delay_alu instid0(SALU_CYCLE_1)
	v_add_co_u32 v3, vcc_lo, v3, s34
	v_add_co_ci_u32_e32 v4, vcc_lo, s35, v4, vcc_lo
	global_store_b64 v[3:4], v[8:9], off
	s_branch .LBB87_2
.LBB87_21:                              ;   in Loop: Header=BB87_22 Depth=2
	s_or_b32 exec_lo, exec_lo, s0
	s_delay_alu instid0(VALU_DEP_1) | instskip(NEXT) | instid1(VALU_DEP_2)
	v_mul_lo_u32 v3, v17, s40
	v_mul_lo_u32 v14, v16, s41
	s_load_b64 s[42:43], s[36:37], 0xc8
	v_mad_u64_u32 v[12:13], null, v16, s40, 0
	s_load_b64 s[40:41], s[38:39], 0x0
	s_add_u32 s38, s38, -8
	s_addc_u32 s39, s39, -1
	s_add_u32 s36, s36, -8
	s_addc_u32 s37, s37, -1
	s_add_u32 s34, s34, -1
	s_delay_alu instid0(VALU_DEP_1) | instskip(SKIP_2) | instid1(VALU_DEP_2)
	v_add3_u32 v3, v13, v14, v3
	v_sub_co_u32 v6, vcc_lo, v6, v12
	s_addc_u32 s35, s35, -1
	v_sub_co_ci_u32_e32 v3, vcc_lo, v7, v3, vcc_lo
	v_cmp_lt_i64_e64 s0, s[34:35], 1
	s_waitcnt lgkmcnt(0)
	s_delay_alu instid0(VALU_DEP_2)
	v_mul_lo_u32 v7, s42, v3
	v_mul_lo_u32 v21, s43, v6
	v_mad_u64_u32 v[14:15], null, s42, v6, v[10:11]
	v_mul_lo_u32 v3, s40, v3
	v_mul_lo_u32 v10, s41, v6
	v_mad_u64_u32 v[12:13], null, s40, v6, v[8:9]
	s_and_b32 vcc_lo, exec_lo, s0
	s_delay_alu instid0(VALU_DEP_4) | instskip(SKIP_1) | instid1(VALU_DEP_3)
	v_add3_u32 v15, v21, v15, v7
	v_dual_mov_b32 v6, v16 :: v_dual_mov_b32 v7, v17
	v_add3_u32 v13, v10, v13, v3
	s_delay_alu instid0(VALU_DEP_4) | instskip(NEXT) | instid1(VALU_DEP_4)
	v_mov_b32_e32 v8, v12
	v_dual_mov_b32 v10, v14 :: v_dual_mov_b32 v11, v15
	s_delay_alu instid0(VALU_DEP_3)
	v_mov_b32_e32 v9, v13
	s_cbranch_vccnz .LBB87_12
.LBB87_22:                              ;   Parent Loop BB87_3 Depth=1
                                        ; =>  This Inner Loop Header: Depth=2
	s_load_b64 s[40:41], s[36:37], 0x0
                                        ; implicit-def: $vgpr16_vgpr17
	s_mov_b32 s0, exec_lo
	s_waitcnt lgkmcnt(0)
	v_or_b32_e32 v3, s41, v7
	s_delay_alu instid0(VALU_DEP_1)
	v_cmpx_ne_u64_e32 0, v[2:3]
	s_xor_b32 s31, exec_lo, s0
	s_cbranch_execz .LBB87_24
; %bb.23:                               ;   in Loop: Header=BB87_22 Depth=2
	s_ashr_i32 s42, s41, 31
	s_delay_alu instid0(SALU_CYCLE_1) | instskip(SKIP_2) | instid1(SALU_CYCLE_1)
	s_add_u32 s44, s40, s42
	s_mov_b32 s43, s42
	s_addc_u32 s45, s41, s42
	s_xor_b64 s[44:45], s[44:45], s[42:43]
	s_delay_alu instid0(SALU_CYCLE_1) | instskip(SKIP_3) | instid1(VALU_DEP_1)
	v_cvt_f32_u32_e32 v3, s44
	v_cvt_f32_u32_e32 v12, s45
	s_sub_u32 s0, 0, s44
	s_subb_u32 s43, 0, s45
	v_fmac_f32_e32 v3, 0x4f800000, v12
	s_delay_alu instid0(VALU_DEP_1) | instskip(SKIP_2) | instid1(VALU_DEP_1)
	v_rcp_f32_e32 v3, v3
	s_waitcnt_depctr 0xfff
	v_mul_f32_e32 v3, 0x5f7ffffc, v3
	v_mul_f32_e32 v12, 0x2f800000, v3
	s_delay_alu instid0(VALU_DEP_1) | instskip(NEXT) | instid1(VALU_DEP_1)
	v_trunc_f32_e32 v12, v12
	v_fmac_f32_e32 v3, 0xcf800000, v12
	v_cvt_u32_f32_e32 v12, v12
	s_delay_alu instid0(VALU_DEP_2) | instskip(NEXT) | instid1(VALU_DEP_2)
	v_cvt_u32_f32_e32 v3, v3
	v_mul_lo_u32 v13, s0, v12
	s_delay_alu instid0(VALU_DEP_2) | instskip(SKIP_1) | instid1(VALU_DEP_2)
	v_mul_hi_u32 v14, s0, v3
	v_mul_lo_u32 v15, s43, v3
	v_add_nc_u32_e32 v13, v14, v13
	v_mul_lo_u32 v14, s0, v3
	s_delay_alu instid0(VALU_DEP_2) | instskip(NEXT) | instid1(VALU_DEP_2)
	v_add_nc_u32_e32 v13, v13, v15
	v_mul_hi_u32 v15, v3, v14
	s_delay_alu instid0(VALU_DEP_2)
	v_mul_lo_u32 v16, v3, v13
	v_mul_hi_u32 v17, v3, v13
	v_mul_hi_u32 v21, v12, v14
	v_mul_lo_u32 v14, v12, v14
	v_mul_hi_u32 v22, v12, v13
	v_mul_lo_u32 v13, v12, v13
	v_add_co_u32 v15, vcc_lo, v15, v16
	v_add_co_ci_u32_e32 v16, vcc_lo, 0, v17, vcc_lo
	s_delay_alu instid0(VALU_DEP_2) | instskip(NEXT) | instid1(VALU_DEP_2)
	v_add_co_u32 v14, vcc_lo, v15, v14
	v_add_co_ci_u32_e32 v14, vcc_lo, v16, v21, vcc_lo
	v_add_co_ci_u32_e32 v15, vcc_lo, 0, v22, vcc_lo
	v_ashrrev_i32_e32 v21, 31, v7
	s_delay_alu instid0(VALU_DEP_3) | instskip(NEXT) | instid1(VALU_DEP_3)
	v_add_co_u32 v13, vcc_lo, v14, v13
	v_add_co_ci_u32_e32 v14, vcc_lo, 0, v15, vcc_lo
	s_delay_alu instid0(VALU_DEP_2) | instskip(NEXT) | instid1(VALU_DEP_2)
	v_add_co_u32 v3, vcc_lo, v3, v13
	v_add_co_ci_u32_e32 v12, vcc_lo, v12, v14, vcc_lo
	s_delay_alu instid0(VALU_DEP_2) | instskip(SKIP_1) | instid1(VALU_DEP_3)
	v_mul_hi_u32 v13, s0, v3
	v_mul_lo_u32 v15, s43, v3
	v_mul_lo_u32 v14, s0, v12
	s_delay_alu instid0(VALU_DEP_1) | instskip(SKIP_1) | instid1(VALU_DEP_2)
	v_add_nc_u32_e32 v13, v13, v14
	v_mul_lo_u32 v14, s0, v3
	v_add_nc_u32_e32 v13, v13, v15
	s_delay_alu instid0(VALU_DEP_2) | instskip(NEXT) | instid1(VALU_DEP_2)
	v_mul_hi_u32 v15, v3, v14
	v_mul_lo_u32 v16, v3, v13
	v_mul_hi_u32 v17, v3, v13
	v_mul_hi_u32 v22, v12, v14
	v_mul_lo_u32 v14, v12, v14
	v_mul_hi_u32 v23, v12, v13
	v_mul_lo_u32 v13, v12, v13
	v_add_co_u32 v15, vcc_lo, v15, v16
	v_add_co_ci_u32_e32 v16, vcc_lo, 0, v17, vcc_lo
	s_delay_alu instid0(VALU_DEP_2) | instskip(NEXT) | instid1(VALU_DEP_2)
	v_add_co_u32 v14, vcc_lo, v15, v14
	v_add_co_ci_u32_e32 v14, vcc_lo, v16, v22, vcc_lo
	v_add_co_ci_u32_e32 v15, vcc_lo, 0, v23, vcc_lo
	v_add_co_u32 v16, vcc_lo, v6, v21
	v_add_co_ci_u32_e32 v17, vcc_lo, v7, v21, vcc_lo
	s_delay_alu instid0(VALU_DEP_4) | instskip(NEXT) | instid1(VALU_DEP_4)
	v_add_co_u32 v13, vcc_lo, v14, v13
	v_add_co_ci_u32_e32 v14, vcc_lo, 0, v15, vcc_lo
	s_delay_alu instid0(VALU_DEP_4) | instskip(NEXT) | instid1(VALU_DEP_3)
	v_xor_b32_e32 v22, v16, v21
	v_add_co_u32 v3, vcc_lo, v3, v13
	s_delay_alu instid0(VALU_DEP_3) | instskip(SKIP_1) | instid1(VALU_DEP_3)
	v_add_co_ci_u32_e32 v23, vcc_lo, v12, v14, vcc_lo
	v_xor_b32_e32 v24, v17, v21
	v_mul_hi_u32 v25, v22, v3
	s_delay_alu instid0(VALU_DEP_3) | instskip(NEXT) | instid1(VALU_DEP_3)
	v_mad_u64_u32 v[12:13], null, v22, v23, 0
	v_mad_u64_u32 v[14:15], null, v24, v3, 0
	;; [unrolled: 1-line block ×3, first 2 shown]
	s_delay_alu instid0(VALU_DEP_3) | instskip(NEXT) | instid1(VALU_DEP_4)
	v_add_co_u32 v3, vcc_lo, v25, v12
	v_add_co_ci_u32_e32 v12, vcc_lo, 0, v13, vcc_lo
	s_delay_alu instid0(VALU_DEP_2) | instskip(NEXT) | instid1(VALU_DEP_2)
	v_add_co_u32 v3, vcc_lo, v3, v14
	v_add_co_ci_u32_e32 v3, vcc_lo, v12, v15, vcc_lo
	v_add_co_ci_u32_e32 v12, vcc_lo, 0, v17, vcc_lo
	s_delay_alu instid0(VALU_DEP_2) | instskip(NEXT) | instid1(VALU_DEP_2)
	v_add_co_u32 v3, vcc_lo, v3, v16
	v_add_co_ci_u32_e32 v14, vcc_lo, 0, v12, vcc_lo
	s_delay_alu instid0(VALU_DEP_2) | instskip(SKIP_1) | instid1(VALU_DEP_3)
	v_mul_lo_u32 v15, s45, v3
	v_mad_u64_u32 v[12:13], null, s44, v3, 0
	v_mul_lo_u32 v16, s44, v14
	s_delay_alu instid0(VALU_DEP_2) | instskip(NEXT) | instid1(VALU_DEP_2)
	v_sub_co_u32 v12, vcc_lo, v22, v12
	v_add3_u32 v13, v13, v16, v15
	s_delay_alu instid0(VALU_DEP_1) | instskip(NEXT) | instid1(VALU_DEP_1)
	v_sub_nc_u32_e32 v15, v24, v13
	v_subrev_co_ci_u32_e64 v15, s0, s45, v15, vcc_lo
	v_add_co_u32 v16, s0, v3, 2
	s_delay_alu instid0(VALU_DEP_1) | instskip(SKIP_3) | instid1(VALU_DEP_3)
	v_add_co_ci_u32_e64 v17, s0, 0, v14, s0
	v_sub_co_u32 v22, s0, v12, s44
	v_sub_co_ci_u32_e32 v13, vcc_lo, v24, v13, vcc_lo
	v_subrev_co_ci_u32_e64 v15, s0, 0, v15, s0
	v_cmp_le_u32_e32 vcc_lo, s44, v22
	s_delay_alu instid0(VALU_DEP_3) | instskip(SKIP_1) | instid1(VALU_DEP_4)
	v_cmp_eq_u32_e64 s0, s45, v13
	v_cndmask_b32_e64 v22, 0, -1, vcc_lo
	v_cmp_le_u32_e32 vcc_lo, s45, v15
	v_cndmask_b32_e64 v23, 0, -1, vcc_lo
	v_cmp_le_u32_e32 vcc_lo, s44, v12
	;; [unrolled: 2-line block ×3, first 2 shown]
	v_cndmask_b32_e64 v24, 0, -1, vcc_lo
	v_cmp_eq_u32_e32 vcc_lo, s45, v15
	s_delay_alu instid0(VALU_DEP_2) | instskip(SKIP_3) | instid1(VALU_DEP_3)
	v_cndmask_b32_e64 v12, v24, v12, s0
	v_cndmask_b32_e32 v15, v23, v22, vcc_lo
	v_add_co_u32 v22, vcc_lo, v3, 1
	v_add_co_ci_u32_e32 v23, vcc_lo, 0, v14, vcc_lo
	v_cmp_ne_u32_e32 vcc_lo, 0, v15
	s_delay_alu instid0(VALU_DEP_2) | instskip(NEXT) | instid1(VALU_DEP_4)
	v_cndmask_b32_e32 v13, v23, v17, vcc_lo
	v_cndmask_b32_e32 v15, v22, v16, vcc_lo
	v_cmp_ne_u32_e32 vcc_lo, 0, v12
	v_xor_b32_e32 v12, s42, v21
	s_delay_alu instid0(VALU_DEP_3) | instskip(SKIP_1) | instid1(VALU_DEP_2)
	v_cndmask_b32_e32 v3, v3, v15, vcc_lo
	v_cndmask_b32_e32 v13, v14, v13, vcc_lo
	v_xor_b32_e32 v3, v3, v12
	s_delay_alu instid0(VALU_DEP_2) | instskip(NEXT) | instid1(VALU_DEP_2)
	v_xor_b32_e32 v13, v13, v12
	v_sub_co_u32 v16, vcc_lo, v3, v12
	s_delay_alu instid0(VALU_DEP_2)
	v_sub_co_ci_u32_e32 v17, vcc_lo, v13, v12, vcc_lo
.LBB87_24:                              ;   in Loop: Header=BB87_22 Depth=2
	s_and_not1_saveexec_b32 s0, s31
	s_cbranch_execz .LBB87_21
; %bb.25:                               ;   in Loop: Header=BB87_22 Depth=2
	v_cvt_f32_u32_e32 v3, s40
	s_sub_i32 s31, 0, s40
	v_mov_b32_e32 v17, v2
	s_delay_alu instid0(VALU_DEP_2) | instskip(SKIP_2) | instid1(VALU_DEP_1)
	v_rcp_iflag_f32_e32 v3, v3
	s_waitcnt_depctr 0xfff
	v_mul_f32_e32 v3, 0x4f7ffffe, v3
	v_cvt_u32_f32_e32 v3, v3
	s_delay_alu instid0(VALU_DEP_1) | instskip(NEXT) | instid1(VALU_DEP_1)
	v_mul_lo_u32 v12, s31, v3
	v_mul_hi_u32 v12, v3, v12
	s_delay_alu instid0(VALU_DEP_1) | instskip(NEXT) | instid1(VALU_DEP_1)
	v_add_nc_u32_e32 v3, v3, v12
	v_mul_hi_u32 v3, v6, v3
	s_delay_alu instid0(VALU_DEP_1) | instskip(SKIP_1) | instid1(VALU_DEP_2)
	v_mul_lo_u32 v12, v3, s40
	v_add_nc_u32_e32 v13, 1, v3
	v_sub_nc_u32_e32 v12, v6, v12
	s_delay_alu instid0(VALU_DEP_1) | instskip(SKIP_1) | instid1(VALU_DEP_2)
	v_subrev_nc_u32_e32 v14, s40, v12
	v_cmp_le_u32_e32 vcc_lo, s40, v12
	v_dual_cndmask_b32 v12, v12, v14 :: v_dual_cndmask_b32 v3, v3, v13
	s_delay_alu instid0(VALU_DEP_1) | instskip(NEXT) | instid1(VALU_DEP_2)
	v_cmp_le_u32_e32 vcc_lo, s40, v12
	v_add_nc_u32_e32 v13, 1, v3
	s_delay_alu instid0(VALU_DEP_1)
	v_cndmask_b32_e32 v16, v3, v13, vcc_lo
	s_branch .LBB87_21
.LBB87_26:
	s_nop 0
	s_sendmsg sendmsg(MSG_DEALLOC_VGPRS)
	s_endpgm
	.section	.rodata,"a",@progbits
	.p2align	6, 0x0
	.amdhsa_kernel _ZN2at6native16triu_tril_kernelIN3c107complexIfEElLb1ELi2ELb0EEEvNS_4cuda6detail10TensorInfoIT_T0_EENS7_IKS8_S9_EEllS9_
		.amdhsa_group_segment_fixed_size 0
		.amdhsa_private_segment_fixed_size 0
		.amdhsa_kernarg_size 1112
		.amdhsa_user_sgpr_count 15
		.amdhsa_user_sgpr_dispatch_ptr 0
		.amdhsa_user_sgpr_queue_ptr 0
		.amdhsa_user_sgpr_kernarg_segment_ptr 1
		.amdhsa_user_sgpr_dispatch_id 0
		.amdhsa_user_sgpr_private_segment_size 0
		.amdhsa_wavefront_size32 1
		.amdhsa_uses_dynamic_stack 0
		.amdhsa_enable_private_segment 0
		.amdhsa_system_sgpr_workgroup_id_x 1
		.amdhsa_system_sgpr_workgroup_id_y 0
		.amdhsa_system_sgpr_workgroup_id_z 0
		.amdhsa_system_sgpr_workgroup_info 0
		.amdhsa_system_vgpr_workitem_id 0
		.amdhsa_next_free_vgpr 26
		.amdhsa_next_free_sgpr 47
		.amdhsa_reserve_vcc 1
		.amdhsa_float_round_mode_32 0
		.amdhsa_float_round_mode_16_64 0
		.amdhsa_float_denorm_mode_32 3
		.amdhsa_float_denorm_mode_16_64 3
		.amdhsa_dx10_clamp 1
		.amdhsa_ieee_mode 1
		.amdhsa_fp16_overflow 0
		.amdhsa_workgroup_processor_mode 1
		.amdhsa_memory_ordered 1
		.amdhsa_forward_progress 0
		.amdhsa_shared_vgpr_count 0
		.amdhsa_exception_fp_ieee_invalid_op 0
		.amdhsa_exception_fp_denorm_src 0
		.amdhsa_exception_fp_ieee_div_zero 0
		.amdhsa_exception_fp_ieee_overflow 0
		.amdhsa_exception_fp_ieee_underflow 0
		.amdhsa_exception_fp_ieee_inexact 0
		.amdhsa_exception_int_div_zero 0
	.end_amdhsa_kernel
	.section	.text._ZN2at6native16triu_tril_kernelIN3c107complexIfEElLb1ELi2ELb0EEEvNS_4cuda6detail10TensorInfoIT_T0_EENS7_IKS8_S9_EEllS9_,"axG",@progbits,_ZN2at6native16triu_tril_kernelIN3c107complexIfEElLb1ELi2ELb0EEEvNS_4cuda6detail10TensorInfoIT_T0_EENS7_IKS8_S9_EEllS9_,comdat
.Lfunc_end87:
	.size	_ZN2at6native16triu_tril_kernelIN3c107complexIfEElLb1ELi2ELb0EEEvNS_4cuda6detail10TensorInfoIT_T0_EENS7_IKS8_S9_EEllS9_, .Lfunc_end87-_ZN2at6native16triu_tril_kernelIN3c107complexIfEElLb1ELi2ELb0EEEvNS_4cuda6detail10TensorInfoIT_T0_EENS7_IKS8_S9_EEllS9_
                                        ; -- End function
	.section	.AMDGPU.csdata,"",@progbits
; Kernel info:
; codeLenInByte = 4228
; NumSgprs: 49
; NumVgprs: 26
; ScratchSize: 0
; MemoryBound: 0
; FloatMode: 240
; IeeeMode: 1
; LDSByteSize: 0 bytes/workgroup (compile time only)
; SGPRBlocks: 6
; VGPRBlocks: 3
; NumSGPRsForWavesPerEU: 49
; NumVGPRsForWavesPerEU: 26
; Occupancy: 16
; WaveLimiterHint : 0
; COMPUTE_PGM_RSRC2:SCRATCH_EN: 0
; COMPUTE_PGM_RSRC2:USER_SGPR: 15
; COMPUTE_PGM_RSRC2:TRAP_HANDLER: 0
; COMPUTE_PGM_RSRC2:TGID_X_EN: 1
; COMPUTE_PGM_RSRC2:TGID_Y_EN: 0
; COMPUTE_PGM_RSRC2:TGID_Z_EN: 0
; COMPUTE_PGM_RSRC2:TIDIG_COMP_CNT: 0
	.section	.text._ZN2at6native16triu_tril_kernelIN3c107complexINS2_4HalfEEEiLb1ELi2ELb1EEEvNS_4cuda6detail10TensorInfoIT_T0_EENS8_IKS9_SA_EEllSA_,"axG",@progbits,_ZN2at6native16triu_tril_kernelIN3c107complexINS2_4HalfEEEiLb1ELi2ELb1EEEvNS_4cuda6detail10TensorInfoIT_T0_EENS8_IKS9_SA_EEllSA_,comdat
	.protected	_ZN2at6native16triu_tril_kernelIN3c107complexINS2_4HalfEEEiLb1ELi2ELb1EEEvNS_4cuda6detail10TensorInfoIT_T0_EENS8_IKS9_SA_EEllSA_ ; -- Begin function _ZN2at6native16triu_tril_kernelIN3c107complexINS2_4HalfEEEiLb1ELi2ELb1EEEvNS_4cuda6detail10TensorInfoIT_T0_EENS8_IKS9_SA_EEllSA_
	.globl	_ZN2at6native16triu_tril_kernelIN3c107complexINS2_4HalfEEEiLb1ELi2ELb1EEEvNS_4cuda6detail10TensorInfoIT_T0_EENS8_IKS9_SA_EEllSA_
	.p2align	8
	.type	_ZN2at6native16triu_tril_kernelIN3c107complexINS2_4HalfEEEiLb1ELi2ELb1EEEvNS_4cuda6detail10TensorInfoIT_T0_EENS8_IKS9_SA_EEllSA_,@function
_ZN2at6native16triu_tril_kernelIN3c107complexINS2_4HalfEEEiLb1ELi2ELb1EEEvNS_4cuda6detail10TensorInfoIT_T0_EENS8_IKS9_SA_EEllSA_: ; @_ZN2at6native16triu_tril_kernelIN3c107complexINS2_4HalfEEEiLb1ELi2ELb1EEEvNS_4cuda6detail10TensorInfoIT_T0_EENS8_IKS9_SA_EEllSA_
; %bb.0:
	s_clause 0x1
	s_load_b32 s2, s[0:1], 0x1d4
	s_load_b128 s[4:7], s[0:1], 0x1b0
	v_mov_b32_e32 v2, 0
	s_add_u32 s8, s0, 0x1c8
	s_addc_u32 s9, s1, 0
	s_delay_alu instid0(VALU_DEP_1) | instskip(SKIP_3) | instid1(VALU_DEP_1)
	v_mov_b32_e32 v1, v2
	s_waitcnt lgkmcnt(0)
	s_and_b32 s14, s2, 0xffff
	s_mov_b32 s2, exec_lo
	v_mad_u64_u32 v[3:4], null, s14, s15, v[0:1]
	s_delay_alu instid0(VALU_DEP_1) | instskip(NEXT) | instid1(VALU_DEP_1)
	v_lshlrev_b64 v[0:1], 1, v[3:4]
	v_cmpx_gt_i64_e64 s[6:7], v[0:1]
	s_cbranch_execz .LBB88_62
; %bb.1:
	s_clause 0x2
	s_load_b32 s24, s[0:1], 0x1c0
	s_load_b32 s16, s[0:1], 0x1a8
	s_load_b64 s[2:3], s[0:1], 0x0
	s_load_b32 s19, s[8:9], 0x0
	s_mov_b32 s38, 0
	s_waitcnt lgkmcnt(0)
	s_ashr_i32 s25, s24, 31
	s_ashr_i32 s17, s16, 31
	s_add_u32 s26, s0, 0xe0
	s_addc_u32 s27, s1, 0
	s_lshl_b64 s[10:11], s[16:17], 2
	v_cvt_f32_u32_e32 v3, s24
	s_add_u32 s15, s10, -8
	s_addc_u32 s18, s11, -1
	s_add_u32 s12, s26, s15
	s_addc_u32 s13, s27, s18
	v_rcp_iflag_f32_e32 v3, v3
	s_load_b32 s28, s[12:13], 0x0
	s_mul_i32 s19, s19, s14
	v_cmp_gt_i64_e64 s37, s[16:17], 2
	s_waitcnt_depctr 0xfff
	v_mul_f32_e32 v3, 0x4f7ffffe, v3
	s_delay_alu instid0(VALU_DEP_1)
	v_cvt_u32_f32_e32 v3, v3
	s_waitcnt lgkmcnt(0)
	s_ashr_i32 s29, s28, 31
	s_add_u32 s12, s10, -4
	s_addc_u32 s13, s11, -1
	s_add_u32 s30, s0, 0x6c
	s_addc_u32 s1, s1, 0
	s_add_u32 s8, s30, s12
	s_addc_u32 s9, s1, s13
	;; [unrolled: 2-line block ×3, first 2 shown]
	s_add_i32 s31, s16, -3
	s_add_u32 s12, s26, s12
	s_addc_u32 s13, s27, s13
	s_add_i32 s0, s16, 6
	s_lshl_b32 s34, s19, 1
	s_and_b32 s33, s0, 7
	s_mov_b32 s15, 0
	s_cmp_lg_u32 s33, 0
	s_cselect_b32 s35, -1, 0
	s_cmp_gt_u32 s31, 6
	s_cselect_b32 s36, -1, 0
	s_sub_i32 s0, 0, s24
	s_delay_alu instid0(SALU_CYCLE_1) | instskip(NEXT) | instid1(VALU_DEP_1)
	v_mul_lo_u32 v4, s0, v3
	v_mul_hi_u32 v4, v3, v4
	s_delay_alu instid0(VALU_DEP_1)
	v_add_nc_u32_e32 v24, v3, v4
	s_branch .LBB88_3
.LBB88_2:                               ;   in Loop: Header=BB88_3 Depth=1
	s_or_b32 exec_lo, exec_lo, s39
	v_add_co_u32 v0, vcc_lo, v0, s34
	v_add_co_ci_u32_e32 v1, vcc_lo, 0, v1, vcc_lo
	s_delay_alu instid0(VALU_DEP_1) | instskip(SKIP_1) | instid1(SALU_CYCLE_1)
	v_cmp_le_i64_e32 vcc_lo, s[6:7], v[0:1]
	s_or_b32 s38, vcc_lo, s38
	s_and_not1_b32 exec_lo, exec_lo, s38
	s_cbranch_execz .LBB88_62
.LBB88_3:                               ; =>This Loop Header: Depth=1
                                        ;     Child Loop BB88_15 Depth 2
                                        ;     Child Loop BB88_24 Depth 2
	v_or_b32_e32 v3, s25, v1
                                        ; implicit-def: $vgpr4_vgpr5
	s_mov_b32 s0, exec_lo
	s_delay_alu instid0(VALU_DEP_1)
	v_cmpx_ne_u64_e32 0, v[2:3]
	s_xor_b32 s14, exec_lo, s0
	s_cbranch_execz .LBB88_5
; %bb.4:                                ;   in Loop: Header=BB88_3 Depth=1
	s_add_u32 s18, s24, s25
	s_mov_b32 s16, s25
	s_mov_b32 s17, s25
	s_addc_u32 s19, s25, s25
	s_delay_alu instid0(SALU_CYCLE_1) | instskip(NEXT) | instid1(SALU_CYCLE_1)
	s_xor_b64 s[18:19], s[18:19], s[16:17]
	v_cvt_f32_u32_e32 v3, s18
	v_cvt_f32_u32_e32 v4, s19
	s_sub_u32 s0, 0, s18
	s_subb_u32 s20, 0, s19
	s_delay_alu instid0(VALU_DEP_1) | instskip(NEXT) | instid1(VALU_DEP_1)
	v_fmac_f32_e32 v3, 0x4f800000, v4
	v_rcp_f32_e32 v3, v3
	s_waitcnt_depctr 0xfff
	v_mul_f32_e32 v3, 0x5f7ffffc, v3
	s_delay_alu instid0(VALU_DEP_1) | instskip(NEXT) | instid1(VALU_DEP_1)
	v_mul_f32_e32 v4, 0x2f800000, v3
	v_trunc_f32_e32 v4, v4
	s_delay_alu instid0(VALU_DEP_1) | instskip(SKIP_1) | instid1(VALU_DEP_2)
	v_fmac_f32_e32 v3, 0xcf800000, v4
	v_cvt_u32_f32_e32 v4, v4
	v_cvt_u32_f32_e32 v3, v3
	s_delay_alu instid0(VALU_DEP_2) | instskip(NEXT) | instid1(VALU_DEP_2)
	v_mul_lo_u32 v5, s0, v4
	v_mul_hi_u32 v6, s0, v3
	v_mul_lo_u32 v7, s20, v3
	s_delay_alu instid0(VALU_DEP_2) | instskip(SKIP_1) | instid1(VALU_DEP_2)
	v_add_nc_u32_e32 v5, v6, v5
	v_mul_lo_u32 v6, s0, v3
	v_add_nc_u32_e32 v5, v5, v7
	s_delay_alu instid0(VALU_DEP_2) | instskip(NEXT) | instid1(VALU_DEP_2)
	v_mul_hi_u32 v7, v3, v6
	v_mul_lo_u32 v8, v3, v5
	v_mul_hi_u32 v9, v3, v5
	v_mul_hi_u32 v10, v4, v6
	v_mul_lo_u32 v6, v4, v6
	v_mul_hi_u32 v11, v4, v5
	v_mul_lo_u32 v5, v4, v5
	v_add_co_u32 v7, vcc_lo, v7, v8
	v_add_co_ci_u32_e32 v8, vcc_lo, 0, v9, vcc_lo
	s_delay_alu instid0(VALU_DEP_2) | instskip(NEXT) | instid1(VALU_DEP_2)
	v_add_co_u32 v6, vcc_lo, v7, v6
	v_add_co_ci_u32_e32 v6, vcc_lo, v8, v10, vcc_lo
	v_add_co_ci_u32_e32 v7, vcc_lo, 0, v11, vcc_lo
	v_ashrrev_i32_e32 v10, 31, v1
	s_delay_alu instid0(VALU_DEP_3) | instskip(NEXT) | instid1(VALU_DEP_3)
	v_add_co_u32 v5, vcc_lo, v6, v5
	v_add_co_ci_u32_e32 v6, vcc_lo, 0, v7, vcc_lo
	s_delay_alu instid0(VALU_DEP_2) | instskip(NEXT) | instid1(VALU_DEP_2)
	v_add_co_u32 v3, vcc_lo, v3, v5
	v_add_co_ci_u32_e32 v4, vcc_lo, v4, v6, vcc_lo
	s_delay_alu instid0(VALU_DEP_2) | instskip(SKIP_1) | instid1(VALU_DEP_3)
	v_mul_hi_u32 v5, s0, v3
	v_mul_lo_u32 v7, s20, v3
	v_mul_lo_u32 v6, s0, v4
	s_delay_alu instid0(VALU_DEP_1) | instskip(SKIP_1) | instid1(VALU_DEP_2)
	v_add_nc_u32_e32 v5, v5, v6
	v_mul_lo_u32 v6, s0, v3
	v_add_nc_u32_e32 v5, v5, v7
	s_delay_alu instid0(VALU_DEP_2) | instskip(NEXT) | instid1(VALU_DEP_2)
	v_mul_hi_u32 v7, v3, v6
	v_mul_lo_u32 v8, v3, v5
	v_mul_hi_u32 v9, v3, v5
	v_mul_hi_u32 v11, v4, v6
	v_mul_lo_u32 v6, v4, v6
	v_mul_hi_u32 v12, v4, v5
	v_mul_lo_u32 v5, v4, v5
	v_add_co_u32 v7, vcc_lo, v7, v8
	v_add_co_ci_u32_e32 v8, vcc_lo, 0, v9, vcc_lo
	s_delay_alu instid0(VALU_DEP_2) | instskip(NEXT) | instid1(VALU_DEP_2)
	v_add_co_u32 v6, vcc_lo, v7, v6
	v_add_co_ci_u32_e32 v6, vcc_lo, v8, v11, vcc_lo
	v_add_co_ci_u32_e32 v7, vcc_lo, 0, v12, vcc_lo
	v_add_co_u32 v8, vcc_lo, v0, v10
	v_add_co_ci_u32_e32 v9, vcc_lo, v1, v10, vcc_lo
	s_delay_alu instid0(VALU_DEP_4) | instskip(NEXT) | instid1(VALU_DEP_4)
	v_add_co_u32 v5, vcc_lo, v6, v5
	v_add_co_ci_u32_e32 v6, vcc_lo, 0, v7, vcc_lo
	s_delay_alu instid0(VALU_DEP_4) | instskip(NEXT) | instid1(VALU_DEP_3)
	v_xor_b32_e32 v11, v8, v10
	v_add_co_u32 v7, vcc_lo, v3, v5
	s_delay_alu instid0(VALU_DEP_3) | instskip(SKIP_1) | instid1(VALU_DEP_3)
	v_add_co_ci_u32_e32 v12, vcc_lo, v4, v6, vcc_lo
	v_xor_b32_e32 v9, v9, v10
	v_mul_hi_u32 v13, v11, v7
	s_delay_alu instid0(VALU_DEP_3) | instskip(NEXT) | instid1(VALU_DEP_3)
	v_mad_u64_u32 v[3:4], null, v11, v12, 0
	v_mad_u64_u32 v[5:6], null, v9, v7, 0
	v_mad_u64_u32 v[7:8], null, v9, v12, 0
	s_delay_alu instid0(VALU_DEP_3) | instskip(NEXT) | instid1(VALU_DEP_4)
	v_add_co_u32 v3, vcc_lo, v13, v3
	v_add_co_ci_u32_e32 v4, vcc_lo, 0, v4, vcc_lo
	s_delay_alu instid0(VALU_DEP_2) | instskip(NEXT) | instid1(VALU_DEP_2)
	v_add_co_u32 v3, vcc_lo, v3, v5
	v_add_co_ci_u32_e32 v3, vcc_lo, v4, v6, vcc_lo
	v_add_co_ci_u32_e32 v4, vcc_lo, 0, v8, vcc_lo
	s_delay_alu instid0(VALU_DEP_2) | instskip(NEXT) | instid1(VALU_DEP_2)
	v_add_co_u32 v5, vcc_lo, v3, v7
	v_add_co_ci_u32_e32 v6, vcc_lo, 0, v4, vcc_lo
	s_delay_alu instid0(VALU_DEP_2) | instskip(SKIP_1) | instid1(VALU_DEP_3)
	v_mul_lo_u32 v7, s19, v5
	v_mad_u64_u32 v[3:4], null, s18, v5, 0
	v_mul_lo_u32 v8, s18, v6
	s_delay_alu instid0(VALU_DEP_2) | instskip(NEXT) | instid1(VALU_DEP_2)
	v_sub_co_u32 v3, vcc_lo, v11, v3
	v_add3_u32 v4, v4, v8, v7
	s_delay_alu instid0(VALU_DEP_1) | instskip(NEXT) | instid1(VALU_DEP_1)
	v_sub_nc_u32_e32 v7, v9, v4
	v_subrev_co_ci_u32_e64 v7, s0, s19, v7, vcc_lo
	v_add_co_u32 v8, s0, v5, 2
	s_delay_alu instid0(VALU_DEP_1) | instskip(SKIP_3) | instid1(VALU_DEP_3)
	v_add_co_ci_u32_e64 v11, s0, 0, v6, s0
	v_sub_co_u32 v12, s0, v3, s18
	v_sub_co_ci_u32_e32 v4, vcc_lo, v9, v4, vcc_lo
	v_subrev_co_ci_u32_e64 v7, s0, 0, v7, s0
	v_cmp_le_u32_e32 vcc_lo, s18, v12
	s_delay_alu instid0(VALU_DEP_3) | instskip(SKIP_1) | instid1(VALU_DEP_4)
	v_cmp_eq_u32_e64 s0, s19, v4
	v_cndmask_b32_e64 v9, 0, -1, vcc_lo
	v_cmp_le_u32_e32 vcc_lo, s19, v7
	v_cndmask_b32_e64 v12, 0, -1, vcc_lo
	v_cmp_le_u32_e32 vcc_lo, s18, v3
	;; [unrolled: 2-line block ×3, first 2 shown]
	v_cndmask_b32_e64 v13, 0, -1, vcc_lo
	v_cmp_eq_u32_e32 vcc_lo, s19, v7
	s_delay_alu instid0(VALU_DEP_2) | instskip(SKIP_3) | instid1(VALU_DEP_3)
	v_cndmask_b32_e64 v3, v13, v3, s0
	v_cndmask_b32_e32 v7, v12, v9, vcc_lo
	v_add_co_u32 v9, vcc_lo, v5, 1
	v_add_co_ci_u32_e32 v12, vcc_lo, 0, v6, vcc_lo
	v_cmp_ne_u32_e32 vcc_lo, 0, v7
	s_delay_alu instid0(VALU_DEP_2) | instskip(SKIP_2) | instid1(VALU_DEP_3)
	v_dual_cndmask_b32 v4, v12, v11 :: v_dual_cndmask_b32 v7, v9, v8
	v_cmp_ne_u32_e32 vcc_lo, 0, v3
	v_xor_b32_e32 v3, s16, v10
	v_dual_cndmask_b32 v5, v5, v7 :: v_dual_cndmask_b32 v4, v6, v4
	v_xor_b32_e32 v6, s17, v10
	s_delay_alu instid0(VALU_DEP_2) | instskip(NEXT) | instid1(VALU_DEP_2)
	v_xor_b32_e32 v5, v5, v3
	v_xor_b32_e32 v7, v4, v6
	s_delay_alu instid0(VALU_DEP_2) | instskip(NEXT) | instid1(VALU_DEP_2)
	v_sub_co_u32 v4, vcc_lo, v5, v3
	v_sub_co_ci_u32_e32 v5, vcc_lo, v7, v6, vcc_lo
.LBB88_5:                               ;   in Loop: Header=BB88_3 Depth=1
	s_and_not1_saveexec_b32 s0, s14
; %bb.6:                                ;   in Loop: Header=BB88_3 Depth=1
	v_mul_hi_u32 v3, v0, v24
	s_delay_alu instid0(VALU_DEP_1) | instskip(NEXT) | instid1(VALU_DEP_1)
	v_mul_lo_u32 v4, v3, s24
	v_sub_nc_u32_e32 v4, v0, v4
	s_delay_alu instid0(VALU_DEP_1) | instskip(SKIP_1) | instid1(VALU_DEP_2)
	v_subrev_nc_u32_e32 v6, s24, v4
	v_cmp_le_u32_e32 vcc_lo, s24, v4
	v_dual_cndmask_b32 v4, v4, v6 :: v_dual_add_nc_u32 v5, 1, v3
	s_delay_alu instid0(VALU_DEP_1) | instskip(NEXT) | instid1(VALU_DEP_2)
	v_cndmask_b32_e32 v3, v3, v5, vcc_lo
	v_cmp_le_u32_e32 vcc_lo, s24, v4
	s_delay_alu instid0(VALU_DEP_2) | instskip(NEXT) | instid1(VALU_DEP_1)
	v_add_nc_u32_e32 v5, 1, v3
	v_dual_cndmask_b32 v4, v3, v5 :: v_dual_mov_b32 v5, v2
; %bb.7:                                ;   in Loop: Header=BB88_3 Depth=1
	s_or_b32 exec_lo, exec_lo, s0
	s_delay_alu instid0(VALU_DEP_1) | instskip(SKIP_1) | instid1(VALU_DEP_1)
	v_or_b32_e32 v3, s29, v5
                                        ; implicit-def: $vgpr6_vgpr7
	s_mov_b32 s0, exec_lo
	v_cmpx_ne_u64_e32 0, v[2:3]
	s_xor_b32 s14, exec_lo, s0
	s_cbranch_execz .LBB88_9
; %bb.8:                                ;   in Loop: Header=BB88_3 Depth=1
	s_add_u32 s18, s28, s29
	s_mov_b32 s16, s29
	s_mov_b32 s17, s29
	s_addc_u32 s19, s29, s29
	s_delay_alu instid0(SALU_CYCLE_1) | instskip(NEXT) | instid1(SALU_CYCLE_1)
	s_xor_b64 s[18:19], s[18:19], s[16:17]
	v_cvt_f32_u32_e32 v3, s18
	v_cvt_f32_u32_e32 v6, s19
	s_sub_u32 s0, 0, s18
	s_subb_u32 s20, 0, s19
	s_delay_alu instid0(VALU_DEP_1) | instskip(NEXT) | instid1(VALU_DEP_1)
	v_fmac_f32_e32 v3, 0x4f800000, v6
	v_rcp_f32_e32 v3, v3
	s_waitcnt_depctr 0xfff
	v_mul_f32_e32 v3, 0x5f7ffffc, v3
	s_delay_alu instid0(VALU_DEP_1) | instskip(NEXT) | instid1(VALU_DEP_1)
	v_mul_f32_e32 v6, 0x2f800000, v3
	v_trunc_f32_e32 v6, v6
	s_delay_alu instid0(VALU_DEP_1) | instskip(SKIP_1) | instid1(VALU_DEP_2)
	v_fmac_f32_e32 v3, 0xcf800000, v6
	v_cvt_u32_f32_e32 v6, v6
	v_cvt_u32_f32_e32 v3, v3
	s_delay_alu instid0(VALU_DEP_2) | instskip(NEXT) | instid1(VALU_DEP_2)
	v_mul_lo_u32 v7, s0, v6
	v_mul_hi_u32 v8, s0, v3
	v_mul_lo_u32 v9, s20, v3
	s_delay_alu instid0(VALU_DEP_2) | instskip(SKIP_1) | instid1(VALU_DEP_2)
	v_add_nc_u32_e32 v7, v8, v7
	v_mul_lo_u32 v8, s0, v3
	v_add_nc_u32_e32 v7, v7, v9
	s_delay_alu instid0(VALU_DEP_2) | instskip(NEXT) | instid1(VALU_DEP_2)
	v_mul_hi_u32 v9, v3, v8
	v_mul_lo_u32 v10, v3, v7
	v_mul_hi_u32 v11, v3, v7
	v_mul_hi_u32 v12, v6, v8
	v_mul_lo_u32 v8, v6, v8
	v_mul_hi_u32 v13, v6, v7
	v_mul_lo_u32 v7, v6, v7
	v_add_co_u32 v9, vcc_lo, v9, v10
	v_add_co_ci_u32_e32 v10, vcc_lo, 0, v11, vcc_lo
	s_delay_alu instid0(VALU_DEP_2) | instskip(NEXT) | instid1(VALU_DEP_2)
	v_add_co_u32 v8, vcc_lo, v9, v8
	v_add_co_ci_u32_e32 v8, vcc_lo, v10, v12, vcc_lo
	v_add_co_ci_u32_e32 v9, vcc_lo, 0, v13, vcc_lo
	v_ashrrev_i32_e32 v12, 31, v5
	s_delay_alu instid0(VALU_DEP_3) | instskip(NEXT) | instid1(VALU_DEP_3)
	v_add_co_u32 v7, vcc_lo, v8, v7
	v_add_co_ci_u32_e32 v8, vcc_lo, 0, v9, vcc_lo
	s_delay_alu instid0(VALU_DEP_2) | instskip(NEXT) | instid1(VALU_DEP_2)
	v_add_co_u32 v3, vcc_lo, v3, v7
	v_add_co_ci_u32_e32 v6, vcc_lo, v6, v8, vcc_lo
	s_delay_alu instid0(VALU_DEP_2) | instskip(SKIP_1) | instid1(VALU_DEP_3)
	v_mul_hi_u32 v7, s0, v3
	v_mul_lo_u32 v9, s20, v3
	v_mul_lo_u32 v8, s0, v6
	s_delay_alu instid0(VALU_DEP_1) | instskip(SKIP_1) | instid1(VALU_DEP_2)
	v_add_nc_u32_e32 v7, v7, v8
	v_mul_lo_u32 v8, s0, v3
	v_add_nc_u32_e32 v7, v7, v9
	s_delay_alu instid0(VALU_DEP_2) | instskip(NEXT) | instid1(VALU_DEP_2)
	v_mul_hi_u32 v9, v3, v8
	v_mul_lo_u32 v10, v3, v7
	v_mul_hi_u32 v11, v3, v7
	v_mul_hi_u32 v13, v6, v8
	v_mul_lo_u32 v8, v6, v8
	v_mul_hi_u32 v14, v6, v7
	v_mul_lo_u32 v7, v6, v7
	v_add_co_u32 v9, vcc_lo, v9, v10
	v_add_co_ci_u32_e32 v10, vcc_lo, 0, v11, vcc_lo
	s_delay_alu instid0(VALU_DEP_2) | instskip(NEXT) | instid1(VALU_DEP_2)
	v_add_co_u32 v8, vcc_lo, v9, v8
	v_add_co_ci_u32_e32 v8, vcc_lo, v10, v13, vcc_lo
	v_add_co_ci_u32_e32 v9, vcc_lo, 0, v14, vcc_lo
	v_add_co_u32 v10, vcc_lo, v4, v12
	v_add_co_ci_u32_e32 v5, vcc_lo, v5, v12, vcc_lo
	s_delay_alu instid0(VALU_DEP_4) | instskip(NEXT) | instid1(VALU_DEP_4)
	v_add_co_u32 v7, vcc_lo, v8, v7
	v_add_co_ci_u32_e32 v8, vcc_lo, 0, v9, vcc_lo
	s_delay_alu instid0(VALU_DEP_4) | instskip(NEXT) | instid1(VALU_DEP_3)
	v_xor_b32_e32 v11, v10, v12
	v_add_co_u32 v3, vcc_lo, v3, v7
	s_delay_alu instid0(VALU_DEP_3) | instskip(SKIP_1) | instid1(VALU_DEP_3)
	v_add_co_ci_u32_e32 v13, vcc_lo, v6, v8, vcc_lo
	v_xor_b32_e32 v14, v5, v12
	v_mul_hi_u32 v15, v11, v3
	s_delay_alu instid0(VALU_DEP_3) | instskip(NEXT) | instid1(VALU_DEP_3)
	v_mad_u64_u32 v[5:6], null, v11, v13, 0
	v_mad_u64_u32 v[7:8], null, v14, v3, 0
	;; [unrolled: 1-line block ×3, first 2 shown]
	s_delay_alu instid0(VALU_DEP_3) | instskip(NEXT) | instid1(VALU_DEP_4)
	v_add_co_u32 v3, vcc_lo, v15, v5
	v_add_co_ci_u32_e32 v5, vcc_lo, 0, v6, vcc_lo
	s_delay_alu instid0(VALU_DEP_2) | instskip(NEXT) | instid1(VALU_DEP_2)
	v_add_co_u32 v3, vcc_lo, v3, v7
	v_add_co_ci_u32_e32 v3, vcc_lo, v5, v8, vcc_lo
	v_add_co_ci_u32_e32 v5, vcc_lo, 0, v10, vcc_lo
	s_delay_alu instid0(VALU_DEP_2) | instskip(NEXT) | instid1(VALU_DEP_2)
	v_add_co_u32 v3, vcc_lo, v3, v9
	v_add_co_ci_u32_e32 v7, vcc_lo, 0, v5, vcc_lo
	s_delay_alu instid0(VALU_DEP_2) | instskip(SKIP_1) | instid1(VALU_DEP_3)
	v_mul_lo_u32 v8, s19, v3
	v_mad_u64_u32 v[5:6], null, s18, v3, 0
	v_mul_lo_u32 v9, s18, v7
	s_delay_alu instid0(VALU_DEP_2) | instskip(NEXT) | instid1(VALU_DEP_2)
	v_sub_co_u32 v5, vcc_lo, v11, v5
	v_add3_u32 v6, v6, v9, v8
	s_delay_alu instid0(VALU_DEP_1) | instskip(NEXT) | instid1(VALU_DEP_1)
	v_sub_nc_u32_e32 v8, v14, v6
	v_subrev_co_ci_u32_e64 v8, s0, s19, v8, vcc_lo
	v_add_co_u32 v9, s0, v3, 2
	s_delay_alu instid0(VALU_DEP_1) | instskip(SKIP_3) | instid1(VALU_DEP_3)
	v_add_co_ci_u32_e64 v10, s0, 0, v7, s0
	v_sub_co_u32 v11, s0, v5, s18
	v_sub_co_ci_u32_e32 v6, vcc_lo, v14, v6, vcc_lo
	v_subrev_co_ci_u32_e64 v8, s0, 0, v8, s0
	v_cmp_le_u32_e32 vcc_lo, s18, v11
	s_delay_alu instid0(VALU_DEP_3) | instskip(SKIP_1) | instid1(VALU_DEP_4)
	v_cmp_eq_u32_e64 s0, s19, v6
	v_cndmask_b32_e64 v11, 0, -1, vcc_lo
	v_cmp_le_u32_e32 vcc_lo, s19, v8
	v_cndmask_b32_e64 v13, 0, -1, vcc_lo
	v_cmp_le_u32_e32 vcc_lo, s18, v5
	v_cndmask_b32_e64 v5, 0, -1, vcc_lo
	v_cmp_le_u32_e32 vcc_lo, s19, v6
	v_cndmask_b32_e64 v14, 0, -1, vcc_lo
	v_cmp_eq_u32_e32 vcc_lo, s19, v8
	s_delay_alu instid0(VALU_DEP_2) | instskip(SKIP_3) | instid1(VALU_DEP_3)
	v_cndmask_b32_e64 v5, v14, v5, s0
	v_cndmask_b32_e32 v8, v13, v11, vcc_lo
	v_add_co_u32 v11, vcc_lo, v3, 1
	v_add_co_ci_u32_e32 v13, vcc_lo, 0, v7, vcc_lo
	v_cmp_ne_u32_e32 vcc_lo, 0, v8
	s_delay_alu instid0(VALU_DEP_3) | instskip(NEXT) | instid1(VALU_DEP_3)
	v_cndmask_b32_e32 v8, v11, v9, vcc_lo
	v_cndmask_b32_e32 v6, v13, v10, vcc_lo
	v_cmp_ne_u32_e32 vcc_lo, 0, v5
	v_xor_b32_e32 v5, s16, v12
	s_delay_alu instid0(VALU_DEP_4) | instskip(NEXT) | instid1(VALU_DEP_4)
	v_cndmask_b32_e32 v3, v3, v8, vcc_lo
	v_cndmask_b32_e32 v6, v7, v6, vcc_lo
	v_xor_b32_e32 v7, s17, v12
	s_delay_alu instid0(VALU_DEP_3) | instskip(NEXT) | instid1(VALU_DEP_2)
	v_xor_b32_e32 v3, v3, v5
	v_xor_b32_e32 v8, v6, v7
	s_delay_alu instid0(VALU_DEP_2) | instskip(NEXT) | instid1(VALU_DEP_2)
	v_sub_co_u32 v6, vcc_lo, v3, v5
	v_sub_co_ci_u32_e32 v7, vcc_lo, v8, v7, vcc_lo
.LBB88_9:                               ;   in Loop: Header=BB88_3 Depth=1
	s_and_not1_saveexec_b32 s0, s14
	s_cbranch_execz .LBB88_11
; %bb.10:                               ;   in Loop: Header=BB88_3 Depth=1
	v_cvt_f32_u32_e32 v3, s28
	s_sub_i32 s14, 0, s28
	s_delay_alu instid0(VALU_DEP_1) | instskip(SKIP_2) | instid1(VALU_DEP_1)
	v_rcp_iflag_f32_e32 v3, v3
	s_waitcnt_depctr 0xfff
	v_mul_f32_e32 v3, 0x4f7ffffe, v3
	v_cvt_u32_f32_e32 v3, v3
	s_delay_alu instid0(VALU_DEP_1) | instskip(NEXT) | instid1(VALU_DEP_1)
	v_mul_lo_u32 v5, s14, v3
	v_mul_hi_u32 v5, v3, v5
	s_delay_alu instid0(VALU_DEP_1) | instskip(NEXT) | instid1(VALU_DEP_1)
	v_add_nc_u32_e32 v3, v3, v5
	v_mul_hi_u32 v3, v4, v3
	s_delay_alu instid0(VALU_DEP_1) | instskip(SKIP_1) | instid1(VALU_DEP_2)
	v_mul_lo_u32 v5, v3, s28
	v_add_nc_u32_e32 v6, 1, v3
	v_sub_nc_u32_e32 v5, v4, v5
	s_delay_alu instid0(VALU_DEP_1) | instskip(SKIP_1) | instid1(VALU_DEP_2)
	v_subrev_nc_u32_e32 v7, s28, v5
	v_cmp_le_u32_e32 vcc_lo, s28, v5
	v_cndmask_b32_e32 v5, v5, v7, vcc_lo
	v_mov_b32_e32 v7, v2
	v_cndmask_b32_e32 v3, v3, v6, vcc_lo
	s_delay_alu instid0(VALU_DEP_3) | instskip(NEXT) | instid1(VALU_DEP_2)
	v_cmp_le_u32_e32 vcc_lo, s28, v5
	v_add_nc_u32_e32 v6, 1, v3
	s_delay_alu instid0(VALU_DEP_1)
	v_cndmask_b32_e32 v6, v3, v6, vcc_lo
.LBB88_11:                              ;   in Loop: Header=BB88_3 Depth=1
	s_or_b32 exec_lo, exec_lo, s0
	v_mad_u64_u32 v[8:9], null, v4, s24, 0
	s_delay_alu instid0(VALU_DEP_2) | instskip(SKIP_1) | instid1(VALU_DEP_2)
	v_mad_u64_u32 v[9:10], null, v6, s28, 0
	s_mov_b32 s39, exec_lo
	v_sub_co_u32 v26, null, v0, v8
	s_delay_alu instid0(VALU_DEP_2) | instskip(NEXT) | instid1(VALU_DEP_1)
	v_sub_co_u32 v25, null, v4, v9
	v_sub_nc_u32_e32 v3, v26, v25
	s_delay_alu instid0(VALU_DEP_1) | instskip(NEXT) | instid1(VALU_DEP_1)
	v_ashrrev_i32_e32 v4, 31, v3
	v_cmpx_gt_i64_e64 s[4:5], v[3:4]
	s_cbranch_execz .LBB88_2
; %bb.12:                               ;   in Loop: Header=BB88_3 Depth=1
	s_clause 0x1
	s_load_b32 s40, s[8:9], 0x0
	s_load_b32 s0, s[10:11], 0x0
	s_and_not1_b32 vcc_lo, exec_lo, s37
	s_waitcnt lgkmcnt(0)
	v_mul_lo_u32 v3, s40, v26
	s_delay_alu instid0(VALU_DEP_1)
	v_mad_u64_u32 v[4:5], null, s0, v25, v[3:4]
	s_cbranch_vccnz .LBB88_58
; %bb.13:                               ;   in Loop: Header=BB88_3 Depth=1
	s_and_not1_b32 vcc_lo, exec_lo, s35
	s_cbranch_vccnz .LBB88_21
; %bb.14:                               ;   in Loop: Header=BB88_3 Depth=1
	v_dual_mov_b32 v9, v7 :: v_dual_mov_b32 v8, v6
	s_mov_b32 s22, s33
	s_mov_b32 s14, s31
.LBB88_15:                              ;   Parent Loop BB88_3 Depth=1
                                        ; =>  This Inner Loop Header: Depth=2
	s_delay_alu instid0(SALU_CYCLE_1) | instskip(NEXT) | instid1(SALU_CYCLE_1)
	s_lshl_b64 s[16:17], s[14:15], 2
                                        ; implicit-def: $vgpr6_vgpr7
	s_add_u32 s18, s26, s16
	s_addc_u32 s19, s27, s17
	s_load_b32 s23, s[18:19], 0x0
	s_mov_b32 s18, exec_lo
	s_waitcnt lgkmcnt(0)
	s_ashr_i32 s0, s23, 31
	s_delay_alu instid0(SALU_CYCLE_1) | instskip(NEXT) | instid1(VALU_DEP_1)
	v_or_b32_e32 v3, s0, v9
	v_cmpx_ne_u64_e32 0, v[2:3]
	s_xor_b32 s41, exec_lo, s18
	s_cbranch_execz .LBB88_17
; %bb.16:                               ;   in Loop: Header=BB88_15 Depth=2
	s_add_u32 s20, s23, s0
	s_mov_b32 s18, s0
	s_mov_b32 s19, s0
	s_addc_u32 s21, s0, s0
	s_delay_alu instid0(SALU_CYCLE_1) | instskip(NEXT) | instid1(SALU_CYCLE_1)
	s_xor_b64 s[20:21], s[20:21], s[18:19]
	v_cvt_f32_u32_e32 v3, s20
	v_cvt_f32_u32_e32 v5, s21
	s_sub_u32 s0, 0, s20
	s_subb_u32 s42, 0, s21
	s_delay_alu instid0(VALU_DEP_1) | instskip(NEXT) | instid1(VALU_DEP_1)
	v_fmac_f32_e32 v3, 0x4f800000, v5
	v_rcp_f32_e32 v3, v3
	s_waitcnt_depctr 0xfff
	v_mul_f32_e32 v3, 0x5f7ffffc, v3
	s_delay_alu instid0(VALU_DEP_1) | instskip(NEXT) | instid1(VALU_DEP_1)
	v_mul_f32_e32 v5, 0x2f800000, v3
	v_trunc_f32_e32 v5, v5
	s_delay_alu instid0(VALU_DEP_1) | instskip(SKIP_1) | instid1(VALU_DEP_2)
	v_fmac_f32_e32 v3, 0xcf800000, v5
	v_cvt_u32_f32_e32 v5, v5
	v_cvt_u32_f32_e32 v3, v3
	s_delay_alu instid0(VALU_DEP_2) | instskip(NEXT) | instid1(VALU_DEP_2)
	v_mul_lo_u32 v6, s0, v5
	v_mul_hi_u32 v7, s0, v3
	v_mul_lo_u32 v10, s42, v3
	s_delay_alu instid0(VALU_DEP_2) | instskip(SKIP_1) | instid1(VALU_DEP_2)
	v_add_nc_u32_e32 v6, v7, v6
	v_mul_lo_u32 v7, s0, v3
	v_add_nc_u32_e32 v6, v6, v10
	s_delay_alu instid0(VALU_DEP_2) | instskip(NEXT) | instid1(VALU_DEP_2)
	v_mul_hi_u32 v10, v3, v7
	v_mul_lo_u32 v11, v3, v6
	v_mul_hi_u32 v12, v3, v6
	v_mul_hi_u32 v13, v5, v7
	v_mul_lo_u32 v7, v5, v7
	v_mul_hi_u32 v14, v5, v6
	v_mul_lo_u32 v6, v5, v6
	v_add_co_u32 v10, vcc_lo, v10, v11
	v_add_co_ci_u32_e32 v11, vcc_lo, 0, v12, vcc_lo
	s_delay_alu instid0(VALU_DEP_2) | instskip(NEXT) | instid1(VALU_DEP_2)
	v_add_co_u32 v7, vcc_lo, v10, v7
	v_add_co_ci_u32_e32 v7, vcc_lo, v11, v13, vcc_lo
	v_add_co_ci_u32_e32 v10, vcc_lo, 0, v14, vcc_lo
	v_ashrrev_i32_e32 v13, 31, v9
	s_delay_alu instid0(VALU_DEP_3) | instskip(NEXT) | instid1(VALU_DEP_3)
	v_add_co_u32 v6, vcc_lo, v7, v6
	v_add_co_ci_u32_e32 v7, vcc_lo, 0, v10, vcc_lo
	s_delay_alu instid0(VALU_DEP_2) | instskip(NEXT) | instid1(VALU_DEP_2)
	v_add_co_u32 v3, vcc_lo, v3, v6
	v_add_co_ci_u32_e32 v5, vcc_lo, v5, v7, vcc_lo
	s_delay_alu instid0(VALU_DEP_2) | instskip(SKIP_1) | instid1(VALU_DEP_3)
	v_mul_hi_u32 v6, s0, v3
	v_mul_lo_u32 v10, s42, v3
	v_mul_lo_u32 v7, s0, v5
	s_delay_alu instid0(VALU_DEP_1) | instskip(SKIP_1) | instid1(VALU_DEP_2)
	v_add_nc_u32_e32 v6, v6, v7
	v_mul_lo_u32 v7, s0, v3
	v_add_nc_u32_e32 v6, v6, v10
	s_delay_alu instid0(VALU_DEP_2) | instskip(NEXT) | instid1(VALU_DEP_2)
	v_mul_hi_u32 v10, v3, v7
	v_mul_lo_u32 v11, v3, v6
	v_mul_hi_u32 v12, v3, v6
	v_mul_hi_u32 v14, v5, v7
	v_mul_lo_u32 v7, v5, v7
	v_mul_hi_u32 v15, v5, v6
	v_mul_lo_u32 v6, v5, v6
	v_add_co_u32 v10, vcc_lo, v10, v11
	v_add_co_ci_u32_e32 v11, vcc_lo, 0, v12, vcc_lo
	s_delay_alu instid0(VALU_DEP_2) | instskip(NEXT) | instid1(VALU_DEP_2)
	v_add_co_u32 v7, vcc_lo, v10, v7
	v_add_co_ci_u32_e32 v7, vcc_lo, v11, v14, vcc_lo
	v_add_co_ci_u32_e32 v10, vcc_lo, 0, v15, vcc_lo
	v_add_co_u32 v11, vcc_lo, v8, v13
	v_add_co_ci_u32_e32 v9, vcc_lo, v9, v13, vcc_lo
	s_delay_alu instid0(VALU_DEP_4) | instskip(NEXT) | instid1(VALU_DEP_4)
	v_add_co_u32 v6, vcc_lo, v7, v6
	v_add_co_ci_u32_e32 v7, vcc_lo, 0, v10, vcc_lo
	s_delay_alu instid0(VALU_DEP_4) | instskip(NEXT) | instid1(VALU_DEP_3)
	v_xor_b32_e32 v14, v11, v13
	v_add_co_u32 v3, vcc_lo, v3, v6
	s_delay_alu instid0(VALU_DEP_3) | instskip(SKIP_1) | instid1(VALU_DEP_3)
	v_add_co_ci_u32_e32 v7, vcc_lo, v5, v7, vcc_lo
	v_xor_b32_e32 v15, v9, v13
	v_mul_hi_u32 v16, v14, v3
	s_delay_alu instid0(VALU_DEP_3) | instskip(NEXT) | instid1(VALU_DEP_3)
	v_mad_u64_u32 v[5:6], null, v14, v7, 0
	v_mad_u64_u32 v[9:10], null, v15, v3, 0
	;; [unrolled: 1-line block ×3, first 2 shown]
	s_delay_alu instid0(VALU_DEP_3) | instskip(NEXT) | instid1(VALU_DEP_4)
	v_add_co_u32 v3, vcc_lo, v16, v5
	v_add_co_ci_u32_e32 v5, vcc_lo, 0, v6, vcc_lo
	s_delay_alu instid0(VALU_DEP_2) | instskip(NEXT) | instid1(VALU_DEP_2)
	v_add_co_u32 v3, vcc_lo, v3, v9
	v_add_co_ci_u32_e32 v3, vcc_lo, v5, v10, vcc_lo
	v_add_co_ci_u32_e32 v5, vcc_lo, 0, v12, vcc_lo
	s_delay_alu instid0(VALU_DEP_2) | instskip(NEXT) | instid1(VALU_DEP_2)
	v_add_co_u32 v3, vcc_lo, v3, v11
	v_add_co_ci_u32_e32 v7, vcc_lo, 0, v5, vcc_lo
	s_delay_alu instid0(VALU_DEP_2) | instskip(SKIP_1) | instid1(VALU_DEP_3)
	v_mul_lo_u32 v9, s21, v3
	v_mad_u64_u32 v[5:6], null, s20, v3, 0
	v_mul_lo_u32 v10, s20, v7
	s_delay_alu instid0(VALU_DEP_2) | instskip(NEXT) | instid1(VALU_DEP_2)
	v_sub_co_u32 v5, vcc_lo, v14, v5
	v_add3_u32 v6, v6, v10, v9
	s_delay_alu instid0(VALU_DEP_1) | instskip(NEXT) | instid1(VALU_DEP_1)
	v_sub_nc_u32_e32 v9, v15, v6
	v_subrev_co_ci_u32_e64 v9, s0, s21, v9, vcc_lo
	v_add_co_u32 v10, s0, v3, 2
	s_delay_alu instid0(VALU_DEP_1) | instskip(SKIP_3) | instid1(VALU_DEP_3)
	v_add_co_ci_u32_e64 v11, s0, 0, v7, s0
	v_sub_co_u32 v12, s0, v5, s20
	v_sub_co_ci_u32_e32 v6, vcc_lo, v15, v6, vcc_lo
	v_subrev_co_ci_u32_e64 v9, s0, 0, v9, s0
	v_cmp_le_u32_e32 vcc_lo, s20, v12
	s_delay_alu instid0(VALU_DEP_3) | instskip(SKIP_1) | instid1(VALU_DEP_4)
	v_cmp_eq_u32_e64 s0, s21, v6
	v_cndmask_b32_e64 v12, 0, -1, vcc_lo
	v_cmp_le_u32_e32 vcc_lo, s21, v9
	v_cndmask_b32_e64 v14, 0, -1, vcc_lo
	v_cmp_le_u32_e32 vcc_lo, s20, v5
	;; [unrolled: 2-line block ×3, first 2 shown]
	v_cndmask_b32_e64 v15, 0, -1, vcc_lo
	v_cmp_eq_u32_e32 vcc_lo, s21, v9
	s_delay_alu instid0(VALU_DEP_2) | instskip(SKIP_3) | instid1(VALU_DEP_3)
	v_cndmask_b32_e64 v5, v15, v5, s0
	v_cndmask_b32_e32 v9, v14, v12, vcc_lo
	v_add_co_u32 v12, vcc_lo, v3, 1
	v_add_co_ci_u32_e32 v14, vcc_lo, 0, v7, vcc_lo
	v_cmp_ne_u32_e32 vcc_lo, 0, v9
	s_delay_alu instid0(VALU_DEP_2) | instskip(SKIP_2) | instid1(VALU_DEP_3)
	v_dual_cndmask_b32 v6, v14, v11 :: v_dual_cndmask_b32 v9, v12, v10
	v_cmp_ne_u32_e32 vcc_lo, 0, v5
	v_xor_b32_e32 v5, s18, v13
	v_cndmask_b32_e32 v3, v3, v9, vcc_lo
	s_delay_alu instid0(VALU_DEP_4) | instskip(SKIP_1) | instid1(VALU_DEP_3)
	v_cndmask_b32_e32 v6, v7, v6, vcc_lo
	v_xor_b32_e32 v7, s19, v13
	v_xor_b32_e32 v3, v3, v5
	s_delay_alu instid0(VALU_DEP_2) | instskip(NEXT) | instid1(VALU_DEP_2)
	v_xor_b32_e32 v9, v6, v7
	v_sub_co_u32 v6, vcc_lo, v3, v5
	s_delay_alu instid0(VALU_DEP_2)
	v_sub_co_ci_u32_e32 v7, vcc_lo, v9, v7, vcc_lo
.LBB88_17:                              ;   in Loop: Header=BB88_15 Depth=2
	s_and_not1_saveexec_b32 s0, s41
	s_cbranch_execz .LBB88_19
; %bb.18:                               ;   in Loop: Header=BB88_15 Depth=2
	v_cvt_f32_u32_e32 v3, s23
	s_sub_i32 s18, 0, s23
	s_delay_alu instid0(VALU_DEP_1) | instskip(SKIP_2) | instid1(VALU_DEP_1)
	v_rcp_iflag_f32_e32 v3, v3
	s_waitcnt_depctr 0xfff
	v_mul_f32_e32 v3, 0x4f7ffffe, v3
	v_cvt_u32_f32_e32 v3, v3
	s_delay_alu instid0(VALU_DEP_1) | instskip(NEXT) | instid1(VALU_DEP_1)
	v_mul_lo_u32 v5, s18, v3
	v_mul_hi_u32 v5, v3, v5
	s_delay_alu instid0(VALU_DEP_1) | instskip(NEXT) | instid1(VALU_DEP_1)
	v_add_nc_u32_e32 v3, v3, v5
	v_mul_hi_u32 v3, v8, v3
	s_delay_alu instid0(VALU_DEP_1) | instskip(SKIP_1) | instid1(VALU_DEP_2)
	v_mul_lo_u32 v5, v3, s23
	v_add_nc_u32_e32 v6, 1, v3
	v_sub_nc_u32_e32 v5, v8, v5
	s_delay_alu instid0(VALU_DEP_1) | instskip(SKIP_1) | instid1(VALU_DEP_2)
	v_subrev_nc_u32_e32 v7, s23, v5
	v_cmp_le_u32_e32 vcc_lo, s23, v5
	v_cndmask_b32_e32 v5, v5, v7, vcc_lo
	v_mov_b32_e32 v7, v2
	v_cndmask_b32_e32 v3, v3, v6, vcc_lo
	s_delay_alu instid0(VALU_DEP_3) | instskip(NEXT) | instid1(VALU_DEP_2)
	v_cmp_le_u32_e32 vcc_lo, s23, v5
	v_add_nc_u32_e32 v6, 1, v3
	s_delay_alu instid0(VALU_DEP_1)
	v_cndmask_b32_e32 v6, v3, v6, vcc_lo
.LBB88_19:                              ;   in Loop: Header=BB88_15 Depth=2
	s_or_b32 exec_lo, exec_lo, s0
	s_add_u32 s16, s30, s16
	s_addc_u32 s17, s1, s17
	s_delay_alu instid0(VALU_DEP_1) | instskip(SKIP_4) | instid1(VALU_DEP_1)
	v_mul_lo_u32 v3, v6, s23
	s_load_b32 s0, s[16:17], 0x0
	s_add_i32 s22, s22, -1
	s_add_i32 s14, s14, -1
	s_cmp_lg_u32 s22, 0
	v_sub_nc_u32_e32 v3, v8, v3
	s_waitcnt lgkmcnt(0)
	s_delay_alu instid0(VALU_DEP_1) | instskip(NEXT) | instid1(VALU_DEP_1)
	v_mad_u64_u32 v[8:9], null, s0, v3, v[4:5]
	v_mov_b32_e32 v4, v8
	s_cbranch_scc0 .LBB88_22
; %bb.20:                               ;   in Loop: Header=BB88_15 Depth=2
	v_dual_mov_b32 v9, v7 :: v_dual_mov_b32 v8, v6
	s_branch .LBB88_15
.LBB88_21:                              ;   in Loop: Header=BB88_3 Depth=1
	s_mov_b32 s14, s31
.LBB88_22:                              ;   in Loop: Header=BB88_3 Depth=1
	s_and_not1_b32 vcc_lo, exec_lo, s36
	s_cbranch_vccnz .LBB88_58
; %bb.23:                               ;   in Loop: Header=BB88_3 Depth=1
	s_add_i32 s16, s14, -7
.LBB88_24:                              ;   Parent Loop BB88_3 Depth=1
                                        ; =>  This Inner Loop Header: Depth=2
	s_delay_alu instid0(SALU_CYCLE_1) | instskip(NEXT) | instid1(SALU_CYCLE_1)
	s_add_i32 s14, s16, 7
                                        ; implicit-def: $vgpr8_vgpr9
	s_lshl_b64 s[18:19], s[14:15], 2
	s_mov_b32 s14, exec_lo
	s_add_u32 s20, s26, s18
	s_addc_u32 s21, s27, s19
	s_load_b32 s41, s[20:21], 0x0
	s_waitcnt lgkmcnt(0)
	s_ashr_i32 s0, s41, 31
	s_delay_alu instid0(SALU_CYCLE_1) | instskip(NEXT) | instid1(VALU_DEP_1)
	v_or_b32_e32 v3, s0, v7
	v_cmpx_ne_u64_e32 0, v[2:3]
	s_xor_b32 s14, exec_lo, s14
	s_cbranch_execz .LBB88_26
; %bb.25:                               ;   in Loop: Header=BB88_24 Depth=2
	s_add_u32 s22, s41, s0
	s_mov_b32 s20, s0
	s_mov_b32 s21, s0
	s_addc_u32 s23, s0, s0
	s_delay_alu instid0(SALU_CYCLE_1) | instskip(NEXT) | instid1(SALU_CYCLE_1)
	s_xor_b64 s[22:23], s[22:23], s[20:21]
	v_cvt_f32_u32_e32 v3, s22
	v_cvt_f32_u32_e32 v5, s23
	s_sub_u32 s0, 0, s22
	s_subb_u32 s17, 0, s23
	s_delay_alu instid0(VALU_DEP_1) | instskip(NEXT) | instid1(VALU_DEP_1)
	v_fmac_f32_e32 v3, 0x4f800000, v5
	v_rcp_f32_e32 v3, v3
	s_waitcnt_depctr 0xfff
	v_mul_f32_e32 v3, 0x5f7ffffc, v3
	s_delay_alu instid0(VALU_DEP_1) | instskip(NEXT) | instid1(VALU_DEP_1)
	v_mul_f32_e32 v5, 0x2f800000, v3
	v_trunc_f32_e32 v5, v5
	s_delay_alu instid0(VALU_DEP_1) | instskip(SKIP_1) | instid1(VALU_DEP_2)
	v_fmac_f32_e32 v3, 0xcf800000, v5
	v_cvt_u32_f32_e32 v5, v5
	v_cvt_u32_f32_e32 v3, v3
	s_delay_alu instid0(VALU_DEP_2) | instskip(NEXT) | instid1(VALU_DEP_2)
	v_mul_lo_u32 v8, s0, v5
	v_mul_hi_u32 v9, s0, v3
	v_mul_lo_u32 v10, s17, v3
	s_delay_alu instid0(VALU_DEP_2) | instskip(SKIP_1) | instid1(VALU_DEP_2)
	v_add_nc_u32_e32 v8, v9, v8
	v_mul_lo_u32 v9, s0, v3
	v_add_nc_u32_e32 v8, v8, v10
	s_delay_alu instid0(VALU_DEP_2) | instskip(NEXT) | instid1(VALU_DEP_2)
	v_mul_hi_u32 v10, v3, v9
	v_mul_lo_u32 v11, v3, v8
	v_mul_hi_u32 v12, v3, v8
	v_mul_hi_u32 v13, v5, v9
	v_mul_lo_u32 v9, v5, v9
	v_mul_hi_u32 v14, v5, v8
	v_mul_lo_u32 v8, v5, v8
	v_add_co_u32 v10, vcc_lo, v10, v11
	v_add_co_ci_u32_e32 v11, vcc_lo, 0, v12, vcc_lo
	s_delay_alu instid0(VALU_DEP_2) | instskip(NEXT) | instid1(VALU_DEP_2)
	v_add_co_u32 v9, vcc_lo, v10, v9
	v_add_co_ci_u32_e32 v9, vcc_lo, v11, v13, vcc_lo
	v_add_co_ci_u32_e32 v10, vcc_lo, 0, v14, vcc_lo
	v_ashrrev_i32_e32 v13, 31, v7
	s_delay_alu instid0(VALU_DEP_3) | instskip(NEXT) | instid1(VALU_DEP_3)
	v_add_co_u32 v8, vcc_lo, v9, v8
	v_add_co_ci_u32_e32 v9, vcc_lo, 0, v10, vcc_lo
	s_delay_alu instid0(VALU_DEP_2) | instskip(NEXT) | instid1(VALU_DEP_2)
	v_add_co_u32 v3, vcc_lo, v3, v8
	v_add_co_ci_u32_e32 v5, vcc_lo, v5, v9, vcc_lo
	s_delay_alu instid0(VALU_DEP_2) | instskip(SKIP_1) | instid1(VALU_DEP_3)
	v_mul_hi_u32 v8, s0, v3
	v_mul_lo_u32 v10, s17, v3
	v_mul_lo_u32 v9, s0, v5
	s_delay_alu instid0(VALU_DEP_1) | instskip(SKIP_1) | instid1(VALU_DEP_2)
	v_add_nc_u32_e32 v8, v8, v9
	v_mul_lo_u32 v9, s0, v3
	v_add_nc_u32_e32 v8, v8, v10
	s_delay_alu instid0(VALU_DEP_2) | instskip(NEXT) | instid1(VALU_DEP_2)
	v_mul_hi_u32 v10, v3, v9
	v_mul_lo_u32 v11, v3, v8
	v_mul_hi_u32 v12, v3, v8
	v_mul_hi_u32 v14, v5, v9
	v_mul_lo_u32 v9, v5, v9
	v_mul_hi_u32 v15, v5, v8
	v_mul_lo_u32 v8, v5, v8
	v_add_co_u32 v10, vcc_lo, v10, v11
	v_add_co_ci_u32_e32 v11, vcc_lo, 0, v12, vcc_lo
	s_delay_alu instid0(VALU_DEP_2) | instskip(NEXT) | instid1(VALU_DEP_2)
	v_add_co_u32 v9, vcc_lo, v10, v9
	v_add_co_ci_u32_e32 v9, vcc_lo, v11, v14, vcc_lo
	v_add_co_ci_u32_e32 v10, vcc_lo, 0, v15, vcc_lo
	v_add_co_u32 v11, vcc_lo, v6, v13
	v_add_co_ci_u32_e32 v7, vcc_lo, v7, v13, vcc_lo
	s_delay_alu instid0(VALU_DEP_4) | instskip(NEXT) | instid1(VALU_DEP_4)
	v_add_co_u32 v8, vcc_lo, v9, v8
	v_add_co_ci_u32_e32 v9, vcc_lo, 0, v10, vcc_lo
	s_delay_alu instid0(VALU_DEP_4) | instskip(NEXT) | instid1(VALU_DEP_3)
	v_xor_b32_e32 v14, v11, v13
	v_add_co_u32 v3, vcc_lo, v3, v8
	s_delay_alu instid0(VALU_DEP_3) | instskip(SKIP_1) | instid1(VALU_DEP_3)
	v_add_co_ci_u32_e32 v5, vcc_lo, v5, v9, vcc_lo
	v_xor_b32_e32 v15, v7, v13
	v_mul_hi_u32 v16, v14, v3
	s_delay_alu instid0(VALU_DEP_3) | instskip(NEXT) | instid1(VALU_DEP_3)
	v_mad_u64_u32 v[7:8], null, v14, v5, 0
	v_mad_u64_u32 v[9:10], null, v15, v3, 0
	;; [unrolled: 1-line block ×3, first 2 shown]
	s_delay_alu instid0(VALU_DEP_3) | instskip(NEXT) | instid1(VALU_DEP_4)
	v_add_co_u32 v3, vcc_lo, v16, v7
	v_add_co_ci_u32_e32 v5, vcc_lo, 0, v8, vcc_lo
	s_delay_alu instid0(VALU_DEP_2) | instskip(NEXT) | instid1(VALU_DEP_2)
	v_add_co_u32 v3, vcc_lo, v3, v9
	v_add_co_ci_u32_e32 v3, vcc_lo, v5, v10, vcc_lo
	v_add_co_ci_u32_e32 v5, vcc_lo, 0, v12, vcc_lo
	s_delay_alu instid0(VALU_DEP_2) | instskip(NEXT) | instid1(VALU_DEP_2)
	v_add_co_u32 v3, vcc_lo, v3, v11
	v_add_co_ci_u32_e32 v5, vcc_lo, 0, v5, vcc_lo
	s_delay_alu instid0(VALU_DEP_2) | instskip(SKIP_1) | instid1(VALU_DEP_3)
	v_mul_lo_u32 v9, s23, v3
	v_mad_u64_u32 v[7:8], null, s22, v3, 0
	v_mul_lo_u32 v10, s22, v5
	s_delay_alu instid0(VALU_DEP_2) | instskip(NEXT) | instid1(VALU_DEP_2)
	v_sub_co_u32 v7, vcc_lo, v14, v7
	v_add3_u32 v8, v8, v10, v9
	s_delay_alu instid0(VALU_DEP_1) | instskip(NEXT) | instid1(VALU_DEP_1)
	v_sub_nc_u32_e32 v9, v15, v8
	v_subrev_co_ci_u32_e64 v9, s0, s23, v9, vcc_lo
	v_add_co_u32 v10, s0, v3, 2
	s_delay_alu instid0(VALU_DEP_1) | instskip(SKIP_3) | instid1(VALU_DEP_3)
	v_add_co_ci_u32_e64 v11, s0, 0, v5, s0
	v_sub_co_u32 v12, s0, v7, s22
	v_sub_co_ci_u32_e32 v8, vcc_lo, v15, v8, vcc_lo
	v_subrev_co_ci_u32_e64 v9, s0, 0, v9, s0
	v_cmp_le_u32_e32 vcc_lo, s22, v12
	s_delay_alu instid0(VALU_DEP_3) | instskip(SKIP_1) | instid1(VALU_DEP_4)
	v_cmp_eq_u32_e64 s0, s23, v8
	v_cndmask_b32_e64 v12, 0, -1, vcc_lo
	v_cmp_le_u32_e32 vcc_lo, s23, v9
	v_cndmask_b32_e64 v14, 0, -1, vcc_lo
	v_cmp_le_u32_e32 vcc_lo, s22, v7
	;; [unrolled: 2-line block ×3, first 2 shown]
	v_cndmask_b32_e64 v15, 0, -1, vcc_lo
	v_cmp_eq_u32_e32 vcc_lo, s23, v9
	s_delay_alu instid0(VALU_DEP_2) | instskip(SKIP_3) | instid1(VALU_DEP_3)
	v_cndmask_b32_e64 v7, v15, v7, s0
	v_cndmask_b32_e32 v9, v14, v12, vcc_lo
	v_add_co_u32 v12, vcc_lo, v3, 1
	v_add_co_ci_u32_e32 v14, vcc_lo, 0, v5, vcc_lo
	v_cmp_ne_u32_e32 vcc_lo, 0, v9
	s_delay_alu instid0(VALU_DEP_2) | instskip(SKIP_2) | instid1(VALU_DEP_3)
	v_dual_cndmask_b32 v8, v14, v11 :: v_dual_cndmask_b32 v9, v12, v10
	v_cmp_ne_u32_e32 vcc_lo, 0, v7
	v_xor_b32_e32 v7, s20, v13
	v_cndmask_b32_e32 v3, v3, v9, vcc_lo
	s_delay_alu instid0(VALU_DEP_4) | instskip(SKIP_1) | instid1(VALU_DEP_3)
	v_cndmask_b32_e32 v5, v5, v8, vcc_lo
	v_xor_b32_e32 v9, s21, v13
	v_xor_b32_e32 v3, v3, v7
	s_delay_alu instid0(VALU_DEP_2) | instskip(NEXT) | instid1(VALU_DEP_2)
	v_xor_b32_e32 v5, v5, v9
	v_sub_co_u32 v8, vcc_lo, v3, v7
	s_delay_alu instid0(VALU_DEP_2)
	v_sub_co_ci_u32_e32 v9, vcc_lo, v5, v9, vcc_lo
.LBB88_26:                              ;   in Loop: Header=BB88_24 Depth=2
	s_and_not1_saveexec_b32 s0, s14
	s_cbranch_execz .LBB88_28
; %bb.27:                               ;   in Loop: Header=BB88_24 Depth=2
	v_cvt_f32_u32_e32 v3, s41
	s_sub_i32 s14, 0, s41
	v_mov_b32_e32 v9, v2
	s_delay_alu instid0(VALU_DEP_2) | instskip(SKIP_2) | instid1(VALU_DEP_1)
	v_rcp_iflag_f32_e32 v3, v3
	s_waitcnt_depctr 0xfff
	v_mul_f32_e32 v3, 0x4f7ffffe, v3
	v_cvt_u32_f32_e32 v3, v3
	s_delay_alu instid0(VALU_DEP_1) | instskip(NEXT) | instid1(VALU_DEP_1)
	v_mul_lo_u32 v5, s14, v3
	v_mul_hi_u32 v5, v3, v5
	s_delay_alu instid0(VALU_DEP_1) | instskip(NEXT) | instid1(VALU_DEP_1)
	v_add_nc_u32_e32 v3, v3, v5
	v_mul_hi_u32 v3, v6, v3
	s_delay_alu instid0(VALU_DEP_1) | instskip(SKIP_1) | instid1(VALU_DEP_2)
	v_mul_lo_u32 v5, v3, s41
	v_add_nc_u32_e32 v7, 1, v3
	v_sub_nc_u32_e32 v5, v6, v5
	s_delay_alu instid0(VALU_DEP_1) | instskip(SKIP_1) | instid1(VALU_DEP_4)
	v_cmp_le_u32_e32 vcc_lo, s41, v5
	v_subrev_nc_u32_e32 v8, s41, v5
	v_cndmask_b32_e32 v3, v3, v7, vcc_lo
	s_delay_alu instid0(VALU_DEP_1) | instskip(NEXT) | instid1(VALU_DEP_3)
	v_add_nc_u32_e32 v7, 1, v3
	v_cndmask_b32_e32 v5, v5, v8, vcc_lo
	s_delay_alu instid0(VALU_DEP_1) | instskip(NEXT) | instid1(VALU_DEP_3)
	v_cmp_le_u32_e32 vcc_lo, s41, v5
	v_cndmask_b32_e32 v8, v3, v7, vcc_lo
.LBB88_28:                              ;   in Loop: Header=BB88_24 Depth=2
	s_or_b32 exec_lo, exec_lo, s0
	s_add_u32 s20, s30, s18
	s_addc_u32 s21, s1, s19
	s_add_i32 s14, s16, 6
                                        ; implicit-def: $vgpr10_vgpr11
	s_delay_alu instid0(SALU_CYCLE_1)
	s_lshl_b64 s[18:19], s[14:15], 2
	s_mov_b32 s14, exec_lo
	s_add_u32 s22, s26, s18
	s_addc_u32 s23, s27, s19
	s_clause 0x1
	s_load_b32 s43, s[22:23], 0x0
	s_load_b32 s42, s[20:21], 0x0
	s_waitcnt lgkmcnt(0)
	s_ashr_i32 s0, s43, 31
	s_delay_alu instid0(SALU_CYCLE_1) | instskip(NEXT) | instid1(VALU_DEP_1)
	v_or_b32_e32 v3, s0, v9
	v_cmpx_ne_u64_e32 0, v[2:3]
	s_xor_b32 s14, exec_lo, s14
	s_cbranch_execz .LBB88_30
; %bb.29:                               ;   in Loop: Header=BB88_24 Depth=2
	s_add_u32 s22, s43, s0
	s_mov_b32 s20, s0
	s_mov_b32 s21, s0
	s_addc_u32 s23, s0, s0
	s_delay_alu instid0(SALU_CYCLE_1) | instskip(NEXT) | instid1(SALU_CYCLE_1)
	s_xor_b64 s[22:23], s[22:23], s[20:21]
	v_cvt_f32_u32_e32 v3, s22
	v_cvt_f32_u32_e32 v5, s23
	s_sub_u32 s0, 0, s22
	s_subb_u32 s17, 0, s23
	s_delay_alu instid0(VALU_DEP_1) | instskip(NEXT) | instid1(VALU_DEP_1)
	v_fmac_f32_e32 v3, 0x4f800000, v5
	v_rcp_f32_e32 v3, v3
	s_waitcnt_depctr 0xfff
	v_mul_f32_e32 v3, 0x5f7ffffc, v3
	s_delay_alu instid0(VALU_DEP_1) | instskip(NEXT) | instid1(VALU_DEP_1)
	v_mul_f32_e32 v5, 0x2f800000, v3
	v_trunc_f32_e32 v5, v5
	s_delay_alu instid0(VALU_DEP_1) | instskip(SKIP_1) | instid1(VALU_DEP_2)
	v_fmac_f32_e32 v3, 0xcf800000, v5
	v_cvt_u32_f32_e32 v5, v5
	v_cvt_u32_f32_e32 v3, v3
	s_delay_alu instid0(VALU_DEP_2) | instskip(NEXT) | instid1(VALU_DEP_2)
	v_mul_lo_u32 v7, s0, v5
	v_mul_hi_u32 v10, s0, v3
	v_mul_lo_u32 v11, s17, v3
	s_delay_alu instid0(VALU_DEP_2) | instskip(SKIP_1) | instid1(VALU_DEP_2)
	v_add_nc_u32_e32 v7, v10, v7
	v_mul_lo_u32 v10, s0, v3
	v_add_nc_u32_e32 v7, v7, v11
	s_delay_alu instid0(VALU_DEP_2) | instskip(NEXT) | instid1(VALU_DEP_2)
	v_mul_hi_u32 v11, v3, v10
	v_mul_lo_u32 v12, v3, v7
	v_mul_hi_u32 v13, v3, v7
	v_mul_hi_u32 v14, v5, v10
	v_mul_lo_u32 v10, v5, v10
	v_mul_hi_u32 v15, v5, v7
	v_mul_lo_u32 v7, v5, v7
	v_add_co_u32 v11, vcc_lo, v11, v12
	v_add_co_ci_u32_e32 v12, vcc_lo, 0, v13, vcc_lo
	s_delay_alu instid0(VALU_DEP_2) | instskip(NEXT) | instid1(VALU_DEP_2)
	v_add_co_u32 v10, vcc_lo, v11, v10
	v_add_co_ci_u32_e32 v10, vcc_lo, v12, v14, vcc_lo
	v_add_co_ci_u32_e32 v11, vcc_lo, 0, v15, vcc_lo
	v_ashrrev_i32_e32 v15, 31, v9
	s_delay_alu instid0(VALU_DEP_3) | instskip(NEXT) | instid1(VALU_DEP_3)
	v_add_co_u32 v7, vcc_lo, v10, v7
	v_add_co_ci_u32_e32 v10, vcc_lo, 0, v11, vcc_lo
	s_delay_alu instid0(VALU_DEP_2) | instskip(NEXT) | instid1(VALU_DEP_2)
	v_add_co_u32 v3, vcc_lo, v3, v7
	v_add_co_ci_u32_e32 v5, vcc_lo, v5, v10, vcc_lo
	s_delay_alu instid0(VALU_DEP_2) | instskip(SKIP_1) | instid1(VALU_DEP_3)
	v_mul_hi_u32 v7, s0, v3
	v_mul_lo_u32 v11, s17, v3
	v_mul_lo_u32 v10, s0, v5
	s_delay_alu instid0(VALU_DEP_1) | instskip(SKIP_1) | instid1(VALU_DEP_2)
	v_add_nc_u32_e32 v7, v7, v10
	v_mul_lo_u32 v10, s0, v3
	v_add_nc_u32_e32 v7, v7, v11
	s_delay_alu instid0(VALU_DEP_2) | instskip(NEXT) | instid1(VALU_DEP_2)
	v_mul_hi_u32 v11, v3, v10
	v_mul_lo_u32 v12, v3, v7
	v_mul_hi_u32 v13, v3, v7
	v_mul_hi_u32 v14, v5, v10
	v_mul_lo_u32 v10, v5, v10
	v_mul_hi_u32 v16, v5, v7
	v_mul_lo_u32 v7, v5, v7
	v_add_co_u32 v11, vcc_lo, v11, v12
	v_add_co_ci_u32_e32 v12, vcc_lo, 0, v13, vcc_lo
	s_delay_alu instid0(VALU_DEP_2) | instskip(NEXT) | instid1(VALU_DEP_2)
	v_add_co_u32 v10, vcc_lo, v11, v10
	v_add_co_ci_u32_e32 v10, vcc_lo, v12, v14, vcc_lo
	v_add_co_ci_u32_e32 v11, vcc_lo, 0, v16, vcc_lo
	v_add_co_u32 v12, vcc_lo, v8, v15
	v_add_co_ci_u32_e32 v9, vcc_lo, v9, v15, vcc_lo
	s_delay_alu instid0(VALU_DEP_4) | instskip(NEXT) | instid1(VALU_DEP_4)
	v_add_co_u32 v7, vcc_lo, v10, v7
	v_add_co_ci_u32_e32 v10, vcc_lo, 0, v11, vcc_lo
	s_delay_alu instid0(VALU_DEP_4) | instskip(NEXT) | instid1(VALU_DEP_3)
	v_xor_b32_e32 v16, v12, v15
	v_add_co_u32 v3, vcc_lo, v3, v7
	s_delay_alu instid0(VALU_DEP_3) | instskip(SKIP_1) | instid1(VALU_DEP_3)
	v_add_co_ci_u32_e32 v5, vcc_lo, v5, v10, vcc_lo
	v_xor_b32_e32 v7, v9, v15
	v_mul_hi_u32 v17, v16, v3
	s_delay_alu instid0(VALU_DEP_3) | instskip(NEXT) | instid1(VALU_DEP_3)
	v_mad_u64_u32 v[9:10], null, v16, v5, 0
	v_mad_u64_u32 v[11:12], null, v7, v3, 0
	;; [unrolled: 1-line block ×3, first 2 shown]
	s_delay_alu instid0(VALU_DEP_3) | instskip(NEXT) | instid1(VALU_DEP_4)
	v_add_co_u32 v3, vcc_lo, v17, v9
	v_add_co_ci_u32_e32 v5, vcc_lo, 0, v10, vcc_lo
	s_delay_alu instid0(VALU_DEP_2) | instskip(NEXT) | instid1(VALU_DEP_2)
	v_add_co_u32 v3, vcc_lo, v3, v11
	v_add_co_ci_u32_e32 v3, vcc_lo, v5, v12, vcc_lo
	v_add_co_ci_u32_e32 v5, vcc_lo, 0, v14, vcc_lo
	s_delay_alu instid0(VALU_DEP_2) | instskip(NEXT) | instid1(VALU_DEP_2)
	v_add_co_u32 v3, vcc_lo, v3, v13
	v_add_co_ci_u32_e32 v5, vcc_lo, 0, v5, vcc_lo
	s_delay_alu instid0(VALU_DEP_2) | instskip(SKIP_1) | instid1(VALU_DEP_3)
	v_mul_lo_u32 v11, s23, v3
	v_mad_u64_u32 v[9:10], null, s22, v3, 0
	v_mul_lo_u32 v12, s22, v5
	s_delay_alu instid0(VALU_DEP_2) | instskip(NEXT) | instid1(VALU_DEP_2)
	v_sub_co_u32 v9, vcc_lo, v16, v9
	v_add3_u32 v10, v10, v12, v11
	s_delay_alu instid0(VALU_DEP_1) | instskip(NEXT) | instid1(VALU_DEP_1)
	v_sub_nc_u32_e32 v11, v7, v10
	v_subrev_co_ci_u32_e64 v11, s0, s23, v11, vcc_lo
	v_add_co_u32 v12, s0, v3, 2
	s_delay_alu instid0(VALU_DEP_1) | instskip(SKIP_3) | instid1(VALU_DEP_3)
	v_add_co_ci_u32_e64 v13, s0, 0, v5, s0
	v_sub_co_u32 v14, s0, v9, s22
	v_sub_co_ci_u32_e32 v7, vcc_lo, v7, v10, vcc_lo
	v_subrev_co_ci_u32_e64 v11, s0, 0, v11, s0
	v_cmp_le_u32_e32 vcc_lo, s22, v14
	s_delay_alu instid0(VALU_DEP_3) | instskip(SKIP_1) | instid1(VALU_DEP_4)
	v_cmp_eq_u32_e64 s0, s23, v7
	v_cndmask_b32_e64 v10, 0, -1, vcc_lo
	v_cmp_le_u32_e32 vcc_lo, s23, v11
	v_cndmask_b32_e64 v14, 0, -1, vcc_lo
	v_cmp_le_u32_e32 vcc_lo, s22, v9
	;; [unrolled: 2-line block ×3, first 2 shown]
	v_cndmask_b32_e64 v16, 0, -1, vcc_lo
	v_cmp_eq_u32_e32 vcc_lo, s23, v11
	s_delay_alu instid0(VALU_DEP_2) | instskip(SKIP_3) | instid1(VALU_DEP_3)
	v_cndmask_b32_e64 v7, v16, v9, s0
	v_cndmask_b32_e32 v10, v14, v10, vcc_lo
	v_add_co_u32 v11, vcc_lo, v3, 1
	v_add_co_ci_u32_e32 v14, vcc_lo, 0, v5, vcc_lo
	v_cmp_ne_u32_e32 vcc_lo, 0, v10
	s_delay_alu instid0(VALU_DEP_2) | instskip(SKIP_2) | instid1(VALU_DEP_3)
	v_dual_cndmask_b32 v10, v11, v12 :: v_dual_cndmask_b32 v9, v14, v13
	v_cmp_ne_u32_e32 vcc_lo, 0, v7
	v_xor_b32_e32 v7, s20, v15
	v_cndmask_b32_e32 v3, v3, v10, vcc_lo
	s_delay_alu instid0(VALU_DEP_4) | instskip(SKIP_1) | instid1(VALU_DEP_3)
	v_cndmask_b32_e32 v5, v5, v9, vcc_lo
	v_xor_b32_e32 v9, s21, v15
	v_xor_b32_e32 v3, v3, v7
	s_delay_alu instid0(VALU_DEP_2) | instskip(NEXT) | instid1(VALU_DEP_2)
	v_xor_b32_e32 v5, v5, v9
	v_sub_co_u32 v10, vcc_lo, v3, v7
	s_delay_alu instid0(VALU_DEP_2)
	v_sub_co_ci_u32_e32 v11, vcc_lo, v5, v9, vcc_lo
.LBB88_30:                              ;   in Loop: Header=BB88_24 Depth=2
	s_and_not1_saveexec_b32 s0, s14
	s_cbranch_execz .LBB88_32
; %bb.31:                               ;   in Loop: Header=BB88_24 Depth=2
	v_cvt_f32_u32_e32 v3, s43
	s_sub_i32 s14, 0, s43
	v_mov_b32_e32 v11, v2
	s_delay_alu instid0(VALU_DEP_2) | instskip(SKIP_2) | instid1(VALU_DEP_1)
	v_rcp_iflag_f32_e32 v3, v3
	s_waitcnt_depctr 0xfff
	v_mul_f32_e32 v3, 0x4f7ffffe, v3
	v_cvt_u32_f32_e32 v3, v3
	s_delay_alu instid0(VALU_DEP_1) | instskip(NEXT) | instid1(VALU_DEP_1)
	v_mul_lo_u32 v5, s14, v3
	v_mul_hi_u32 v5, v3, v5
	s_delay_alu instid0(VALU_DEP_1) | instskip(NEXT) | instid1(VALU_DEP_1)
	v_add_nc_u32_e32 v3, v3, v5
	v_mul_hi_u32 v3, v8, v3
	s_delay_alu instid0(VALU_DEP_1) | instskip(SKIP_1) | instid1(VALU_DEP_2)
	v_mul_lo_u32 v5, v3, s43
	v_add_nc_u32_e32 v7, 1, v3
	v_sub_nc_u32_e32 v5, v8, v5
	s_delay_alu instid0(VALU_DEP_1) | instskip(SKIP_1) | instid1(VALU_DEP_4)
	v_cmp_le_u32_e32 vcc_lo, s43, v5
	v_subrev_nc_u32_e32 v9, s43, v5
	v_cndmask_b32_e32 v3, v3, v7, vcc_lo
	s_delay_alu instid0(VALU_DEP_1) | instskip(NEXT) | instid1(VALU_DEP_3)
	v_add_nc_u32_e32 v7, 1, v3
	v_cndmask_b32_e32 v5, v5, v9, vcc_lo
	s_delay_alu instid0(VALU_DEP_1) | instskip(NEXT) | instid1(VALU_DEP_3)
	v_cmp_le_u32_e32 vcc_lo, s43, v5
	v_cndmask_b32_e32 v10, v3, v7, vcc_lo
.LBB88_32:                              ;   in Loop: Header=BB88_24 Depth=2
	s_or_b32 exec_lo, exec_lo, s0
	s_add_u32 s20, s30, s18
	s_addc_u32 s21, s1, s19
	s_add_i32 s14, s16, 5
                                        ; implicit-def: $vgpr12_vgpr13
	s_delay_alu instid0(SALU_CYCLE_1)
	s_lshl_b64 s[18:19], s[14:15], 2
	s_mov_b32 s14, exec_lo
	s_add_u32 s22, s26, s18
	s_addc_u32 s23, s27, s19
	s_clause 0x1
	s_load_b32 s45, s[22:23], 0x0
	s_load_b32 s44, s[20:21], 0x0
	s_waitcnt lgkmcnt(0)
	s_ashr_i32 s0, s45, 31
	s_delay_alu instid0(SALU_CYCLE_1) | instskip(NEXT) | instid1(VALU_DEP_1)
	v_or_b32_e32 v3, s0, v11
	v_cmpx_ne_u64_e32 0, v[2:3]
	s_xor_b32 s14, exec_lo, s14
	s_cbranch_execz .LBB88_34
; %bb.33:                               ;   in Loop: Header=BB88_24 Depth=2
	s_add_u32 s22, s45, s0
	s_mov_b32 s20, s0
	s_mov_b32 s21, s0
	s_addc_u32 s23, s0, s0
	v_ashrrev_i32_e32 v17, 31, v11
	s_xor_b64 s[22:23], s[22:23], s[20:21]
	s_delay_alu instid0(SALU_CYCLE_1) | instskip(SKIP_3) | instid1(VALU_DEP_1)
	v_cvt_f32_u32_e32 v3, s22
	v_cvt_f32_u32_e32 v5, s23
	s_sub_u32 s0, 0, s22
	s_subb_u32 s17, 0, s23
	v_fmac_f32_e32 v3, 0x4f800000, v5
	s_delay_alu instid0(VALU_DEP_1) | instskip(SKIP_2) | instid1(VALU_DEP_1)
	v_rcp_f32_e32 v3, v3
	s_waitcnt_depctr 0xfff
	v_mul_f32_e32 v3, 0x5f7ffffc, v3
	v_mul_f32_e32 v5, 0x2f800000, v3
	s_delay_alu instid0(VALU_DEP_1) | instskip(NEXT) | instid1(VALU_DEP_1)
	v_trunc_f32_e32 v5, v5
	v_fmac_f32_e32 v3, 0xcf800000, v5
	v_cvt_u32_f32_e32 v5, v5
	s_delay_alu instid0(VALU_DEP_2) | instskip(NEXT) | instid1(VALU_DEP_2)
	v_cvt_u32_f32_e32 v3, v3
	v_mul_lo_u32 v7, s0, v5
	s_delay_alu instid0(VALU_DEP_2) | instskip(SKIP_1) | instid1(VALU_DEP_2)
	v_mul_hi_u32 v9, s0, v3
	v_mul_lo_u32 v12, s17, v3
	v_add_nc_u32_e32 v7, v9, v7
	v_mul_lo_u32 v9, s0, v3
	s_delay_alu instid0(VALU_DEP_2) | instskip(NEXT) | instid1(VALU_DEP_2)
	v_add_nc_u32_e32 v7, v7, v12
	v_mul_hi_u32 v12, v3, v9
	s_delay_alu instid0(VALU_DEP_2)
	v_mul_lo_u32 v13, v3, v7
	v_mul_hi_u32 v14, v3, v7
	v_mul_hi_u32 v15, v5, v9
	v_mul_lo_u32 v9, v5, v9
	v_mul_hi_u32 v16, v5, v7
	v_mul_lo_u32 v7, v5, v7
	v_add_co_u32 v12, vcc_lo, v12, v13
	v_add_co_ci_u32_e32 v13, vcc_lo, 0, v14, vcc_lo
	s_delay_alu instid0(VALU_DEP_2) | instskip(NEXT) | instid1(VALU_DEP_2)
	v_add_co_u32 v9, vcc_lo, v12, v9
	v_add_co_ci_u32_e32 v9, vcc_lo, v13, v15, vcc_lo
	v_add_co_ci_u32_e32 v12, vcc_lo, 0, v16, vcc_lo
	s_delay_alu instid0(VALU_DEP_2) | instskip(NEXT) | instid1(VALU_DEP_2)
	v_add_co_u32 v7, vcc_lo, v9, v7
	v_add_co_ci_u32_e32 v9, vcc_lo, 0, v12, vcc_lo
	s_delay_alu instid0(VALU_DEP_2) | instskip(NEXT) | instid1(VALU_DEP_2)
	v_add_co_u32 v3, vcc_lo, v3, v7
	v_add_co_ci_u32_e32 v5, vcc_lo, v5, v9, vcc_lo
	s_delay_alu instid0(VALU_DEP_2) | instskip(SKIP_1) | instid1(VALU_DEP_3)
	v_mul_hi_u32 v7, s0, v3
	v_mul_lo_u32 v12, s17, v3
	v_mul_lo_u32 v9, s0, v5
	s_delay_alu instid0(VALU_DEP_1) | instskip(SKIP_1) | instid1(VALU_DEP_2)
	v_add_nc_u32_e32 v7, v7, v9
	v_mul_lo_u32 v9, s0, v3
	v_add_nc_u32_e32 v7, v7, v12
	s_delay_alu instid0(VALU_DEP_2) | instskip(NEXT) | instid1(VALU_DEP_2)
	v_mul_hi_u32 v12, v3, v9
	v_mul_lo_u32 v13, v3, v7
	v_mul_hi_u32 v14, v3, v7
	v_mul_hi_u32 v15, v5, v9
	v_mul_lo_u32 v9, v5, v9
	v_mul_hi_u32 v16, v5, v7
	v_mul_lo_u32 v7, v5, v7
	v_add_co_u32 v12, vcc_lo, v12, v13
	v_add_co_ci_u32_e32 v13, vcc_lo, 0, v14, vcc_lo
	s_delay_alu instid0(VALU_DEP_2) | instskip(NEXT) | instid1(VALU_DEP_2)
	v_add_co_u32 v9, vcc_lo, v12, v9
	v_add_co_ci_u32_e32 v9, vcc_lo, v13, v15, vcc_lo
	v_add_co_ci_u32_e32 v12, vcc_lo, 0, v16, vcc_lo
	v_add_co_u32 v13, vcc_lo, v10, v17
	v_add_co_ci_u32_e32 v11, vcc_lo, v11, v17, vcc_lo
	s_delay_alu instid0(VALU_DEP_4) | instskip(NEXT) | instid1(VALU_DEP_4)
	v_add_co_u32 v7, vcc_lo, v9, v7
	v_add_co_ci_u32_e32 v9, vcc_lo, 0, v12, vcc_lo
	s_delay_alu instid0(VALU_DEP_4) | instskip(NEXT) | instid1(VALU_DEP_3)
	v_xor_b32_e32 v18, v13, v17
	v_add_co_u32 v3, vcc_lo, v3, v7
	s_delay_alu instid0(VALU_DEP_3) | instskip(SKIP_1) | instid1(VALU_DEP_3)
	v_add_co_ci_u32_e32 v5, vcc_lo, v5, v9, vcc_lo
	v_xor_b32_e32 v7, v11, v17
	v_mul_hi_u32 v9, v18, v3
	s_delay_alu instid0(VALU_DEP_3) | instskip(NEXT) | instid1(VALU_DEP_3)
	v_mad_u64_u32 v[11:12], null, v18, v5, 0
	v_mad_u64_u32 v[13:14], null, v7, v3, 0
	v_mad_u64_u32 v[15:16], null, v7, v5, 0
	s_delay_alu instid0(VALU_DEP_3) | instskip(NEXT) | instid1(VALU_DEP_4)
	v_add_co_u32 v3, vcc_lo, v9, v11
	v_add_co_ci_u32_e32 v5, vcc_lo, 0, v12, vcc_lo
	s_delay_alu instid0(VALU_DEP_2) | instskip(NEXT) | instid1(VALU_DEP_2)
	v_add_co_u32 v3, vcc_lo, v3, v13
	v_add_co_ci_u32_e32 v3, vcc_lo, v5, v14, vcc_lo
	v_add_co_ci_u32_e32 v5, vcc_lo, 0, v16, vcc_lo
	s_delay_alu instid0(VALU_DEP_2) | instskip(NEXT) | instid1(VALU_DEP_2)
	v_add_co_u32 v3, vcc_lo, v3, v15
	v_add_co_ci_u32_e32 v5, vcc_lo, 0, v5, vcc_lo
	s_delay_alu instid0(VALU_DEP_2) | instskip(SKIP_1) | instid1(VALU_DEP_3)
	v_mul_lo_u32 v9, s23, v3
	v_mad_u64_u32 v[11:12], null, s22, v3, 0
	v_mul_lo_u32 v13, s22, v5
	s_delay_alu instid0(VALU_DEP_2) | instskip(NEXT) | instid1(VALU_DEP_2)
	v_sub_co_u32 v11, vcc_lo, v18, v11
	v_add3_u32 v9, v12, v13, v9
	s_delay_alu instid0(VALU_DEP_1) | instskip(NEXT) | instid1(VALU_DEP_1)
	v_sub_nc_u32_e32 v12, v7, v9
	v_subrev_co_ci_u32_e64 v12, s0, s23, v12, vcc_lo
	v_add_co_u32 v13, s0, v3, 2
	s_delay_alu instid0(VALU_DEP_1) | instskip(SKIP_3) | instid1(VALU_DEP_3)
	v_add_co_ci_u32_e64 v14, s0, 0, v5, s0
	v_sub_co_u32 v15, s0, v11, s22
	v_sub_co_ci_u32_e32 v7, vcc_lo, v7, v9, vcc_lo
	v_subrev_co_ci_u32_e64 v12, s0, 0, v12, s0
	v_cmp_le_u32_e32 vcc_lo, s22, v15
	s_delay_alu instid0(VALU_DEP_3) | instskip(SKIP_1) | instid1(VALU_DEP_4)
	v_cmp_eq_u32_e64 s0, s23, v7
	v_cndmask_b32_e64 v9, 0, -1, vcc_lo
	v_cmp_le_u32_e32 vcc_lo, s23, v12
	v_cndmask_b32_e64 v15, 0, -1, vcc_lo
	v_cmp_le_u32_e32 vcc_lo, s22, v11
	;; [unrolled: 2-line block ×3, first 2 shown]
	v_cndmask_b32_e64 v16, 0, -1, vcc_lo
	v_cmp_eq_u32_e32 vcc_lo, s23, v12
	s_delay_alu instid0(VALU_DEP_2) | instskip(SKIP_3) | instid1(VALU_DEP_3)
	v_cndmask_b32_e64 v7, v16, v11, s0
	v_cndmask_b32_e32 v9, v15, v9, vcc_lo
	v_add_co_u32 v12, vcc_lo, v3, 1
	v_add_co_ci_u32_e32 v15, vcc_lo, 0, v5, vcc_lo
	v_cmp_ne_u32_e32 vcc_lo, 0, v9
	s_delay_alu instid0(VALU_DEP_2) | instskip(NEXT) | instid1(VALU_DEP_4)
	v_cndmask_b32_e32 v9, v15, v14, vcc_lo
	v_cndmask_b32_e32 v11, v12, v13, vcc_lo
	v_cmp_ne_u32_e32 vcc_lo, 0, v7
	v_xor_b32_e32 v7, s20, v17
	s_delay_alu instid0(VALU_DEP_3) | instskip(SKIP_2) | instid1(VALU_DEP_3)
	v_cndmask_b32_e32 v3, v3, v11, vcc_lo
	v_cndmask_b32_e32 v5, v5, v9, vcc_lo
	v_xor_b32_e32 v9, s21, v17
	v_xor_b32_e32 v3, v3, v7
	s_delay_alu instid0(VALU_DEP_2) | instskip(NEXT) | instid1(VALU_DEP_2)
	v_xor_b32_e32 v5, v5, v9
	v_sub_co_u32 v12, vcc_lo, v3, v7
	s_delay_alu instid0(VALU_DEP_2)
	v_sub_co_ci_u32_e32 v13, vcc_lo, v5, v9, vcc_lo
.LBB88_34:                              ;   in Loop: Header=BB88_24 Depth=2
	s_and_not1_saveexec_b32 s0, s14
	s_cbranch_execz .LBB88_36
; %bb.35:                               ;   in Loop: Header=BB88_24 Depth=2
	v_cvt_f32_u32_e32 v3, s45
	s_sub_i32 s14, 0, s45
	v_mov_b32_e32 v13, v2
	s_delay_alu instid0(VALU_DEP_2) | instskip(SKIP_2) | instid1(VALU_DEP_1)
	v_rcp_iflag_f32_e32 v3, v3
	s_waitcnt_depctr 0xfff
	v_mul_f32_e32 v3, 0x4f7ffffe, v3
	v_cvt_u32_f32_e32 v3, v3
	s_delay_alu instid0(VALU_DEP_1) | instskip(NEXT) | instid1(VALU_DEP_1)
	v_mul_lo_u32 v5, s14, v3
	v_mul_hi_u32 v5, v3, v5
	s_delay_alu instid0(VALU_DEP_1) | instskip(NEXT) | instid1(VALU_DEP_1)
	v_add_nc_u32_e32 v3, v3, v5
	v_mul_hi_u32 v3, v10, v3
	s_delay_alu instid0(VALU_DEP_1) | instskip(SKIP_1) | instid1(VALU_DEP_2)
	v_mul_lo_u32 v5, v3, s45
	v_add_nc_u32_e32 v7, 1, v3
	v_sub_nc_u32_e32 v5, v10, v5
	s_delay_alu instid0(VALU_DEP_1) | instskip(SKIP_1) | instid1(VALU_DEP_4)
	v_cmp_le_u32_e32 vcc_lo, s45, v5
	v_subrev_nc_u32_e32 v9, s45, v5
	v_cndmask_b32_e32 v3, v3, v7, vcc_lo
	s_delay_alu instid0(VALU_DEP_1) | instskip(NEXT) | instid1(VALU_DEP_3)
	v_add_nc_u32_e32 v7, 1, v3
	v_cndmask_b32_e32 v5, v5, v9, vcc_lo
	s_delay_alu instid0(VALU_DEP_1) | instskip(NEXT) | instid1(VALU_DEP_3)
	v_cmp_le_u32_e32 vcc_lo, s45, v5
	v_cndmask_b32_e32 v12, v3, v7, vcc_lo
.LBB88_36:                              ;   in Loop: Header=BB88_24 Depth=2
	s_or_b32 exec_lo, exec_lo, s0
	s_add_u32 s20, s30, s18
	s_addc_u32 s21, s1, s19
	s_add_i32 s14, s16, 4
                                        ; implicit-def: $vgpr14_vgpr15
	s_delay_alu instid0(SALU_CYCLE_1)
	s_lshl_b64 s[18:19], s[14:15], 2
	s_mov_b32 s14, exec_lo
	s_add_u32 s22, s26, s18
	s_addc_u32 s23, s27, s19
	s_clause 0x1
	s_load_b32 s47, s[22:23], 0x0
	s_load_b32 s46, s[20:21], 0x0
	s_waitcnt lgkmcnt(0)
	s_ashr_i32 s0, s47, 31
	s_delay_alu instid0(SALU_CYCLE_1) | instskip(NEXT) | instid1(VALU_DEP_1)
	v_or_b32_e32 v3, s0, v13
	v_cmpx_ne_u64_e32 0, v[2:3]
	s_xor_b32 s14, exec_lo, s14
	s_cbranch_execz .LBB88_38
; %bb.37:                               ;   in Loop: Header=BB88_24 Depth=2
	s_add_u32 s22, s47, s0
	s_mov_b32 s20, s0
	s_mov_b32 s21, s0
	s_addc_u32 s23, s0, s0
	v_ashrrev_i32_e32 v19, 31, v13
	s_xor_b64 s[22:23], s[22:23], s[20:21]
	s_delay_alu instid0(SALU_CYCLE_1) | instskip(SKIP_3) | instid1(VALU_DEP_1)
	v_cvt_f32_u32_e32 v3, s22
	v_cvt_f32_u32_e32 v5, s23
	s_sub_u32 s0, 0, s22
	s_subb_u32 s17, 0, s23
	v_fmac_f32_e32 v3, 0x4f800000, v5
	s_delay_alu instid0(VALU_DEP_1) | instskip(SKIP_2) | instid1(VALU_DEP_1)
	v_rcp_f32_e32 v3, v3
	s_waitcnt_depctr 0xfff
	v_mul_f32_e32 v3, 0x5f7ffffc, v3
	v_mul_f32_e32 v5, 0x2f800000, v3
	s_delay_alu instid0(VALU_DEP_1) | instskip(NEXT) | instid1(VALU_DEP_1)
	v_trunc_f32_e32 v5, v5
	v_fmac_f32_e32 v3, 0xcf800000, v5
	v_cvt_u32_f32_e32 v5, v5
	s_delay_alu instid0(VALU_DEP_2) | instskip(NEXT) | instid1(VALU_DEP_2)
	v_cvt_u32_f32_e32 v3, v3
	v_mul_lo_u32 v7, s0, v5
	s_delay_alu instid0(VALU_DEP_2) | instskip(SKIP_1) | instid1(VALU_DEP_2)
	v_mul_hi_u32 v9, s0, v3
	v_mul_lo_u32 v11, s17, v3
	v_add_nc_u32_e32 v7, v9, v7
	v_mul_lo_u32 v9, s0, v3
	s_delay_alu instid0(VALU_DEP_2) | instskip(NEXT) | instid1(VALU_DEP_2)
	v_add_nc_u32_e32 v7, v7, v11
	v_mul_hi_u32 v11, v3, v9
	s_delay_alu instid0(VALU_DEP_2)
	v_mul_lo_u32 v14, v3, v7
	v_mul_hi_u32 v15, v3, v7
	v_mul_hi_u32 v16, v5, v9
	v_mul_lo_u32 v9, v5, v9
	v_mul_hi_u32 v17, v5, v7
	v_mul_lo_u32 v7, v5, v7
	v_add_co_u32 v11, vcc_lo, v11, v14
	v_add_co_ci_u32_e32 v14, vcc_lo, 0, v15, vcc_lo
	s_delay_alu instid0(VALU_DEP_2) | instskip(NEXT) | instid1(VALU_DEP_2)
	v_add_co_u32 v9, vcc_lo, v11, v9
	v_add_co_ci_u32_e32 v9, vcc_lo, v14, v16, vcc_lo
	v_add_co_ci_u32_e32 v11, vcc_lo, 0, v17, vcc_lo
	s_delay_alu instid0(VALU_DEP_2) | instskip(NEXT) | instid1(VALU_DEP_2)
	v_add_co_u32 v7, vcc_lo, v9, v7
	v_add_co_ci_u32_e32 v9, vcc_lo, 0, v11, vcc_lo
	s_delay_alu instid0(VALU_DEP_2) | instskip(NEXT) | instid1(VALU_DEP_2)
	v_add_co_u32 v3, vcc_lo, v3, v7
	v_add_co_ci_u32_e32 v5, vcc_lo, v5, v9, vcc_lo
	s_delay_alu instid0(VALU_DEP_2) | instskip(SKIP_1) | instid1(VALU_DEP_3)
	v_mul_hi_u32 v7, s0, v3
	v_mul_lo_u32 v11, s17, v3
	v_mul_lo_u32 v9, s0, v5
	s_delay_alu instid0(VALU_DEP_1) | instskip(SKIP_1) | instid1(VALU_DEP_2)
	v_add_nc_u32_e32 v7, v7, v9
	v_mul_lo_u32 v9, s0, v3
	v_add_nc_u32_e32 v7, v7, v11
	s_delay_alu instid0(VALU_DEP_2) | instskip(NEXT) | instid1(VALU_DEP_2)
	v_mul_hi_u32 v11, v3, v9
	v_mul_lo_u32 v14, v3, v7
	v_mul_hi_u32 v15, v3, v7
	v_mul_hi_u32 v16, v5, v9
	v_mul_lo_u32 v9, v5, v9
	v_mul_hi_u32 v17, v5, v7
	v_mul_lo_u32 v7, v5, v7
	v_add_co_u32 v11, vcc_lo, v11, v14
	v_add_co_ci_u32_e32 v14, vcc_lo, 0, v15, vcc_lo
	s_delay_alu instid0(VALU_DEP_2) | instskip(NEXT) | instid1(VALU_DEP_2)
	v_add_co_u32 v9, vcc_lo, v11, v9
	v_add_co_ci_u32_e32 v9, vcc_lo, v14, v16, vcc_lo
	v_add_co_ci_u32_e32 v11, vcc_lo, 0, v17, vcc_lo
	v_add_co_u32 v14, vcc_lo, v12, v19
	v_add_co_ci_u32_e32 v13, vcc_lo, v13, v19, vcc_lo
	s_delay_alu instid0(VALU_DEP_4) | instskip(NEXT) | instid1(VALU_DEP_4)
	v_add_co_u32 v7, vcc_lo, v9, v7
	v_add_co_ci_u32_e32 v9, vcc_lo, 0, v11, vcc_lo
	s_delay_alu instid0(VALU_DEP_4) | instskip(NEXT) | instid1(VALU_DEP_3)
	v_xor_b32_e32 v11, v14, v19
	v_add_co_u32 v3, vcc_lo, v3, v7
	s_delay_alu instid0(VALU_DEP_3) | instskip(SKIP_1) | instid1(VALU_DEP_3)
	v_add_co_ci_u32_e32 v5, vcc_lo, v5, v9, vcc_lo
	v_xor_b32_e32 v7, v13, v19
	v_mul_hi_u32 v9, v11, v3
	s_delay_alu instid0(VALU_DEP_3) | instskip(NEXT) | instid1(VALU_DEP_3)
	v_mad_u64_u32 v[13:14], null, v11, v5, 0
	v_mad_u64_u32 v[15:16], null, v7, v3, 0
	;; [unrolled: 1-line block ×3, first 2 shown]
	s_delay_alu instid0(VALU_DEP_3) | instskip(NEXT) | instid1(VALU_DEP_4)
	v_add_co_u32 v3, vcc_lo, v9, v13
	v_add_co_ci_u32_e32 v5, vcc_lo, 0, v14, vcc_lo
	s_delay_alu instid0(VALU_DEP_2) | instskip(NEXT) | instid1(VALU_DEP_2)
	v_add_co_u32 v3, vcc_lo, v3, v15
	v_add_co_ci_u32_e32 v3, vcc_lo, v5, v16, vcc_lo
	v_add_co_ci_u32_e32 v5, vcc_lo, 0, v18, vcc_lo
	s_delay_alu instid0(VALU_DEP_2) | instskip(NEXT) | instid1(VALU_DEP_2)
	v_add_co_u32 v3, vcc_lo, v3, v17
	v_add_co_ci_u32_e32 v5, vcc_lo, 0, v5, vcc_lo
	s_delay_alu instid0(VALU_DEP_2) | instskip(SKIP_1) | instid1(VALU_DEP_3)
	v_mul_lo_u32 v9, s23, v3
	v_mad_u64_u32 v[13:14], null, s22, v3, 0
	v_mul_lo_u32 v15, s22, v5
	s_delay_alu instid0(VALU_DEP_2) | instskip(NEXT) | instid1(VALU_DEP_2)
	v_sub_co_u32 v11, vcc_lo, v11, v13
	v_add3_u32 v9, v14, v15, v9
	s_delay_alu instid0(VALU_DEP_1) | instskip(NEXT) | instid1(VALU_DEP_1)
	v_sub_nc_u32_e32 v14, v7, v9
	v_subrev_co_ci_u32_e64 v13, s0, s23, v14, vcc_lo
	v_add_co_u32 v14, s0, v3, 2
	s_delay_alu instid0(VALU_DEP_1) | instskip(SKIP_3) | instid1(VALU_DEP_3)
	v_add_co_ci_u32_e64 v15, s0, 0, v5, s0
	v_sub_co_u32 v16, s0, v11, s22
	v_sub_co_ci_u32_e32 v7, vcc_lo, v7, v9, vcc_lo
	v_subrev_co_ci_u32_e64 v13, s0, 0, v13, s0
	v_cmp_le_u32_e32 vcc_lo, s22, v16
	s_delay_alu instid0(VALU_DEP_3) | instskip(SKIP_1) | instid1(VALU_DEP_4)
	v_cmp_eq_u32_e64 s0, s23, v7
	v_cndmask_b32_e64 v9, 0, -1, vcc_lo
	v_cmp_le_u32_e32 vcc_lo, s23, v13
	v_cndmask_b32_e64 v16, 0, -1, vcc_lo
	v_cmp_le_u32_e32 vcc_lo, s22, v11
	;; [unrolled: 2-line block ×3, first 2 shown]
	v_cndmask_b32_e64 v17, 0, -1, vcc_lo
	v_cmp_eq_u32_e32 vcc_lo, s23, v13
	s_delay_alu instid0(VALU_DEP_2) | instskip(SKIP_3) | instid1(VALU_DEP_3)
	v_cndmask_b32_e64 v7, v17, v11, s0
	v_cndmask_b32_e32 v9, v16, v9, vcc_lo
	v_add_co_u32 v13, vcc_lo, v3, 1
	v_add_co_ci_u32_e32 v16, vcc_lo, 0, v5, vcc_lo
	v_cmp_ne_u32_e32 vcc_lo, 0, v9
	s_delay_alu instid0(VALU_DEP_2) | instskip(NEXT) | instid1(VALU_DEP_4)
	v_cndmask_b32_e32 v9, v16, v15, vcc_lo
	v_cndmask_b32_e32 v11, v13, v14, vcc_lo
	v_cmp_ne_u32_e32 vcc_lo, 0, v7
	v_xor_b32_e32 v7, s20, v19
	s_delay_alu instid0(VALU_DEP_3) | instskip(SKIP_2) | instid1(VALU_DEP_3)
	v_cndmask_b32_e32 v3, v3, v11, vcc_lo
	v_cndmask_b32_e32 v5, v5, v9, vcc_lo
	v_xor_b32_e32 v9, s21, v19
	v_xor_b32_e32 v3, v3, v7
	s_delay_alu instid0(VALU_DEP_2) | instskip(NEXT) | instid1(VALU_DEP_2)
	v_xor_b32_e32 v5, v5, v9
	v_sub_co_u32 v14, vcc_lo, v3, v7
	s_delay_alu instid0(VALU_DEP_2)
	v_sub_co_ci_u32_e32 v15, vcc_lo, v5, v9, vcc_lo
.LBB88_38:                              ;   in Loop: Header=BB88_24 Depth=2
	s_and_not1_saveexec_b32 s0, s14
	s_cbranch_execz .LBB88_40
; %bb.39:                               ;   in Loop: Header=BB88_24 Depth=2
	v_cvt_f32_u32_e32 v3, s47
	s_sub_i32 s14, 0, s47
	v_mov_b32_e32 v15, v2
	s_delay_alu instid0(VALU_DEP_2) | instskip(SKIP_2) | instid1(VALU_DEP_1)
	v_rcp_iflag_f32_e32 v3, v3
	s_waitcnt_depctr 0xfff
	v_mul_f32_e32 v3, 0x4f7ffffe, v3
	v_cvt_u32_f32_e32 v3, v3
	s_delay_alu instid0(VALU_DEP_1) | instskip(NEXT) | instid1(VALU_DEP_1)
	v_mul_lo_u32 v5, s14, v3
	v_mul_hi_u32 v5, v3, v5
	s_delay_alu instid0(VALU_DEP_1) | instskip(NEXT) | instid1(VALU_DEP_1)
	v_add_nc_u32_e32 v3, v3, v5
	v_mul_hi_u32 v3, v12, v3
	s_delay_alu instid0(VALU_DEP_1) | instskip(SKIP_1) | instid1(VALU_DEP_2)
	v_mul_lo_u32 v5, v3, s47
	v_add_nc_u32_e32 v7, 1, v3
	v_sub_nc_u32_e32 v5, v12, v5
	s_delay_alu instid0(VALU_DEP_1) | instskip(SKIP_1) | instid1(VALU_DEP_4)
	v_cmp_le_u32_e32 vcc_lo, s47, v5
	v_subrev_nc_u32_e32 v9, s47, v5
	v_cndmask_b32_e32 v3, v3, v7, vcc_lo
	s_delay_alu instid0(VALU_DEP_1) | instskip(NEXT) | instid1(VALU_DEP_3)
	v_add_nc_u32_e32 v7, 1, v3
	v_cndmask_b32_e32 v5, v5, v9, vcc_lo
	s_delay_alu instid0(VALU_DEP_1) | instskip(NEXT) | instid1(VALU_DEP_3)
	v_cmp_le_u32_e32 vcc_lo, s47, v5
	v_cndmask_b32_e32 v14, v3, v7, vcc_lo
.LBB88_40:                              ;   in Loop: Header=BB88_24 Depth=2
	s_or_b32 exec_lo, exec_lo, s0
	s_add_u32 s20, s30, s18
	s_addc_u32 s21, s1, s19
	s_add_i32 s14, s16, 3
                                        ; implicit-def: $vgpr16_vgpr17
	s_delay_alu instid0(SALU_CYCLE_1)
	s_lshl_b64 s[18:19], s[14:15], 2
	s_mov_b32 s14, exec_lo
	s_add_u32 s22, s26, s18
	s_addc_u32 s23, s27, s19
	s_clause 0x1
	s_load_b32 s49, s[22:23], 0x0
	s_load_b32 s48, s[20:21], 0x0
	s_waitcnt lgkmcnt(0)
	s_ashr_i32 s0, s49, 31
	s_delay_alu instid0(SALU_CYCLE_1) | instskip(NEXT) | instid1(VALU_DEP_1)
	v_or_b32_e32 v3, s0, v15
	v_cmpx_ne_u64_e32 0, v[2:3]
	s_xor_b32 s14, exec_lo, s14
	s_cbranch_execz .LBB88_42
; %bb.41:                               ;   in Loop: Header=BB88_24 Depth=2
	s_add_u32 s22, s49, s0
	s_mov_b32 s20, s0
	s_mov_b32 s21, s0
	s_addc_u32 s23, s0, s0
	v_ashrrev_i32_e32 v21, 31, v15
	s_xor_b64 s[22:23], s[22:23], s[20:21]
	s_delay_alu instid0(SALU_CYCLE_1) | instskip(SKIP_3) | instid1(VALU_DEP_1)
	v_cvt_f32_u32_e32 v3, s22
	v_cvt_f32_u32_e32 v5, s23
	s_sub_u32 s0, 0, s22
	s_subb_u32 s17, 0, s23
	v_fmac_f32_e32 v3, 0x4f800000, v5
	s_delay_alu instid0(VALU_DEP_1) | instskip(SKIP_2) | instid1(VALU_DEP_1)
	v_rcp_f32_e32 v3, v3
	s_waitcnt_depctr 0xfff
	v_mul_f32_e32 v3, 0x5f7ffffc, v3
	v_mul_f32_e32 v5, 0x2f800000, v3
	s_delay_alu instid0(VALU_DEP_1) | instskip(NEXT) | instid1(VALU_DEP_1)
	v_trunc_f32_e32 v5, v5
	v_fmac_f32_e32 v3, 0xcf800000, v5
	v_cvt_u32_f32_e32 v5, v5
	s_delay_alu instid0(VALU_DEP_2) | instskip(NEXT) | instid1(VALU_DEP_2)
	v_cvt_u32_f32_e32 v3, v3
	v_mul_lo_u32 v7, s0, v5
	s_delay_alu instid0(VALU_DEP_2) | instskip(SKIP_1) | instid1(VALU_DEP_2)
	v_mul_hi_u32 v9, s0, v3
	v_mul_lo_u32 v11, s17, v3
	v_add_nc_u32_e32 v7, v9, v7
	v_mul_lo_u32 v9, s0, v3
	s_delay_alu instid0(VALU_DEP_2) | instskip(NEXT) | instid1(VALU_DEP_2)
	v_add_nc_u32_e32 v7, v7, v11
	v_mul_hi_u32 v11, v3, v9
	s_delay_alu instid0(VALU_DEP_2)
	v_mul_lo_u32 v13, v3, v7
	v_mul_hi_u32 v16, v3, v7
	v_mul_hi_u32 v17, v5, v9
	v_mul_lo_u32 v9, v5, v9
	v_mul_hi_u32 v18, v5, v7
	v_mul_lo_u32 v7, v5, v7
	v_add_co_u32 v11, vcc_lo, v11, v13
	v_add_co_ci_u32_e32 v13, vcc_lo, 0, v16, vcc_lo
	s_delay_alu instid0(VALU_DEP_2) | instskip(NEXT) | instid1(VALU_DEP_2)
	v_add_co_u32 v9, vcc_lo, v11, v9
	v_add_co_ci_u32_e32 v9, vcc_lo, v13, v17, vcc_lo
	v_add_co_ci_u32_e32 v11, vcc_lo, 0, v18, vcc_lo
	s_delay_alu instid0(VALU_DEP_2) | instskip(NEXT) | instid1(VALU_DEP_2)
	v_add_co_u32 v7, vcc_lo, v9, v7
	v_add_co_ci_u32_e32 v9, vcc_lo, 0, v11, vcc_lo
	s_delay_alu instid0(VALU_DEP_2) | instskip(NEXT) | instid1(VALU_DEP_2)
	v_add_co_u32 v3, vcc_lo, v3, v7
	v_add_co_ci_u32_e32 v5, vcc_lo, v5, v9, vcc_lo
	s_delay_alu instid0(VALU_DEP_2) | instskip(SKIP_1) | instid1(VALU_DEP_3)
	v_mul_hi_u32 v7, s0, v3
	v_mul_lo_u32 v11, s17, v3
	v_mul_lo_u32 v9, s0, v5
	s_delay_alu instid0(VALU_DEP_1) | instskip(SKIP_1) | instid1(VALU_DEP_2)
	v_add_nc_u32_e32 v7, v7, v9
	v_mul_lo_u32 v9, s0, v3
	v_add_nc_u32_e32 v7, v7, v11
	s_delay_alu instid0(VALU_DEP_2) | instskip(NEXT) | instid1(VALU_DEP_2)
	v_mul_hi_u32 v11, v3, v9
	v_mul_lo_u32 v13, v3, v7
	v_mul_hi_u32 v16, v3, v7
	v_mul_hi_u32 v17, v5, v9
	v_mul_lo_u32 v9, v5, v9
	v_mul_hi_u32 v18, v5, v7
	v_mul_lo_u32 v7, v5, v7
	v_add_co_u32 v11, vcc_lo, v11, v13
	v_add_co_ci_u32_e32 v13, vcc_lo, 0, v16, vcc_lo
	s_delay_alu instid0(VALU_DEP_2) | instskip(NEXT) | instid1(VALU_DEP_2)
	v_add_co_u32 v9, vcc_lo, v11, v9
	v_add_co_ci_u32_e32 v9, vcc_lo, v13, v17, vcc_lo
	v_add_co_ci_u32_e32 v11, vcc_lo, 0, v18, vcc_lo
	v_add_co_u32 v13, vcc_lo, v14, v21
	v_add_co_ci_u32_e32 v15, vcc_lo, v15, v21, vcc_lo
	s_delay_alu instid0(VALU_DEP_4) | instskip(NEXT) | instid1(VALU_DEP_4)
	v_add_co_u32 v7, vcc_lo, v9, v7
	v_add_co_ci_u32_e32 v9, vcc_lo, 0, v11, vcc_lo
	s_delay_alu instid0(VALU_DEP_4) | instskip(NEXT) | instid1(VALU_DEP_3)
	v_xor_b32_e32 v11, v13, v21
	v_add_co_u32 v3, vcc_lo, v3, v7
	s_delay_alu instid0(VALU_DEP_3) | instskip(SKIP_1) | instid1(VALU_DEP_3)
	v_add_co_ci_u32_e32 v5, vcc_lo, v5, v9, vcc_lo
	v_xor_b32_e32 v7, v15, v21
	v_mul_hi_u32 v9, v11, v3
	s_delay_alu instid0(VALU_DEP_3) | instskip(NEXT) | instid1(VALU_DEP_3)
	v_mad_u64_u32 v[15:16], null, v11, v5, 0
	v_mad_u64_u32 v[17:18], null, v7, v3, 0
	;; [unrolled: 1-line block ×3, first 2 shown]
	s_delay_alu instid0(VALU_DEP_3) | instskip(NEXT) | instid1(VALU_DEP_4)
	v_add_co_u32 v3, vcc_lo, v9, v15
	v_add_co_ci_u32_e32 v5, vcc_lo, 0, v16, vcc_lo
	s_delay_alu instid0(VALU_DEP_2) | instskip(NEXT) | instid1(VALU_DEP_2)
	v_add_co_u32 v3, vcc_lo, v3, v17
	v_add_co_ci_u32_e32 v3, vcc_lo, v5, v18, vcc_lo
	v_add_co_ci_u32_e32 v5, vcc_lo, 0, v20, vcc_lo
	s_delay_alu instid0(VALU_DEP_2) | instskip(NEXT) | instid1(VALU_DEP_2)
	v_add_co_u32 v3, vcc_lo, v3, v19
	v_add_co_ci_u32_e32 v5, vcc_lo, 0, v5, vcc_lo
	s_delay_alu instid0(VALU_DEP_2) | instskip(SKIP_1) | instid1(VALU_DEP_3)
	v_mul_lo_u32 v9, s23, v3
	v_mad_u64_u32 v[15:16], null, s22, v3, 0
	v_mul_lo_u32 v13, s22, v5
	s_delay_alu instid0(VALU_DEP_2) | instskip(NEXT) | instid1(VALU_DEP_2)
	v_sub_co_u32 v11, vcc_lo, v11, v15
	v_add3_u32 v9, v16, v13, v9
	s_delay_alu instid0(VALU_DEP_1) | instskip(NEXT) | instid1(VALU_DEP_1)
	v_sub_nc_u32_e32 v13, v7, v9
	v_subrev_co_ci_u32_e64 v13, s0, s23, v13, vcc_lo
	v_add_co_u32 v15, s0, v3, 2
	s_delay_alu instid0(VALU_DEP_1) | instskip(SKIP_3) | instid1(VALU_DEP_3)
	v_add_co_ci_u32_e64 v16, s0, 0, v5, s0
	v_sub_co_u32 v17, s0, v11, s22
	v_sub_co_ci_u32_e32 v7, vcc_lo, v7, v9, vcc_lo
	v_subrev_co_ci_u32_e64 v13, s0, 0, v13, s0
	v_cmp_le_u32_e32 vcc_lo, s22, v17
	s_delay_alu instid0(VALU_DEP_3) | instskip(SKIP_1) | instid1(VALU_DEP_4)
	v_cmp_eq_u32_e64 s0, s23, v7
	v_cndmask_b32_e64 v9, 0, -1, vcc_lo
	v_cmp_le_u32_e32 vcc_lo, s23, v13
	v_cndmask_b32_e64 v17, 0, -1, vcc_lo
	v_cmp_le_u32_e32 vcc_lo, s22, v11
	;; [unrolled: 2-line block ×3, first 2 shown]
	v_cndmask_b32_e64 v18, 0, -1, vcc_lo
	v_cmp_eq_u32_e32 vcc_lo, s23, v13
	s_delay_alu instid0(VALU_DEP_2) | instskip(SKIP_3) | instid1(VALU_DEP_3)
	v_cndmask_b32_e64 v7, v18, v11, s0
	v_cndmask_b32_e32 v9, v17, v9, vcc_lo
	v_add_co_u32 v13, vcc_lo, v3, 1
	v_add_co_ci_u32_e32 v17, vcc_lo, 0, v5, vcc_lo
	v_cmp_ne_u32_e32 vcc_lo, 0, v9
	s_delay_alu instid0(VALU_DEP_2) | instskip(NEXT) | instid1(VALU_DEP_4)
	v_cndmask_b32_e32 v9, v17, v16, vcc_lo
	v_cndmask_b32_e32 v11, v13, v15, vcc_lo
	v_cmp_ne_u32_e32 vcc_lo, 0, v7
	v_xor_b32_e32 v7, s20, v21
	s_delay_alu instid0(VALU_DEP_3) | instskip(SKIP_2) | instid1(VALU_DEP_3)
	v_cndmask_b32_e32 v3, v3, v11, vcc_lo
	v_cndmask_b32_e32 v5, v5, v9, vcc_lo
	v_xor_b32_e32 v9, s21, v21
	v_xor_b32_e32 v3, v3, v7
	s_delay_alu instid0(VALU_DEP_2) | instskip(NEXT) | instid1(VALU_DEP_2)
	v_xor_b32_e32 v5, v5, v9
	v_sub_co_u32 v16, vcc_lo, v3, v7
	s_delay_alu instid0(VALU_DEP_2)
	v_sub_co_ci_u32_e32 v17, vcc_lo, v5, v9, vcc_lo
.LBB88_42:                              ;   in Loop: Header=BB88_24 Depth=2
	s_and_not1_saveexec_b32 s0, s14
	s_cbranch_execz .LBB88_44
; %bb.43:                               ;   in Loop: Header=BB88_24 Depth=2
	v_cvt_f32_u32_e32 v3, s49
	s_sub_i32 s14, 0, s49
	v_mov_b32_e32 v17, v2
	s_delay_alu instid0(VALU_DEP_2) | instskip(SKIP_2) | instid1(VALU_DEP_1)
	v_rcp_iflag_f32_e32 v3, v3
	s_waitcnt_depctr 0xfff
	v_mul_f32_e32 v3, 0x4f7ffffe, v3
	v_cvt_u32_f32_e32 v3, v3
	s_delay_alu instid0(VALU_DEP_1) | instskip(NEXT) | instid1(VALU_DEP_1)
	v_mul_lo_u32 v5, s14, v3
	v_mul_hi_u32 v5, v3, v5
	s_delay_alu instid0(VALU_DEP_1) | instskip(NEXT) | instid1(VALU_DEP_1)
	v_add_nc_u32_e32 v3, v3, v5
	v_mul_hi_u32 v3, v14, v3
	s_delay_alu instid0(VALU_DEP_1) | instskip(SKIP_1) | instid1(VALU_DEP_2)
	v_mul_lo_u32 v5, v3, s49
	v_add_nc_u32_e32 v7, 1, v3
	v_sub_nc_u32_e32 v5, v14, v5
	s_delay_alu instid0(VALU_DEP_1) | instskip(SKIP_1) | instid1(VALU_DEP_4)
	v_cmp_le_u32_e32 vcc_lo, s49, v5
	v_subrev_nc_u32_e32 v9, s49, v5
	v_cndmask_b32_e32 v3, v3, v7, vcc_lo
	s_delay_alu instid0(VALU_DEP_1) | instskip(NEXT) | instid1(VALU_DEP_3)
	v_add_nc_u32_e32 v7, 1, v3
	v_cndmask_b32_e32 v5, v5, v9, vcc_lo
	s_delay_alu instid0(VALU_DEP_1) | instskip(NEXT) | instid1(VALU_DEP_3)
	v_cmp_le_u32_e32 vcc_lo, s49, v5
	v_cndmask_b32_e32 v16, v3, v7, vcc_lo
.LBB88_44:                              ;   in Loop: Header=BB88_24 Depth=2
	s_or_b32 exec_lo, exec_lo, s0
	s_add_u32 s20, s30, s18
	s_addc_u32 s21, s1, s19
	s_add_i32 s14, s16, 2
                                        ; implicit-def: $vgpr18_vgpr19
	s_delay_alu instid0(SALU_CYCLE_1)
	s_lshl_b64 s[18:19], s[14:15], 2
	s_mov_b32 s14, exec_lo
	s_add_u32 s22, s26, s18
	s_addc_u32 s23, s27, s19
	s_clause 0x1
	s_load_b32 s51, s[22:23], 0x0
	s_load_b32 s50, s[20:21], 0x0
	s_waitcnt lgkmcnt(0)
	s_ashr_i32 s0, s51, 31
	s_delay_alu instid0(SALU_CYCLE_1) | instskip(NEXT) | instid1(VALU_DEP_1)
	v_or_b32_e32 v3, s0, v17
	v_cmpx_ne_u64_e32 0, v[2:3]
	s_xor_b32 s14, exec_lo, s14
	s_cbranch_execz .LBB88_46
; %bb.45:                               ;   in Loop: Header=BB88_24 Depth=2
	s_add_u32 s22, s51, s0
	s_mov_b32 s20, s0
	s_mov_b32 s21, s0
	s_addc_u32 s23, s0, s0
	v_ashrrev_i32_e32 v23, 31, v17
	s_xor_b64 s[22:23], s[22:23], s[20:21]
	s_delay_alu instid0(SALU_CYCLE_1) | instskip(SKIP_3) | instid1(VALU_DEP_1)
	v_cvt_f32_u32_e32 v3, s22
	v_cvt_f32_u32_e32 v5, s23
	s_sub_u32 s0, 0, s22
	s_subb_u32 s17, 0, s23
	v_fmac_f32_e32 v3, 0x4f800000, v5
	s_delay_alu instid0(VALU_DEP_1) | instskip(SKIP_2) | instid1(VALU_DEP_1)
	v_rcp_f32_e32 v3, v3
	s_waitcnt_depctr 0xfff
	v_mul_f32_e32 v3, 0x5f7ffffc, v3
	v_mul_f32_e32 v5, 0x2f800000, v3
	s_delay_alu instid0(VALU_DEP_1) | instskip(NEXT) | instid1(VALU_DEP_1)
	v_trunc_f32_e32 v5, v5
	v_fmac_f32_e32 v3, 0xcf800000, v5
	v_cvt_u32_f32_e32 v5, v5
	s_delay_alu instid0(VALU_DEP_2) | instskip(NEXT) | instid1(VALU_DEP_2)
	v_cvt_u32_f32_e32 v3, v3
	v_mul_lo_u32 v7, s0, v5
	s_delay_alu instid0(VALU_DEP_2) | instskip(SKIP_1) | instid1(VALU_DEP_2)
	v_mul_hi_u32 v9, s0, v3
	v_mul_lo_u32 v11, s17, v3
	v_add_nc_u32_e32 v7, v9, v7
	v_mul_lo_u32 v9, s0, v3
	s_delay_alu instid0(VALU_DEP_2) | instskip(NEXT) | instid1(VALU_DEP_2)
	v_add_nc_u32_e32 v7, v7, v11
	v_mul_hi_u32 v11, v3, v9
	s_delay_alu instid0(VALU_DEP_2)
	v_mul_lo_u32 v13, v3, v7
	v_mul_hi_u32 v15, v3, v7
	v_mul_hi_u32 v18, v5, v9
	v_mul_lo_u32 v9, v5, v9
	v_mul_hi_u32 v19, v5, v7
	v_mul_lo_u32 v7, v5, v7
	v_add_co_u32 v11, vcc_lo, v11, v13
	v_add_co_ci_u32_e32 v13, vcc_lo, 0, v15, vcc_lo
	s_delay_alu instid0(VALU_DEP_2) | instskip(NEXT) | instid1(VALU_DEP_2)
	v_add_co_u32 v9, vcc_lo, v11, v9
	v_add_co_ci_u32_e32 v9, vcc_lo, v13, v18, vcc_lo
	v_add_co_ci_u32_e32 v11, vcc_lo, 0, v19, vcc_lo
	s_delay_alu instid0(VALU_DEP_2) | instskip(NEXT) | instid1(VALU_DEP_2)
	v_add_co_u32 v7, vcc_lo, v9, v7
	v_add_co_ci_u32_e32 v9, vcc_lo, 0, v11, vcc_lo
	s_delay_alu instid0(VALU_DEP_2) | instskip(NEXT) | instid1(VALU_DEP_2)
	v_add_co_u32 v3, vcc_lo, v3, v7
	v_add_co_ci_u32_e32 v5, vcc_lo, v5, v9, vcc_lo
	s_delay_alu instid0(VALU_DEP_2) | instskip(SKIP_1) | instid1(VALU_DEP_3)
	v_mul_hi_u32 v7, s0, v3
	v_mul_lo_u32 v11, s17, v3
	v_mul_lo_u32 v9, s0, v5
	s_delay_alu instid0(VALU_DEP_1) | instskip(SKIP_1) | instid1(VALU_DEP_2)
	v_add_nc_u32_e32 v7, v7, v9
	v_mul_lo_u32 v9, s0, v3
	v_add_nc_u32_e32 v7, v7, v11
	s_delay_alu instid0(VALU_DEP_2) | instskip(NEXT) | instid1(VALU_DEP_2)
	v_mul_hi_u32 v11, v3, v9
	v_mul_lo_u32 v13, v3, v7
	v_mul_hi_u32 v15, v3, v7
	v_mul_hi_u32 v18, v5, v9
	v_mul_lo_u32 v9, v5, v9
	v_mul_hi_u32 v19, v5, v7
	v_mul_lo_u32 v7, v5, v7
	v_add_co_u32 v11, vcc_lo, v11, v13
	v_add_co_ci_u32_e32 v13, vcc_lo, 0, v15, vcc_lo
	s_delay_alu instid0(VALU_DEP_2) | instskip(NEXT) | instid1(VALU_DEP_2)
	v_add_co_u32 v9, vcc_lo, v11, v9
	v_add_co_ci_u32_e32 v9, vcc_lo, v13, v18, vcc_lo
	v_add_co_ci_u32_e32 v11, vcc_lo, 0, v19, vcc_lo
	v_add_co_u32 v13, vcc_lo, v16, v23
	v_add_co_ci_u32_e32 v15, vcc_lo, v17, v23, vcc_lo
	s_delay_alu instid0(VALU_DEP_4) | instskip(NEXT) | instid1(VALU_DEP_4)
	v_add_co_u32 v7, vcc_lo, v9, v7
	v_add_co_ci_u32_e32 v9, vcc_lo, 0, v11, vcc_lo
	s_delay_alu instid0(VALU_DEP_4) | instskip(NEXT) | instid1(VALU_DEP_3)
	v_xor_b32_e32 v11, v13, v23
	v_add_co_u32 v3, vcc_lo, v3, v7
	s_delay_alu instid0(VALU_DEP_3) | instskip(SKIP_1) | instid1(VALU_DEP_3)
	v_add_co_ci_u32_e32 v5, vcc_lo, v5, v9, vcc_lo
	v_xor_b32_e32 v7, v15, v23
	v_mul_hi_u32 v9, v11, v3
	s_delay_alu instid0(VALU_DEP_3) | instskip(NEXT) | instid1(VALU_DEP_3)
	v_mad_u64_u32 v[17:18], null, v11, v5, 0
	v_mad_u64_u32 v[19:20], null, v7, v3, 0
	;; [unrolled: 1-line block ×3, first 2 shown]
	s_delay_alu instid0(VALU_DEP_3) | instskip(NEXT) | instid1(VALU_DEP_4)
	v_add_co_u32 v3, vcc_lo, v9, v17
	v_add_co_ci_u32_e32 v5, vcc_lo, 0, v18, vcc_lo
	s_delay_alu instid0(VALU_DEP_2) | instskip(NEXT) | instid1(VALU_DEP_2)
	v_add_co_u32 v3, vcc_lo, v3, v19
	v_add_co_ci_u32_e32 v3, vcc_lo, v5, v20, vcc_lo
	v_add_co_ci_u32_e32 v5, vcc_lo, 0, v22, vcc_lo
	s_delay_alu instid0(VALU_DEP_2) | instskip(NEXT) | instid1(VALU_DEP_2)
	v_add_co_u32 v3, vcc_lo, v3, v21
	v_add_co_ci_u32_e32 v5, vcc_lo, 0, v5, vcc_lo
	s_delay_alu instid0(VALU_DEP_2) | instskip(SKIP_1) | instid1(VALU_DEP_3)
	v_mul_lo_u32 v9, s23, v3
	v_mad_u64_u32 v[17:18], null, s22, v3, 0
	v_mul_lo_u32 v13, s22, v5
	s_delay_alu instid0(VALU_DEP_2) | instskip(NEXT) | instid1(VALU_DEP_2)
	v_sub_co_u32 v11, vcc_lo, v11, v17
	v_add3_u32 v9, v18, v13, v9
	s_delay_alu instid0(VALU_DEP_1) | instskip(NEXT) | instid1(VALU_DEP_1)
	v_sub_nc_u32_e32 v13, v7, v9
	v_subrev_co_ci_u32_e64 v13, s0, s23, v13, vcc_lo
	v_add_co_u32 v15, s0, v3, 2
	s_delay_alu instid0(VALU_DEP_1) | instskip(SKIP_3) | instid1(VALU_DEP_3)
	v_add_co_ci_u32_e64 v17, s0, 0, v5, s0
	v_sub_co_u32 v18, s0, v11, s22
	v_sub_co_ci_u32_e32 v7, vcc_lo, v7, v9, vcc_lo
	v_subrev_co_ci_u32_e64 v13, s0, 0, v13, s0
	v_cmp_le_u32_e32 vcc_lo, s22, v18
	s_delay_alu instid0(VALU_DEP_3) | instskip(SKIP_1) | instid1(VALU_DEP_4)
	v_cmp_eq_u32_e64 s0, s23, v7
	v_cndmask_b32_e64 v9, 0, -1, vcc_lo
	v_cmp_le_u32_e32 vcc_lo, s23, v13
	v_cndmask_b32_e64 v18, 0, -1, vcc_lo
	v_cmp_le_u32_e32 vcc_lo, s22, v11
	;; [unrolled: 2-line block ×3, first 2 shown]
	v_cndmask_b32_e64 v19, 0, -1, vcc_lo
	v_cmp_eq_u32_e32 vcc_lo, s23, v13
	s_delay_alu instid0(VALU_DEP_2) | instskip(SKIP_3) | instid1(VALU_DEP_3)
	v_cndmask_b32_e64 v7, v19, v11, s0
	v_cndmask_b32_e32 v9, v18, v9, vcc_lo
	v_add_co_u32 v13, vcc_lo, v3, 1
	v_add_co_ci_u32_e32 v18, vcc_lo, 0, v5, vcc_lo
	v_cmp_ne_u32_e32 vcc_lo, 0, v9
	s_delay_alu instid0(VALU_DEP_2) | instskip(NEXT) | instid1(VALU_DEP_4)
	v_cndmask_b32_e32 v9, v18, v17, vcc_lo
	v_cndmask_b32_e32 v11, v13, v15, vcc_lo
	v_cmp_ne_u32_e32 vcc_lo, 0, v7
	v_xor_b32_e32 v7, s20, v23
	s_delay_alu instid0(VALU_DEP_3) | instskip(SKIP_2) | instid1(VALU_DEP_3)
	v_cndmask_b32_e32 v3, v3, v11, vcc_lo
	v_cndmask_b32_e32 v5, v5, v9, vcc_lo
	v_xor_b32_e32 v9, s21, v23
	v_xor_b32_e32 v3, v3, v7
	s_delay_alu instid0(VALU_DEP_2) | instskip(NEXT) | instid1(VALU_DEP_2)
	v_xor_b32_e32 v5, v5, v9
	v_sub_co_u32 v18, vcc_lo, v3, v7
	s_delay_alu instid0(VALU_DEP_2)
	v_sub_co_ci_u32_e32 v19, vcc_lo, v5, v9, vcc_lo
.LBB88_46:                              ;   in Loop: Header=BB88_24 Depth=2
	s_and_not1_saveexec_b32 s0, s14
	s_cbranch_execz .LBB88_48
; %bb.47:                               ;   in Loop: Header=BB88_24 Depth=2
	v_cvt_f32_u32_e32 v3, s51
	s_sub_i32 s14, 0, s51
	v_mov_b32_e32 v19, v2
	s_delay_alu instid0(VALU_DEP_2) | instskip(SKIP_2) | instid1(VALU_DEP_1)
	v_rcp_iflag_f32_e32 v3, v3
	s_waitcnt_depctr 0xfff
	v_mul_f32_e32 v3, 0x4f7ffffe, v3
	v_cvt_u32_f32_e32 v3, v3
	s_delay_alu instid0(VALU_DEP_1) | instskip(NEXT) | instid1(VALU_DEP_1)
	v_mul_lo_u32 v5, s14, v3
	v_mul_hi_u32 v5, v3, v5
	s_delay_alu instid0(VALU_DEP_1) | instskip(NEXT) | instid1(VALU_DEP_1)
	v_add_nc_u32_e32 v3, v3, v5
	v_mul_hi_u32 v3, v16, v3
	s_delay_alu instid0(VALU_DEP_1) | instskip(SKIP_1) | instid1(VALU_DEP_2)
	v_mul_lo_u32 v5, v3, s51
	v_add_nc_u32_e32 v7, 1, v3
	v_sub_nc_u32_e32 v5, v16, v5
	s_delay_alu instid0(VALU_DEP_1) | instskip(SKIP_1) | instid1(VALU_DEP_4)
	v_cmp_le_u32_e32 vcc_lo, s51, v5
	v_subrev_nc_u32_e32 v9, s51, v5
	v_cndmask_b32_e32 v3, v3, v7, vcc_lo
	s_delay_alu instid0(VALU_DEP_1) | instskip(NEXT) | instid1(VALU_DEP_3)
	v_add_nc_u32_e32 v7, 1, v3
	v_cndmask_b32_e32 v5, v5, v9, vcc_lo
	s_delay_alu instid0(VALU_DEP_1) | instskip(NEXT) | instid1(VALU_DEP_3)
	v_cmp_le_u32_e32 vcc_lo, s51, v5
	v_cndmask_b32_e32 v18, v3, v7, vcc_lo
.LBB88_48:                              ;   in Loop: Header=BB88_24 Depth=2
	s_or_b32 exec_lo, exec_lo, s0
	s_add_u32 s20, s30, s18
	s_addc_u32 s21, s1, s19
	s_add_i32 s14, s16, 1
	s_mov_b32 s17, exec_lo
	s_lshl_b64 s[18:19], s[14:15], 2
                                        ; implicit-def: $vgpr20_vgpr21
	s_delay_alu instid0(SALU_CYCLE_1)
	s_add_u32 s22, s26, s18
	s_addc_u32 s23, s27, s19
	s_clause 0x1
	s_load_b32 s52, s[22:23], 0x0
	s_load_b32 s14, s[20:21], 0x0
	s_waitcnt lgkmcnt(0)
	s_ashr_i32 s0, s52, 31
	s_delay_alu instid0(SALU_CYCLE_1) | instskip(NEXT) | instid1(VALU_DEP_1)
	v_or_b32_e32 v3, s0, v19
	v_cmpx_ne_u64_e32 0, v[2:3]
	s_xor_b32 s17, exec_lo, s17
	s_cbranch_execz .LBB88_50
; %bb.49:                               ;   in Loop: Header=BB88_24 Depth=2
	s_add_u32 s22, s52, s0
	s_mov_b32 s20, s0
	s_mov_b32 s21, s0
	s_addc_u32 s23, s0, s0
	s_delay_alu instid0(SALU_CYCLE_1) | instskip(NEXT) | instid1(SALU_CYCLE_1)
	s_xor_b64 s[22:23], s[22:23], s[20:21]
	v_cvt_f32_u32_e32 v3, s22
	v_cvt_f32_u32_e32 v5, s23
	s_sub_u32 s0, 0, s22
	s_subb_u32 s53, 0, s23
	s_delay_alu instid0(VALU_DEP_1) | instskip(NEXT) | instid1(VALU_DEP_1)
	v_fmac_f32_e32 v3, 0x4f800000, v5
	v_rcp_f32_e32 v3, v3
	s_waitcnt_depctr 0xfff
	v_mul_f32_e32 v3, 0x5f7ffffc, v3
	s_delay_alu instid0(VALU_DEP_1) | instskip(NEXT) | instid1(VALU_DEP_1)
	v_mul_f32_e32 v5, 0x2f800000, v3
	v_trunc_f32_e32 v5, v5
	s_delay_alu instid0(VALU_DEP_1) | instskip(SKIP_1) | instid1(VALU_DEP_2)
	v_fmac_f32_e32 v3, 0xcf800000, v5
	v_cvt_u32_f32_e32 v5, v5
	v_cvt_u32_f32_e32 v3, v3
	s_delay_alu instid0(VALU_DEP_2) | instskip(NEXT) | instid1(VALU_DEP_2)
	v_mul_lo_u32 v7, s0, v5
	v_mul_hi_u32 v9, s0, v3
	v_mul_lo_u32 v11, s53, v3
	s_delay_alu instid0(VALU_DEP_2) | instskip(SKIP_1) | instid1(VALU_DEP_2)
	v_add_nc_u32_e32 v7, v9, v7
	v_mul_lo_u32 v9, s0, v3
	v_add_nc_u32_e32 v7, v7, v11
	s_delay_alu instid0(VALU_DEP_2) | instskip(NEXT) | instid1(VALU_DEP_2)
	v_mul_hi_u32 v11, v3, v9
	v_mul_lo_u32 v13, v3, v7
	v_mul_hi_u32 v15, v3, v7
	v_mul_hi_u32 v17, v5, v9
	v_mul_lo_u32 v9, v5, v9
	v_mul_hi_u32 v20, v5, v7
	v_mul_lo_u32 v7, v5, v7
	v_add_co_u32 v11, vcc_lo, v11, v13
	v_add_co_ci_u32_e32 v13, vcc_lo, 0, v15, vcc_lo
	s_delay_alu instid0(VALU_DEP_2) | instskip(NEXT) | instid1(VALU_DEP_2)
	v_add_co_u32 v9, vcc_lo, v11, v9
	v_add_co_ci_u32_e32 v9, vcc_lo, v13, v17, vcc_lo
	v_add_co_ci_u32_e32 v11, vcc_lo, 0, v20, vcc_lo
	v_ashrrev_i32_e32 v17, 31, v19
	s_delay_alu instid0(VALU_DEP_3) | instskip(NEXT) | instid1(VALU_DEP_3)
	v_add_co_u32 v7, vcc_lo, v9, v7
	v_add_co_ci_u32_e32 v9, vcc_lo, 0, v11, vcc_lo
	s_delay_alu instid0(VALU_DEP_2) | instskip(NEXT) | instid1(VALU_DEP_2)
	v_add_co_u32 v3, vcc_lo, v3, v7
	v_add_co_ci_u32_e32 v5, vcc_lo, v5, v9, vcc_lo
	s_delay_alu instid0(VALU_DEP_2) | instskip(SKIP_1) | instid1(VALU_DEP_3)
	v_mul_hi_u32 v7, s0, v3
	v_mul_lo_u32 v11, s53, v3
	v_mul_lo_u32 v9, s0, v5
	s_delay_alu instid0(VALU_DEP_1) | instskip(SKIP_1) | instid1(VALU_DEP_2)
	v_add_nc_u32_e32 v7, v7, v9
	v_mul_lo_u32 v9, s0, v3
	v_add_nc_u32_e32 v7, v7, v11
	s_delay_alu instid0(VALU_DEP_2) | instskip(NEXT) | instid1(VALU_DEP_2)
	v_mul_hi_u32 v11, v3, v9
	v_mul_lo_u32 v13, v3, v7
	v_mul_hi_u32 v15, v3, v7
	v_mul_hi_u32 v20, v5, v9
	v_mul_lo_u32 v9, v5, v9
	v_mul_hi_u32 v21, v5, v7
	v_mul_lo_u32 v7, v5, v7
	v_add_co_u32 v11, vcc_lo, v11, v13
	v_add_co_ci_u32_e32 v13, vcc_lo, 0, v15, vcc_lo
	s_delay_alu instid0(VALU_DEP_2) | instskip(NEXT) | instid1(VALU_DEP_2)
	v_add_co_u32 v9, vcc_lo, v11, v9
	v_add_co_ci_u32_e32 v9, vcc_lo, v13, v20, vcc_lo
	v_add_co_ci_u32_e32 v11, vcc_lo, 0, v21, vcc_lo
	v_add_co_u32 v13, vcc_lo, v18, v17
	v_add_co_ci_u32_e32 v15, vcc_lo, v19, v17, vcc_lo
	s_delay_alu instid0(VALU_DEP_4) | instskip(NEXT) | instid1(VALU_DEP_4)
	v_add_co_u32 v7, vcc_lo, v9, v7
	v_add_co_ci_u32_e32 v9, vcc_lo, 0, v11, vcc_lo
	s_delay_alu instid0(VALU_DEP_4) | instskip(NEXT) | instid1(VALU_DEP_3)
	v_xor_b32_e32 v11, v13, v17
	v_add_co_u32 v3, vcc_lo, v3, v7
	s_delay_alu instid0(VALU_DEP_3) | instskip(SKIP_1) | instid1(VALU_DEP_3)
	v_add_co_ci_u32_e32 v5, vcc_lo, v5, v9, vcc_lo
	v_xor_b32_e32 v7, v15, v17
	v_mul_hi_u32 v9, v11, v3
	s_delay_alu instid0(VALU_DEP_3) | instskip(NEXT) | instid1(VALU_DEP_3)
	v_mad_u64_u32 v[19:20], null, v11, v5, 0
	v_mad_u64_u32 v[21:22], null, v7, v3, 0
	;; [unrolled: 1-line block ×3, first 2 shown]
	s_delay_alu instid0(VALU_DEP_3) | instskip(NEXT) | instid1(VALU_DEP_4)
	v_add_co_u32 v3, vcc_lo, v9, v19
	v_add_co_ci_u32_e32 v5, vcc_lo, 0, v20, vcc_lo
	s_delay_alu instid0(VALU_DEP_2) | instskip(NEXT) | instid1(VALU_DEP_2)
	v_add_co_u32 v3, vcc_lo, v3, v21
	v_add_co_ci_u32_e32 v3, vcc_lo, v5, v22, vcc_lo
	v_add_co_ci_u32_e32 v5, vcc_lo, 0, v28, vcc_lo
	s_delay_alu instid0(VALU_DEP_2) | instskip(NEXT) | instid1(VALU_DEP_2)
	v_add_co_u32 v3, vcc_lo, v3, v27
	v_add_co_ci_u32_e32 v5, vcc_lo, 0, v5, vcc_lo
	s_delay_alu instid0(VALU_DEP_2) | instskip(SKIP_1) | instid1(VALU_DEP_3)
	v_mul_lo_u32 v9, s23, v3
	v_mad_u64_u32 v[19:20], null, s22, v3, 0
	v_mul_lo_u32 v13, s22, v5
	s_delay_alu instid0(VALU_DEP_2) | instskip(NEXT) | instid1(VALU_DEP_2)
	v_sub_co_u32 v11, vcc_lo, v11, v19
	v_add3_u32 v9, v20, v13, v9
	s_delay_alu instid0(VALU_DEP_1) | instskip(NEXT) | instid1(VALU_DEP_1)
	v_sub_nc_u32_e32 v13, v7, v9
	v_subrev_co_ci_u32_e64 v13, s0, s23, v13, vcc_lo
	v_add_co_u32 v15, s0, v3, 2
	s_delay_alu instid0(VALU_DEP_1) | instskip(SKIP_3) | instid1(VALU_DEP_3)
	v_add_co_ci_u32_e64 v19, s0, 0, v5, s0
	v_sub_co_u32 v20, s0, v11, s22
	v_sub_co_ci_u32_e32 v7, vcc_lo, v7, v9, vcc_lo
	v_subrev_co_ci_u32_e64 v13, s0, 0, v13, s0
	v_cmp_le_u32_e32 vcc_lo, s22, v20
	s_delay_alu instid0(VALU_DEP_3) | instskip(SKIP_1) | instid1(VALU_DEP_4)
	v_cmp_eq_u32_e64 s0, s23, v7
	v_cndmask_b32_e64 v9, 0, -1, vcc_lo
	v_cmp_le_u32_e32 vcc_lo, s23, v13
	v_cndmask_b32_e64 v20, 0, -1, vcc_lo
	v_cmp_le_u32_e32 vcc_lo, s22, v11
	;; [unrolled: 2-line block ×3, first 2 shown]
	v_cndmask_b32_e64 v21, 0, -1, vcc_lo
	v_cmp_eq_u32_e32 vcc_lo, s23, v13
	s_delay_alu instid0(VALU_DEP_2) | instskip(SKIP_3) | instid1(VALU_DEP_3)
	v_cndmask_b32_e64 v7, v21, v11, s0
	v_cndmask_b32_e32 v9, v20, v9, vcc_lo
	v_add_co_u32 v13, vcc_lo, v3, 1
	v_add_co_ci_u32_e32 v20, vcc_lo, 0, v5, vcc_lo
	v_cmp_ne_u32_e32 vcc_lo, 0, v9
	s_delay_alu instid0(VALU_DEP_2) | instskip(NEXT) | instid1(VALU_DEP_4)
	v_cndmask_b32_e32 v9, v20, v19, vcc_lo
	v_cndmask_b32_e32 v11, v13, v15, vcc_lo
	v_cmp_ne_u32_e32 vcc_lo, 0, v7
	v_xor_b32_e32 v7, s20, v17
	s_delay_alu instid0(VALU_DEP_3) | instskip(SKIP_2) | instid1(VALU_DEP_3)
	v_cndmask_b32_e32 v3, v3, v11, vcc_lo
	v_cndmask_b32_e32 v5, v5, v9, vcc_lo
	v_xor_b32_e32 v9, s21, v17
	v_xor_b32_e32 v3, v3, v7
	s_delay_alu instid0(VALU_DEP_2) | instskip(NEXT) | instid1(VALU_DEP_2)
	v_xor_b32_e32 v5, v5, v9
	v_sub_co_u32 v20, vcc_lo, v3, v7
	s_delay_alu instid0(VALU_DEP_2)
	v_sub_co_ci_u32_e32 v21, vcc_lo, v5, v9, vcc_lo
.LBB88_50:                              ;   in Loop: Header=BB88_24 Depth=2
	s_and_not1_saveexec_b32 s0, s17
	s_cbranch_execz .LBB88_52
; %bb.51:                               ;   in Loop: Header=BB88_24 Depth=2
	v_cvt_f32_u32_e32 v3, s52
	s_sub_i32 s17, 0, s52
	v_mov_b32_e32 v21, v2
	s_delay_alu instid0(VALU_DEP_2) | instskip(SKIP_2) | instid1(VALU_DEP_1)
	v_rcp_iflag_f32_e32 v3, v3
	s_waitcnt_depctr 0xfff
	v_mul_f32_e32 v3, 0x4f7ffffe, v3
	v_cvt_u32_f32_e32 v3, v3
	s_delay_alu instid0(VALU_DEP_1) | instskip(NEXT) | instid1(VALU_DEP_1)
	v_mul_lo_u32 v5, s17, v3
	v_mul_hi_u32 v5, v3, v5
	s_delay_alu instid0(VALU_DEP_1) | instskip(NEXT) | instid1(VALU_DEP_1)
	v_add_nc_u32_e32 v3, v3, v5
	v_mul_hi_u32 v3, v18, v3
	s_delay_alu instid0(VALU_DEP_1) | instskip(SKIP_1) | instid1(VALU_DEP_2)
	v_mul_lo_u32 v5, v3, s52
	v_add_nc_u32_e32 v7, 1, v3
	v_sub_nc_u32_e32 v5, v18, v5
	s_delay_alu instid0(VALU_DEP_1) | instskip(SKIP_1) | instid1(VALU_DEP_4)
	v_cmp_le_u32_e32 vcc_lo, s52, v5
	v_subrev_nc_u32_e32 v9, s52, v5
	v_cndmask_b32_e32 v3, v3, v7, vcc_lo
	s_delay_alu instid0(VALU_DEP_1) | instskip(NEXT) | instid1(VALU_DEP_3)
	v_add_nc_u32_e32 v7, 1, v3
	v_cndmask_b32_e32 v5, v5, v9, vcc_lo
	s_delay_alu instid0(VALU_DEP_1) | instskip(NEXT) | instid1(VALU_DEP_3)
	v_cmp_le_u32_e32 vcc_lo, s52, v5
	v_cndmask_b32_e32 v20, v3, v7, vcc_lo
.LBB88_52:                              ;   in Loop: Header=BB88_24 Depth=2
	s_or_b32 exec_lo, exec_lo, s0
	s_mov_b32 s17, s15
	s_add_u32 s20, s30, s18
	s_addc_u32 s21, s1, s19
	s_lshl_b64 s[18:19], s[16:17], 2
                                        ; implicit-def: $vgpr22_vgpr23
	s_delay_alu instid0(SALU_CYCLE_1)
	s_add_u32 s22, s26, s18
	s_addc_u32 s23, s27, s19
	s_clause 0x1
	s_load_b32 s53, s[22:23], 0x0
	s_load_b32 s17, s[20:21], 0x0
	s_mov_b32 s20, exec_lo
	s_waitcnt lgkmcnt(0)
	s_ashr_i32 s0, s53, 31
	s_delay_alu instid0(SALU_CYCLE_1) | instskip(NEXT) | instid1(VALU_DEP_1)
	v_or_b32_e32 v3, s0, v21
	v_cmpx_ne_u64_e32 0, v[2:3]
	s_xor_b32 s54, exec_lo, s20
	s_cbranch_execz .LBB88_54
; %bb.53:                               ;   in Loop: Header=BB88_24 Depth=2
	s_add_u32 s22, s53, s0
	s_mov_b32 s20, s0
	s_mov_b32 s21, s0
	s_addc_u32 s23, s0, s0
	s_delay_alu instid0(SALU_CYCLE_1) | instskip(NEXT) | instid1(SALU_CYCLE_1)
	s_xor_b64 s[22:23], s[22:23], s[20:21]
	v_cvt_f32_u32_e32 v3, s22
	v_cvt_f32_u32_e32 v5, s23
	s_sub_u32 s0, 0, s22
	s_subb_u32 s55, 0, s23
	s_delay_alu instid0(VALU_DEP_1) | instskip(NEXT) | instid1(VALU_DEP_1)
	v_fmac_f32_e32 v3, 0x4f800000, v5
	v_rcp_f32_e32 v3, v3
	s_waitcnt_depctr 0xfff
	v_mul_f32_e32 v3, 0x5f7ffffc, v3
	s_delay_alu instid0(VALU_DEP_1) | instskip(NEXT) | instid1(VALU_DEP_1)
	v_mul_f32_e32 v5, 0x2f800000, v3
	v_trunc_f32_e32 v5, v5
	s_delay_alu instid0(VALU_DEP_1) | instskip(SKIP_1) | instid1(VALU_DEP_2)
	v_fmac_f32_e32 v3, 0xcf800000, v5
	v_cvt_u32_f32_e32 v5, v5
	v_cvt_u32_f32_e32 v3, v3
	s_delay_alu instid0(VALU_DEP_2) | instskip(NEXT) | instid1(VALU_DEP_2)
	v_mul_lo_u32 v7, s0, v5
	v_mul_hi_u32 v9, s0, v3
	v_mul_lo_u32 v11, s55, v3
	s_delay_alu instid0(VALU_DEP_2) | instskip(SKIP_1) | instid1(VALU_DEP_2)
	v_add_nc_u32_e32 v7, v9, v7
	v_mul_lo_u32 v9, s0, v3
	v_add_nc_u32_e32 v7, v7, v11
	s_delay_alu instid0(VALU_DEP_2) | instskip(NEXT) | instid1(VALU_DEP_2)
	v_mul_hi_u32 v11, v3, v9
	v_mul_lo_u32 v13, v3, v7
	v_mul_hi_u32 v15, v3, v7
	v_mul_hi_u32 v17, v5, v9
	v_mul_lo_u32 v9, v5, v9
	v_mul_hi_u32 v19, v5, v7
	v_mul_lo_u32 v7, v5, v7
	v_add_co_u32 v11, vcc_lo, v11, v13
	v_add_co_ci_u32_e32 v13, vcc_lo, 0, v15, vcc_lo
	s_delay_alu instid0(VALU_DEP_2) | instskip(NEXT) | instid1(VALU_DEP_2)
	v_add_co_u32 v9, vcc_lo, v11, v9
	v_add_co_ci_u32_e32 v9, vcc_lo, v13, v17, vcc_lo
	v_add_co_ci_u32_e32 v11, vcc_lo, 0, v19, vcc_lo
	v_ashrrev_i32_e32 v17, 31, v21
	s_delay_alu instid0(VALU_DEP_3) | instskip(NEXT) | instid1(VALU_DEP_3)
	v_add_co_u32 v7, vcc_lo, v9, v7
	v_add_co_ci_u32_e32 v9, vcc_lo, 0, v11, vcc_lo
	s_delay_alu instid0(VALU_DEP_2) | instskip(NEXT) | instid1(VALU_DEP_2)
	v_add_co_u32 v3, vcc_lo, v3, v7
	v_add_co_ci_u32_e32 v5, vcc_lo, v5, v9, vcc_lo
	s_delay_alu instid0(VALU_DEP_2) | instskip(SKIP_1) | instid1(VALU_DEP_3)
	v_mul_hi_u32 v7, s0, v3
	v_mul_lo_u32 v11, s55, v3
	v_mul_lo_u32 v9, s0, v5
	s_delay_alu instid0(VALU_DEP_1) | instskip(SKIP_1) | instid1(VALU_DEP_2)
	v_add_nc_u32_e32 v7, v7, v9
	v_mul_lo_u32 v9, s0, v3
	v_add_nc_u32_e32 v7, v7, v11
	s_delay_alu instid0(VALU_DEP_2) | instskip(NEXT) | instid1(VALU_DEP_2)
	v_mul_hi_u32 v11, v3, v9
	v_mul_lo_u32 v13, v3, v7
	v_mul_hi_u32 v15, v3, v7
	v_mul_hi_u32 v19, v5, v9
	v_mul_lo_u32 v9, v5, v9
	v_mul_hi_u32 v22, v5, v7
	v_mul_lo_u32 v7, v5, v7
	v_add_co_u32 v11, vcc_lo, v11, v13
	v_add_co_ci_u32_e32 v13, vcc_lo, 0, v15, vcc_lo
	s_delay_alu instid0(VALU_DEP_2) | instskip(NEXT) | instid1(VALU_DEP_2)
	v_add_co_u32 v9, vcc_lo, v11, v9
	v_add_co_ci_u32_e32 v9, vcc_lo, v13, v19, vcc_lo
	v_add_co_ci_u32_e32 v11, vcc_lo, 0, v22, vcc_lo
	v_add_co_u32 v13, vcc_lo, v20, v17
	v_add_co_ci_u32_e32 v15, vcc_lo, v21, v17, vcc_lo
	s_delay_alu instid0(VALU_DEP_4) | instskip(NEXT) | instid1(VALU_DEP_4)
	v_add_co_u32 v7, vcc_lo, v9, v7
	v_add_co_ci_u32_e32 v9, vcc_lo, 0, v11, vcc_lo
	s_delay_alu instid0(VALU_DEP_4) | instskip(NEXT) | instid1(VALU_DEP_3)
	v_xor_b32_e32 v11, v13, v17
	v_add_co_u32 v3, vcc_lo, v3, v7
	s_delay_alu instid0(VALU_DEP_3) | instskip(SKIP_1) | instid1(VALU_DEP_3)
	v_add_co_ci_u32_e32 v5, vcc_lo, v5, v9, vcc_lo
	v_xor_b32_e32 v7, v15, v17
	v_mul_hi_u32 v9, v11, v3
	s_delay_alu instid0(VALU_DEP_3) | instskip(NEXT) | instid1(VALU_DEP_3)
	v_mad_u64_u32 v[21:22], null, v11, v5, 0
	v_mad_u64_u32 v[27:28], null, v7, v3, 0
	;; [unrolled: 1-line block ×3, first 2 shown]
	s_delay_alu instid0(VALU_DEP_3) | instskip(NEXT) | instid1(VALU_DEP_4)
	v_add_co_u32 v3, vcc_lo, v9, v21
	v_add_co_ci_u32_e32 v5, vcc_lo, 0, v22, vcc_lo
	s_delay_alu instid0(VALU_DEP_2) | instskip(NEXT) | instid1(VALU_DEP_2)
	v_add_co_u32 v3, vcc_lo, v3, v27
	v_add_co_ci_u32_e32 v3, vcc_lo, v5, v28, vcc_lo
	v_add_co_ci_u32_e32 v5, vcc_lo, 0, v30, vcc_lo
	s_delay_alu instid0(VALU_DEP_2) | instskip(NEXT) | instid1(VALU_DEP_2)
	v_add_co_u32 v3, vcc_lo, v3, v29
	v_add_co_ci_u32_e32 v5, vcc_lo, 0, v5, vcc_lo
	s_delay_alu instid0(VALU_DEP_2) | instskip(SKIP_1) | instid1(VALU_DEP_3)
	v_mul_lo_u32 v9, s23, v3
	v_mad_u64_u32 v[21:22], null, s22, v3, 0
	v_mul_lo_u32 v13, s22, v5
	s_delay_alu instid0(VALU_DEP_2) | instskip(NEXT) | instid1(VALU_DEP_2)
	v_sub_co_u32 v11, vcc_lo, v11, v21
	v_add3_u32 v9, v22, v13, v9
	s_delay_alu instid0(VALU_DEP_1) | instskip(NEXT) | instid1(VALU_DEP_1)
	v_sub_nc_u32_e32 v13, v7, v9
	v_subrev_co_ci_u32_e64 v13, s0, s23, v13, vcc_lo
	v_add_co_u32 v15, s0, v3, 2
	s_delay_alu instid0(VALU_DEP_1) | instskip(SKIP_3) | instid1(VALU_DEP_3)
	v_add_co_ci_u32_e64 v19, s0, 0, v5, s0
	v_sub_co_u32 v21, s0, v11, s22
	v_sub_co_ci_u32_e32 v7, vcc_lo, v7, v9, vcc_lo
	v_subrev_co_ci_u32_e64 v13, s0, 0, v13, s0
	v_cmp_le_u32_e32 vcc_lo, s22, v21
	s_delay_alu instid0(VALU_DEP_3) | instskip(SKIP_1) | instid1(VALU_DEP_4)
	v_cmp_eq_u32_e64 s0, s23, v7
	v_cndmask_b32_e64 v9, 0, -1, vcc_lo
	v_cmp_le_u32_e32 vcc_lo, s23, v13
	v_cndmask_b32_e64 v21, 0, -1, vcc_lo
	v_cmp_le_u32_e32 vcc_lo, s22, v11
	;; [unrolled: 2-line block ×3, first 2 shown]
	v_cndmask_b32_e64 v22, 0, -1, vcc_lo
	v_cmp_eq_u32_e32 vcc_lo, s23, v13
	s_delay_alu instid0(VALU_DEP_2) | instskip(SKIP_3) | instid1(VALU_DEP_3)
	v_cndmask_b32_e64 v7, v22, v11, s0
	v_cndmask_b32_e32 v9, v21, v9, vcc_lo
	v_add_co_u32 v13, vcc_lo, v3, 1
	v_add_co_ci_u32_e32 v21, vcc_lo, 0, v5, vcc_lo
	v_cmp_ne_u32_e32 vcc_lo, 0, v9
	s_delay_alu instid0(VALU_DEP_2) | instskip(NEXT) | instid1(VALU_DEP_4)
	v_cndmask_b32_e32 v9, v21, v19, vcc_lo
	v_cndmask_b32_e32 v11, v13, v15, vcc_lo
	v_cmp_ne_u32_e32 vcc_lo, 0, v7
	v_xor_b32_e32 v7, s20, v17
	s_delay_alu instid0(VALU_DEP_3) | instskip(SKIP_2) | instid1(VALU_DEP_3)
	v_cndmask_b32_e32 v3, v3, v11, vcc_lo
	v_cndmask_b32_e32 v5, v5, v9, vcc_lo
	v_xor_b32_e32 v9, s21, v17
	v_xor_b32_e32 v3, v3, v7
	s_delay_alu instid0(VALU_DEP_2) | instskip(NEXT) | instid1(VALU_DEP_2)
	v_xor_b32_e32 v5, v5, v9
	v_sub_co_u32 v22, vcc_lo, v3, v7
	s_delay_alu instid0(VALU_DEP_2)
	v_sub_co_ci_u32_e32 v23, vcc_lo, v5, v9, vcc_lo
.LBB88_54:                              ;   in Loop: Header=BB88_24 Depth=2
	s_and_not1_saveexec_b32 s0, s54
	s_cbranch_execz .LBB88_56
; %bb.55:                               ;   in Loop: Header=BB88_24 Depth=2
	v_cvt_f32_u32_e32 v3, s53
	s_sub_i32 s20, 0, s53
	v_mov_b32_e32 v23, v2
	s_delay_alu instid0(VALU_DEP_2) | instskip(SKIP_2) | instid1(VALU_DEP_1)
	v_rcp_iflag_f32_e32 v3, v3
	s_waitcnt_depctr 0xfff
	v_mul_f32_e32 v3, 0x4f7ffffe, v3
	v_cvt_u32_f32_e32 v3, v3
	s_delay_alu instid0(VALU_DEP_1) | instskip(NEXT) | instid1(VALU_DEP_1)
	v_mul_lo_u32 v5, s20, v3
	v_mul_hi_u32 v5, v3, v5
	s_delay_alu instid0(VALU_DEP_1) | instskip(NEXT) | instid1(VALU_DEP_1)
	v_add_nc_u32_e32 v3, v3, v5
	v_mul_hi_u32 v3, v20, v3
	s_delay_alu instid0(VALU_DEP_1) | instskip(SKIP_1) | instid1(VALU_DEP_2)
	v_mul_lo_u32 v5, v3, s53
	v_add_nc_u32_e32 v7, 1, v3
	v_sub_nc_u32_e32 v5, v20, v5
	s_delay_alu instid0(VALU_DEP_1) | instskip(SKIP_1) | instid1(VALU_DEP_4)
	v_cmp_le_u32_e32 vcc_lo, s53, v5
	v_subrev_nc_u32_e32 v9, s53, v5
	v_cndmask_b32_e32 v3, v3, v7, vcc_lo
	s_delay_alu instid0(VALU_DEP_1) | instskip(NEXT) | instid1(VALU_DEP_3)
	v_add_nc_u32_e32 v7, 1, v3
	v_cndmask_b32_e32 v5, v5, v9, vcc_lo
	s_delay_alu instid0(VALU_DEP_1) | instskip(NEXT) | instid1(VALU_DEP_3)
	v_cmp_le_u32_e32 vcc_lo, s53, v5
	v_cndmask_b32_e32 v22, v3, v7, vcc_lo
.LBB88_56:                              ;   in Loop: Header=BB88_24 Depth=2
	s_or_b32 exec_lo, exec_lo, s0
	v_mul_lo_u32 v3, v8, s41
	v_mul_lo_u32 v5, v10, s43
	;; [unrolled: 1-line block ×4, first 2 shown]
	s_add_u32 s18, s30, s18
	s_addc_u32 s19, s1, s19
	v_mul_lo_u32 v11, v16, s49
	s_load_b32 s0, s[18:19], 0x0
	v_sub_nc_u32_e32 v3, v6, v3
	v_sub_nc_u32_e32 v5, v8, v5
	v_mul_lo_u32 v6, v18, s51
	v_sub_nc_u32_e32 v7, v10, v7
	v_sub_nc_u32_e32 v9, v12, v9
	v_mul_lo_u32 v3, s42, v3
	v_mul_lo_u32 v5, s44, v5
	;; [unrolled: 1-line block ×4, first 2 shown]
	v_sub_nc_u32_e32 v11, v14, v11
	v_sub_nc_u32_e32 v6, v16, v6
	v_mul_lo_u32 v7, s46, v7
	v_mul_lo_u32 v9, s48, v9
	s_add_i32 s16, s16, -8
	v_add3_u32 v3, v3, v4, v5
	v_mul_lo_u32 v4, s50, v11
	v_sub_nc_u32_e32 v5, v18, v8
	v_sub_nc_u32_e32 v8, v20, v10
	v_mul_lo_u32 v6, s14, v6
	s_cmp_eq_u32 s16, -8
	v_add3_u32 v3, v7, v3, v9
	v_mul_lo_u32 v5, s17, v5
	s_waitcnt lgkmcnt(0)
	v_mul_lo_u32 v7, s0, v8
	s_delay_alu instid0(VALU_DEP_3) | instskip(NEXT) | instid1(VALU_DEP_1)
	v_add3_u32 v3, v4, v3, v6
	v_add3_u32 v4, v5, v3, v7
	s_cbranch_scc1 .LBB88_58
; %bb.57:                               ;   in Loop: Header=BB88_24 Depth=2
	v_dual_mov_b32 v6, v22 :: v_dual_mov_b32 v7, v23
	s_branch .LBB88_24
.LBB88_58:                              ;   in Loop: Header=BB88_3 Depth=1
	s_load_b32 s0, s[12:13], 0x0
	s_waitcnt lgkmcnt(0)
	v_cmp_gt_i32_e32 vcc_lo, s0, v26
	s_and_b32 exec_lo, exec_lo, vcc_lo
	s_cbranch_execz .LBB88_2
; %bb.59:                               ;   in Loop: Header=BB88_3 Depth=1
	s_delay_alu instid0(VALU_DEP_2) | instskip(SKIP_1) | instid1(VALU_DEP_2)
	v_ashrrev_i32_e32 v5, 31, v4
	v_add_nc_u32_e32 v3, 1, v26
	v_lshlrev_b64 v[5:6], 2, v[4:5]
	s_delay_alu instid0(VALU_DEP_1) | instskip(NEXT) | instid1(VALU_DEP_2)
	v_add_co_u32 v5, vcc_lo, s2, v5
	v_add_co_ci_u32_e32 v6, vcc_lo, s3, v6, vcc_lo
	s_delay_alu instid0(VALU_DEP_4)
	v_cmp_gt_i32_e32 vcc_lo, s0, v3
	global_store_b32 v[5:6], v2, off
	s_and_b32 exec_lo, exec_lo, vcc_lo
	s_cbranch_execz .LBB88_2
; %bb.60:                               ;   in Loop: Header=BB88_3 Depth=1
	v_sub_nc_u32_e32 v5, v3, v25
	s_delay_alu instid0(VALU_DEP_1) | instskip(NEXT) | instid1(VALU_DEP_1)
	v_ashrrev_i32_e32 v6, 31, v5
	v_cmp_gt_i64_e32 vcc_lo, s[4:5], v[5:6]
	s_and_b32 exec_lo, exec_lo, vcc_lo
	s_cbranch_execz .LBB88_2
; %bb.61:                               ;   in Loop: Header=BB88_3 Depth=1
	v_add_nc_u32_e32 v3, s40, v4
	s_delay_alu instid0(VALU_DEP_1) | instskip(NEXT) | instid1(VALU_DEP_1)
	v_ashrrev_i32_e32 v4, 31, v3
	v_lshlrev_b64 v[3:4], 2, v[3:4]
	s_delay_alu instid0(VALU_DEP_1) | instskip(NEXT) | instid1(VALU_DEP_2)
	v_add_co_u32 v3, vcc_lo, s2, v3
	v_add_co_ci_u32_e32 v4, vcc_lo, s3, v4, vcc_lo
	global_store_b32 v[3:4], v2, off
	s_branch .LBB88_2
.LBB88_62:
	s_nop 0
	s_sendmsg sendmsg(MSG_DEALLOC_VGPRS)
	s_endpgm
	.section	.rodata,"a",@progbits
	.p2align	6, 0x0
	.amdhsa_kernel _ZN2at6native16triu_tril_kernelIN3c107complexINS2_4HalfEEEiLb1ELi2ELb1EEEvNS_4cuda6detail10TensorInfoIT_T0_EENS8_IKS9_SA_EEllSA_
		.amdhsa_group_segment_fixed_size 0
		.amdhsa_private_segment_fixed_size 0
		.amdhsa_kernarg_size 712
		.amdhsa_user_sgpr_count 15
		.amdhsa_user_sgpr_dispatch_ptr 0
		.amdhsa_user_sgpr_queue_ptr 0
		.amdhsa_user_sgpr_kernarg_segment_ptr 1
		.amdhsa_user_sgpr_dispatch_id 0
		.amdhsa_user_sgpr_private_segment_size 0
		.amdhsa_wavefront_size32 1
		.amdhsa_uses_dynamic_stack 0
		.amdhsa_enable_private_segment 0
		.amdhsa_system_sgpr_workgroup_id_x 1
		.amdhsa_system_sgpr_workgroup_id_y 0
		.amdhsa_system_sgpr_workgroup_id_z 0
		.amdhsa_system_sgpr_workgroup_info 0
		.amdhsa_system_vgpr_workitem_id 0
		.amdhsa_next_free_vgpr 31
		.amdhsa_next_free_sgpr 56
		.amdhsa_reserve_vcc 1
		.amdhsa_float_round_mode_32 0
		.amdhsa_float_round_mode_16_64 0
		.amdhsa_float_denorm_mode_32 3
		.amdhsa_float_denorm_mode_16_64 3
		.amdhsa_dx10_clamp 1
		.amdhsa_ieee_mode 1
		.amdhsa_fp16_overflow 0
		.amdhsa_workgroup_processor_mode 1
		.amdhsa_memory_ordered 1
		.amdhsa_forward_progress 0
		.amdhsa_shared_vgpr_count 0
		.amdhsa_exception_fp_ieee_invalid_op 0
		.amdhsa_exception_fp_denorm_src 0
		.amdhsa_exception_fp_ieee_div_zero 0
		.amdhsa_exception_fp_ieee_overflow 0
		.amdhsa_exception_fp_ieee_underflow 0
		.amdhsa_exception_fp_ieee_inexact 0
		.amdhsa_exception_int_div_zero 0
	.end_amdhsa_kernel
	.section	.text._ZN2at6native16triu_tril_kernelIN3c107complexINS2_4HalfEEEiLb1ELi2ELb1EEEvNS_4cuda6detail10TensorInfoIT_T0_EENS8_IKS9_SA_EEllSA_,"axG",@progbits,_ZN2at6native16triu_tril_kernelIN3c107complexINS2_4HalfEEEiLb1ELi2ELb1EEEvNS_4cuda6detail10TensorInfoIT_T0_EENS8_IKS9_SA_EEllSA_,comdat
.Lfunc_end88:
	.size	_ZN2at6native16triu_tril_kernelIN3c107complexINS2_4HalfEEEiLb1ELi2ELb1EEEvNS_4cuda6detail10TensorInfoIT_T0_EENS8_IKS9_SA_EEllSA_, .Lfunc_end88-_ZN2at6native16triu_tril_kernelIN3c107complexINS2_4HalfEEEiLb1ELi2ELb1EEEvNS_4cuda6detail10TensorInfoIT_T0_EENS8_IKS9_SA_EEllSA_
                                        ; -- End function
	.section	.AMDGPU.csdata,"",@progbits
; Kernel info:
; codeLenInByte = 12380
; NumSgprs: 58
; NumVgprs: 31
; ScratchSize: 0
; MemoryBound: 0
; FloatMode: 240
; IeeeMode: 1
; LDSByteSize: 0 bytes/workgroup (compile time only)
; SGPRBlocks: 7
; VGPRBlocks: 3
; NumSGPRsForWavesPerEU: 58
; NumVGPRsForWavesPerEU: 31
; Occupancy: 16
; WaveLimiterHint : 0
; COMPUTE_PGM_RSRC2:SCRATCH_EN: 0
; COMPUTE_PGM_RSRC2:USER_SGPR: 15
; COMPUTE_PGM_RSRC2:TRAP_HANDLER: 0
; COMPUTE_PGM_RSRC2:TGID_X_EN: 1
; COMPUTE_PGM_RSRC2:TGID_Y_EN: 0
; COMPUTE_PGM_RSRC2:TGID_Z_EN: 0
; COMPUTE_PGM_RSRC2:TIDIG_COMP_CNT: 0
	.section	.text._ZN2at6native16triu_tril_kernelIN3c107complexINS2_4HalfEEEiLb1ELi2ELb0EEEvNS_4cuda6detail10TensorInfoIT_T0_EENS8_IKS9_SA_EEllSA_,"axG",@progbits,_ZN2at6native16triu_tril_kernelIN3c107complexINS2_4HalfEEEiLb1ELi2ELb0EEEvNS_4cuda6detail10TensorInfoIT_T0_EENS8_IKS9_SA_EEllSA_,comdat
	.protected	_ZN2at6native16triu_tril_kernelIN3c107complexINS2_4HalfEEEiLb1ELi2ELb0EEEvNS_4cuda6detail10TensorInfoIT_T0_EENS8_IKS9_SA_EEllSA_ ; -- Begin function _ZN2at6native16triu_tril_kernelIN3c107complexINS2_4HalfEEEiLb1ELi2ELb0EEEvNS_4cuda6detail10TensorInfoIT_T0_EENS8_IKS9_SA_EEllSA_
	.globl	_ZN2at6native16triu_tril_kernelIN3c107complexINS2_4HalfEEEiLb1ELi2ELb0EEEvNS_4cuda6detail10TensorInfoIT_T0_EENS8_IKS9_SA_EEllSA_
	.p2align	8
	.type	_ZN2at6native16triu_tril_kernelIN3c107complexINS2_4HalfEEEiLb1ELi2ELb0EEEvNS_4cuda6detail10TensorInfoIT_T0_EENS8_IKS9_SA_EEllSA_,@function
_ZN2at6native16triu_tril_kernelIN3c107complexINS2_4HalfEEEiLb1ELi2ELb0EEEvNS_4cuda6detail10TensorInfoIT_T0_EENS8_IKS9_SA_EEllSA_: ; @_ZN2at6native16triu_tril_kernelIN3c107complexINS2_4HalfEEEiLb1ELi2ELb0EEEvNS_4cuda6detail10TensorInfoIT_T0_EENS8_IKS9_SA_EEllSA_
; %bb.0:
	s_clause 0x1
	s_load_b32 s2, s[0:1], 0x1d4
	s_load_b128 s[4:7], s[0:1], 0x1b0
	v_mov_b32_e32 v2, 0
	s_add_u32 s8, s0, 0x1c8
	s_addc_u32 s9, s1, 0
	s_delay_alu instid0(VALU_DEP_1) | instskip(SKIP_3) | instid1(VALU_DEP_1)
	v_mov_b32_e32 v1, v2
	s_waitcnt lgkmcnt(0)
	s_and_b32 s10, s2, 0xffff
	s_mov_b32 s2, exec_lo
	v_mad_u64_u32 v[3:4], null, s10, s15, v[0:1]
	s_delay_alu instid0(VALU_DEP_1) | instskip(NEXT) | instid1(VALU_DEP_1)
	v_lshlrev_b64 v[0:1], 1, v[3:4]
	v_cmpx_gt_i64_e64 s[6:7], v[0:1]
	s_cbranch_execz .LBB89_49
; %bb.1:
	s_clause 0x1
	s_load_b32 s16, s[0:1], 0x1a8
	s_load_b32 s30, s[0:1], 0x1c0
	s_add_u32 s31, s0, 0xd8
	s_addc_u32 s33, s1, 0
	s_load_b32 s11, s[8:9], 0x0
	s_load_b64 s[2:3], s[0:1], 0xd8
	s_waitcnt lgkmcnt(0)
	s_ashr_i32 s17, s16, 31
	s_ashr_i32 s34, s30, 31
	s_lshl_b64 s[8:9], s[16:17], 2
	v_cvt_f32_u32_e32 v3, s30
	s_add_u32 s14, s8, -8
	s_addc_u32 s15, s9, -1
	s_add_u32 s12, s31, s14
	s_addc_u32 s13, s33, s15
	v_rcp_iflag_f32_e32 v3, v3
	s_load_b64 s[8:9], s[12:13], 0x8
	s_mul_i32 s18, s11, s10
	s_load_b64 s[10:11], s[12:13], 0x6c
	s_waitcnt_depctr 0xfff
	v_mul_f32_e32 v3, 0x4f7ffffe, v3
	s_delay_alu instid0(VALU_DEP_1)
	v_cvt_u32_f32_e32 v3, v3
	s_waitcnt lgkmcnt(0)
	s_ashr_i32 s35, s8, 31
	s_add_u32 s36, s0, 0x6c
	s_addc_u32 s37, s1, 0
	s_add_u32 s12, s36, s14
	s_addc_u32 s13, s37, s15
	s_and_b32 s39, s16, 3
	s_add_i32 s38, s16, -3
	s_lshl_b32 s40, s18, 1
	s_cmp_lg_u32 s39, 2
	s_load_b64 s[12:13], s[12:13], 0x0
	s_cselect_b32 s41, -1, 0
	s_cmp_gt_u32 s38, 2
	s_mov_b32 s18, s11
	s_cselect_b32 s42, -1, 0
	s_sub_i32 s14, 0, s30
	s_ashr_i32 s19, s11, 31
	v_mul_lo_u32 v4, s14, v3
	s_load_b64 s[14:15], s[0:1], 0x0
	v_cmp_gt_i64_e64 s1, s[16:17], 2
	s_mov_b32 s17, 0
	s_mov_b32 s11, 0
	s_delay_alu instid0(VALU_DEP_2) | instskip(SKIP_3) | instid1(VALU_DEP_1)
	v_mul_hi_u32 v4, v3, v4
	s_waitcnt lgkmcnt(0)
	s_ashr_i32 s21, s13, 31
	s_mov_b32 s20, s13
	v_add_nc_u32_e32 v18, v3, v4
	s_branch .LBB89_3
.LBB89_2:                               ;   in Loop: Header=BB89_3 Depth=1
	s_or_b32 exec_lo, exec_lo, s0
	v_add_co_u32 v0, vcc_lo, v0, s40
	v_add_co_ci_u32_e32 v1, vcc_lo, 0, v1, vcc_lo
	s_delay_alu instid0(VALU_DEP_1) | instskip(SKIP_1) | instid1(SALU_CYCLE_1)
	v_cmp_le_i64_e32 vcc_lo, s[6:7], v[0:1]
	s_or_b32 s11, vcc_lo, s11
	s_and_not1_b32 exec_lo, exec_lo, s11
	s_cbranch_execz .LBB89_49
.LBB89_3:                               ; =>This Loop Header: Depth=1
                                        ;     Child Loop BB89_14 Depth 2
                                        ;     Child Loop BB89_22 Depth 2
	v_or_b32_e32 v3, s34, v1
                                        ; implicit-def: $vgpr4_vgpr5
	s_mov_b32 s0, exec_lo
	s_delay_alu instid0(VALU_DEP_1)
	v_cmpx_ne_u64_e32 0, v[2:3]
	s_xor_b32 s13, exec_lo, s0
	s_cbranch_execz .LBB89_5
; %bb.4:                                ;   in Loop: Header=BB89_3 Depth=1
	s_add_u32 s24, s30, s34
	s_mov_b32 s22, s34
	s_mov_b32 s23, s34
	s_addc_u32 s25, s34, s34
	s_delay_alu instid0(SALU_CYCLE_1) | instskip(NEXT) | instid1(SALU_CYCLE_1)
	s_xor_b64 s[24:25], s[24:25], s[22:23]
	v_cvt_f32_u32_e32 v3, s24
	v_cvt_f32_u32_e32 v4, s25
	s_sub_u32 s0, 0, s24
	s_subb_u32 s16, 0, s25
	s_delay_alu instid0(VALU_DEP_1) | instskip(NEXT) | instid1(VALU_DEP_1)
	v_fmac_f32_e32 v3, 0x4f800000, v4
	v_rcp_f32_e32 v3, v3
	s_waitcnt_depctr 0xfff
	v_mul_f32_e32 v3, 0x5f7ffffc, v3
	s_delay_alu instid0(VALU_DEP_1) | instskip(NEXT) | instid1(VALU_DEP_1)
	v_mul_f32_e32 v4, 0x2f800000, v3
	v_trunc_f32_e32 v4, v4
	s_delay_alu instid0(VALU_DEP_1) | instskip(SKIP_1) | instid1(VALU_DEP_2)
	v_fmac_f32_e32 v3, 0xcf800000, v4
	v_cvt_u32_f32_e32 v4, v4
	v_cvt_u32_f32_e32 v3, v3
	s_delay_alu instid0(VALU_DEP_2) | instskip(NEXT) | instid1(VALU_DEP_2)
	v_mul_lo_u32 v5, s0, v4
	v_mul_hi_u32 v6, s0, v3
	v_mul_lo_u32 v7, s16, v3
	s_delay_alu instid0(VALU_DEP_2) | instskip(SKIP_1) | instid1(VALU_DEP_2)
	v_add_nc_u32_e32 v5, v6, v5
	v_mul_lo_u32 v6, s0, v3
	v_add_nc_u32_e32 v5, v5, v7
	s_delay_alu instid0(VALU_DEP_2) | instskip(NEXT) | instid1(VALU_DEP_2)
	v_mul_hi_u32 v7, v3, v6
	v_mul_lo_u32 v8, v3, v5
	v_mul_hi_u32 v9, v3, v5
	v_mul_hi_u32 v10, v4, v6
	v_mul_lo_u32 v6, v4, v6
	v_mul_hi_u32 v11, v4, v5
	v_mul_lo_u32 v5, v4, v5
	v_add_co_u32 v7, vcc_lo, v7, v8
	v_add_co_ci_u32_e32 v8, vcc_lo, 0, v9, vcc_lo
	s_delay_alu instid0(VALU_DEP_2) | instskip(NEXT) | instid1(VALU_DEP_2)
	v_add_co_u32 v6, vcc_lo, v7, v6
	v_add_co_ci_u32_e32 v6, vcc_lo, v8, v10, vcc_lo
	v_add_co_ci_u32_e32 v7, vcc_lo, 0, v11, vcc_lo
	v_ashrrev_i32_e32 v10, 31, v1
	s_delay_alu instid0(VALU_DEP_3) | instskip(NEXT) | instid1(VALU_DEP_3)
	v_add_co_u32 v5, vcc_lo, v6, v5
	v_add_co_ci_u32_e32 v6, vcc_lo, 0, v7, vcc_lo
	s_delay_alu instid0(VALU_DEP_2) | instskip(NEXT) | instid1(VALU_DEP_2)
	v_add_co_u32 v3, vcc_lo, v3, v5
	v_add_co_ci_u32_e32 v4, vcc_lo, v4, v6, vcc_lo
	s_delay_alu instid0(VALU_DEP_2) | instskip(SKIP_1) | instid1(VALU_DEP_3)
	v_mul_hi_u32 v5, s0, v3
	v_mul_lo_u32 v7, s16, v3
	v_mul_lo_u32 v6, s0, v4
	s_delay_alu instid0(VALU_DEP_1) | instskip(SKIP_1) | instid1(VALU_DEP_2)
	v_add_nc_u32_e32 v5, v5, v6
	v_mul_lo_u32 v6, s0, v3
	v_add_nc_u32_e32 v5, v5, v7
	s_delay_alu instid0(VALU_DEP_2) | instskip(NEXT) | instid1(VALU_DEP_2)
	v_mul_hi_u32 v7, v3, v6
	v_mul_lo_u32 v8, v3, v5
	v_mul_hi_u32 v9, v3, v5
	v_mul_hi_u32 v11, v4, v6
	v_mul_lo_u32 v6, v4, v6
	v_mul_hi_u32 v12, v4, v5
	v_mul_lo_u32 v5, v4, v5
	v_add_co_u32 v7, vcc_lo, v7, v8
	v_add_co_ci_u32_e32 v8, vcc_lo, 0, v9, vcc_lo
	s_delay_alu instid0(VALU_DEP_2) | instskip(NEXT) | instid1(VALU_DEP_2)
	v_add_co_u32 v6, vcc_lo, v7, v6
	v_add_co_ci_u32_e32 v6, vcc_lo, v8, v11, vcc_lo
	v_add_co_ci_u32_e32 v7, vcc_lo, 0, v12, vcc_lo
	v_add_co_u32 v8, vcc_lo, v0, v10
	v_add_co_ci_u32_e32 v9, vcc_lo, v1, v10, vcc_lo
	s_delay_alu instid0(VALU_DEP_4) | instskip(NEXT) | instid1(VALU_DEP_4)
	v_add_co_u32 v5, vcc_lo, v6, v5
	v_add_co_ci_u32_e32 v6, vcc_lo, 0, v7, vcc_lo
	s_delay_alu instid0(VALU_DEP_4) | instskip(NEXT) | instid1(VALU_DEP_3)
	v_xor_b32_e32 v11, v8, v10
	v_add_co_u32 v7, vcc_lo, v3, v5
	s_delay_alu instid0(VALU_DEP_3) | instskip(SKIP_1) | instid1(VALU_DEP_3)
	v_add_co_ci_u32_e32 v12, vcc_lo, v4, v6, vcc_lo
	v_xor_b32_e32 v9, v9, v10
	v_mul_hi_u32 v13, v11, v7
	s_delay_alu instid0(VALU_DEP_3) | instskip(NEXT) | instid1(VALU_DEP_3)
	v_mad_u64_u32 v[3:4], null, v11, v12, 0
	v_mad_u64_u32 v[5:6], null, v9, v7, 0
	v_mad_u64_u32 v[7:8], null, v9, v12, 0
	s_delay_alu instid0(VALU_DEP_3) | instskip(NEXT) | instid1(VALU_DEP_4)
	v_add_co_u32 v3, vcc_lo, v13, v3
	v_add_co_ci_u32_e32 v4, vcc_lo, 0, v4, vcc_lo
	s_delay_alu instid0(VALU_DEP_2) | instskip(NEXT) | instid1(VALU_DEP_2)
	v_add_co_u32 v3, vcc_lo, v3, v5
	v_add_co_ci_u32_e32 v3, vcc_lo, v4, v6, vcc_lo
	v_add_co_ci_u32_e32 v4, vcc_lo, 0, v8, vcc_lo
	s_delay_alu instid0(VALU_DEP_2) | instskip(NEXT) | instid1(VALU_DEP_2)
	v_add_co_u32 v5, vcc_lo, v3, v7
	v_add_co_ci_u32_e32 v6, vcc_lo, 0, v4, vcc_lo
	s_delay_alu instid0(VALU_DEP_2) | instskip(SKIP_1) | instid1(VALU_DEP_3)
	v_mul_lo_u32 v7, s25, v5
	v_mad_u64_u32 v[3:4], null, s24, v5, 0
	v_mul_lo_u32 v8, s24, v6
	s_delay_alu instid0(VALU_DEP_2) | instskip(NEXT) | instid1(VALU_DEP_2)
	v_sub_co_u32 v3, vcc_lo, v11, v3
	v_add3_u32 v4, v4, v8, v7
	s_delay_alu instid0(VALU_DEP_1) | instskip(NEXT) | instid1(VALU_DEP_1)
	v_sub_nc_u32_e32 v7, v9, v4
	v_subrev_co_ci_u32_e64 v7, s0, s25, v7, vcc_lo
	v_add_co_u32 v8, s0, v5, 2
	s_delay_alu instid0(VALU_DEP_1) | instskip(SKIP_3) | instid1(VALU_DEP_3)
	v_add_co_ci_u32_e64 v11, s0, 0, v6, s0
	v_sub_co_u32 v12, s0, v3, s24
	v_sub_co_ci_u32_e32 v4, vcc_lo, v9, v4, vcc_lo
	v_subrev_co_ci_u32_e64 v7, s0, 0, v7, s0
	v_cmp_le_u32_e32 vcc_lo, s24, v12
	s_delay_alu instid0(VALU_DEP_3) | instskip(SKIP_1) | instid1(VALU_DEP_4)
	v_cmp_eq_u32_e64 s0, s25, v4
	v_cndmask_b32_e64 v9, 0, -1, vcc_lo
	v_cmp_le_u32_e32 vcc_lo, s25, v7
	v_cndmask_b32_e64 v12, 0, -1, vcc_lo
	v_cmp_le_u32_e32 vcc_lo, s24, v3
	;; [unrolled: 2-line block ×3, first 2 shown]
	v_cndmask_b32_e64 v13, 0, -1, vcc_lo
	v_cmp_eq_u32_e32 vcc_lo, s25, v7
	s_delay_alu instid0(VALU_DEP_2) | instskip(SKIP_3) | instid1(VALU_DEP_3)
	v_cndmask_b32_e64 v3, v13, v3, s0
	v_cndmask_b32_e32 v7, v12, v9, vcc_lo
	v_add_co_u32 v9, vcc_lo, v5, 1
	v_add_co_ci_u32_e32 v12, vcc_lo, 0, v6, vcc_lo
	v_cmp_ne_u32_e32 vcc_lo, 0, v7
	s_delay_alu instid0(VALU_DEP_2) | instskip(SKIP_2) | instid1(VALU_DEP_3)
	v_dual_cndmask_b32 v4, v12, v11 :: v_dual_cndmask_b32 v7, v9, v8
	v_cmp_ne_u32_e32 vcc_lo, 0, v3
	v_xor_b32_e32 v3, s22, v10
	v_dual_cndmask_b32 v5, v5, v7 :: v_dual_cndmask_b32 v4, v6, v4
	v_xor_b32_e32 v6, s23, v10
	s_delay_alu instid0(VALU_DEP_2) | instskip(NEXT) | instid1(VALU_DEP_2)
	v_xor_b32_e32 v5, v5, v3
	v_xor_b32_e32 v7, v4, v6
	s_delay_alu instid0(VALU_DEP_2) | instskip(NEXT) | instid1(VALU_DEP_2)
	v_sub_co_u32 v4, vcc_lo, v5, v3
	v_sub_co_ci_u32_e32 v5, vcc_lo, v7, v6, vcc_lo
.LBB89_5:                               ;   in Loop: Header=BB89_3 Depth=1
	s_and_not1_saveexec_b32 s0, s13
; %bb.6:                                ;   in Loop: Header=BB89_3 Depth=1
	v_mul_hi_u32 v3, v0, v18
	s_delay_alu instid0(VALU_DEP_1) | instskip(NEXT) | instid1(VALU_DEP_1)
	v_mul_lo_u32 v4, v3, s30
	v_sub_nc_u32_e32 v4, v0, v4
	s_delay_alu instid0(VALU_DEP_1) | instskip(SKIP_1) | instid1(VALU_DEP_2)
	v_subrev_nc_u32_e32 v6, s30, v4
	v_cmp_le_u32_e32 vcc_lo, s30, v4
	v_dual_cndmask_b32 v4, v4, v6 :: v_dual_add_nc_u32 v5, 1, v3
	s_delay_alu instid0(VALU_DEP_1) | instskip(NEXT) | instid1(VALU_DEP_2)
	v_cndmask_b32_e32 v3, v3, v5, vcc_lo
	v_cmp_le_u32_e32 vcc_lo, s30, v4
	s_delay_alu instid0(VALU_DEP_2) | instskip(NEXT) | instid1(VALU_DEP_1)
	v_add_nc_u32_e32 v5, 1, v3
	v_dual_cndmask_b32 v4, v3, v5 :: v_dual_mov_b32 v5, v2
; %bb.7:                                ;   in Loop: Header=BB89_3 Depth=1
	s_or_b32 exec_lo, exec_lo, s0
	s_delay_alu instid0(VALU_DEP_1) | instskip(SKIP_1) | instid1(VALU_DEP_1)
	v_or_b32_e32 v3, s35, v5
                                        ; implicit-def: $vgpr8_vgpr9
	s_mov_b32 s0, exec_lo
	v_cmpx_ne_u64_e32 0, v[2:3]
	s_xor_b32 s13, exec_lo, s0
	s_cbranch_execz .LBB89_9
; %bb.8:                                ;   in Loop: Header=BB89_3 Depth=1
	s_add_u32 s24, s8, s35
	s_mov_b32 s22, s35
	s_mov_b32 s23, s35
	s_addc_u32 s25, s35, s35
	s_delay_alu instid0(SALU_CYCLE_1) | instskip(NEXT) | instid1(SALU_CYCLE_1)
	s_xor_b64 s[24:25], s[24:25], s[22:23]
	v_cvt_f32_u32_e32 v3, s24
	v_cvt_f32_u32_e32 v6, s25
	s_sub_u32 s0, 0, s24
	s_subb_u32 s16, 0, s25
	s_delay_alu instid0(VALU_DEP_1) | instskip(NEXT) | instid1(VALU_DEP_1)
	v_fmac_f32_e32 v3, 0x4f800000, v6
	v_rcp_f32_e32 v3, v3
	s_waitcnt_depctr 0xfff
	v_mul_f32_e32 v3, 0x5f7ffffc, v3
	s_delay_alu instid0(VALU_DEP_1) | instskip(NEXT) | instid1(VALU_DEP_1)
	v_mul_f32_e32 v6, 0x2f800000, v3
	v_trunc_f32_e32 v6, v6
	s_delay_alu instid0(VALU_DEP_1) | instskip(SKIP_1) | instid1(VALU_DEP_2)
	v_fmac_f32_e32 v3, 0xcf800000, v6
	v_cvt_u32_f32_e32 v6, v6
	v_cvt_u32_f32_e32 v3, v3
	s_delay_alu instid0(VALU_DEP_2) | instskip(NEXT) | instid1(VALU_DEP_2)
	v_mul_lo_u32 v7, s0, v6
	v_mul_hi_u32 v8, s0, v3
	v_mul_lo_u32 v9, s16, v3
	s_delay_alu instid0(VALU_DEP_2) | instskip(SKIP_1) | instid1(VALU_DEP_2)
	v_add_nc_u32_e32 v7, v8, v7
	v_mul_lo_u32 v8, s0, v3
	v_add_nc_u32_e32 v7, v7, v9
	s_delay_alu instid0(VALU_DEP_2) | instskip(NEXT) | instid1(VALU_DEP_2)
	v_mul_hi_u32 v9, v3, v8
	v_mul_lo_u32 v10, v3, v7
	v_mul_hi_u32 v11, v3, v7
	v_mul_hi_u32 v12, v6, v8
	v_mul_lo_u32 v8, v6, v8
	v_mul_hi_u32 v13, v6, v7
	v_mul_lo_u32 v7, v6, v7
	v_add_co_u32 v9, vcc_lo, v9, v10
	v_add_co_ci_u32_e32 v10, vcc_lo, 0, v11, vcc_lo
	s_delay_alu instid0(VALU_DEP_2) | instskip(NEXT) | instid1(VALU_DEP_2)
	v_add_co_u32 v8, vcc_lo, v9, v8
	v_add_co_ci_u32_e32 v8, vcc_lo, v10, v12, vcc_lo
	v_add_co_ci_u32_e32 v9, vcc_lo, 0, v13, vcc_lo
	v_ashrrev_i32_e32 v12, 31, v5
	s_delay_alu instid0(VALU_DEP_3) | instskip(NEXT) | instid1(VALU_DEP_3)
	v_add_co_u32 v7, vcc_lo, v8, v7
	v_add_co_ci_u32_e32 v8, vcc_lo, 0, v9, vcc_lo
	s_delay_alu instid0(VALU_DEP_2) | instskip(NEXT) | instid1(VALU_DEP_2)
	v_add_co_u32 v3, vcc_lo, v3, v7
	v_add_co_ci_u32_e32 v6, vcc_lo, v6, v8, vcc_lo
	s_delay_alu instid0(VALU_DEP_2) | instskip(SKIP_1) | instid1(VALU_DEP_3)
	v_mul_hi_u32 v7, s0, v3
	v_mul_lo_u32 v9, s16, v3
	v_mul_lo_u32 v8, s0, v6
	s_delay_alu instid0(VALU_DEP_1) | instskip(SKIP_1) | instid1(VALU_DEP_2)
	v_add_nc_u32_e32 v7, v7, v8
	v_mul_lo_u32 v8, s0, v3
	v_add_nc_u32_e32 v7, v7, v9
	s_delay_alu instid0(VALU_DEP_2) | instskip(NEXT) | instid1(VALU_DEP_2)
	v_mul_hi_u32 v9, v3, v8
	v_mul_lo_u32 v10, v3, v7
	v_mul_hi_u32 v11, v3, v7
	v_mul_hi_u32 v13, v6, v8
	v_mul_lo_u32 v8, v6, v8
	v_mul_hi_u32 v14, v6, v7
	v_mul_lo_u32 v7, v6, v7
	v_add_co_u32 v9, vcc_lo, v9, v10
	v_add_co_ci_u32_e32 v10, vcc_lo, 0, v11, vcc_lo
	s_delay_alu instid0(VALU_DEP_2) | instskip(NEXT) | instid1(VALU_DEP_2)
	v_add_co_u32 v8, vcc_lo, v9, v8
	v_add_co_ci_u32_e32 v8, vcc_lo, v10, v13, vcc_lo
	v_add_co_ci_u32_e32 v9, vcc_lo, 0, v14, vcc_lo
	v_add_co_u32 v10, vcc_lo, v4, v12
	v_add_co_ci_u32_e32 v5, vcc_lo, v5, v12, vcc_lo
	s_delay_alu instid0(VALU_DEP_4) | instskip(NEXT) | instid1(VALU_DEP_4)
	v_add_co_u32 v7, vcc_lo, v8, v7
	v_add_co_ci_u32_e32 v8, vcc_lo, 0, v9, vcc_lo
	s_delay_alu instid0(VALU_DEP_4) | instskip(NEXT) | instid1(VALU_DEP_3)
	v_xor_b32_e32 v11, v10, v12
	v_add_co_u32 v3, vcc_lo, v3, v7
	s_delay_alu instid0(VALU_DEP_3) | instskip(SKIP_1) | instid1(VALU_DEP_3)
	v_add_co_ci_u32_e32 v13, vcc_lo, v6, v8, vcc_lo
	v_xor_b32_e32 v14, v5, v12
	v_mul_hi_u32 v15, v11, v3
	s_delay_alu instid0(VALU_DEP_3) | instskip(NEXT) | instid1(VALU_DEP_3)
	v_mad_u64_u32 v[5:6], null, v11, v13, 0
	v_mad_u64_u32 v[7:8], null, v14, v3, 0
	;; [unrolled: 1-line block ×3, first 2 shown]
	s_delay_alu instid0(VALU_DEP_3) | instskip(NEXT) | instid1(VALU_DEP_4)
	v_add_co_u32 v3, vcc_lo, v15, v5
	v_add_co_ci_u32_e32 v5, vcc_lo, 0, v6, vcc_lo
	s_delay_alu instid0(VALU_DEP_2) | instskip(NEXT) | instid1(VALU_DEP_2)
	v_add_co_u32 v3, vcc_lo, v3, v7
	v_add_co_ci_u32_e32 v3, vcc_lo, v5, v8, vcc_lo
	v_add_co_ci_u32_e32 v5, vcc_lo, 0, v10, vcc_lo
	s_delay_alu instid0(VALU_DEP_2) | instskip(NEXT) | instid1(VALU_DEP_2)
	v_add_co_u32 v3, vcc_lo, v3, v9
	v_add_co_ci_u32_e32 v7, vcc_lo, 0, v5, vcc_lo
	s_delay_alu instid0(VALU_DEP_2) | instskip(SKIP_1) | instid1(VALU_DEP_3)
	v_mul_lo_u32 v8, s25, v3
	v_mad_u64_u32 v[5:6], null, s24, v3, 0
	v_mul_lo_u32 v9, s24, v7
	s_delay_alu instid0(VALU_DEP_2) | instskip(NEXT) | instid1(VALU_DEP_2)
	v_sub_co_u32 v5, vcc_lo, v11, v5
	v_add3_u32 v6, v6, v9, v8
	s_delay_alu instid0(VALU_DEP_1) | instskip(NEXT) | instid1(VALU_DEP_1)
	v_sub_nc_u32_e32 v8, v14, v6
	v_subrev_co_ci_u32_e64 v8, s0, s25, v8, vcc_lo
	v_add_co_u32 v9, s0, v3, 2
	s_delay_alu instid0(VALU_DEP_1) | instskip(SKIP_3) | instid1(VALU_DEP_3)
	v_add_co_ci_u32_e64 v10, s0, 0, v7, s0
	v_sub_co_u32 v11, s0, v5, s24
	v_sub_co_ci_u32_e32 v6, vcc_lo, v14, v6, vcc_lo
	v_subrev_co_ci_u32_e64 v8, s0, 0, v8, s0
	v_cmp_le_u32_e32 vcc_lo, s24, v11
	s_delay_alu instid0(VALU_DEP_3) | instskip(SKIP_1) | instid1(VALU_DEP_4)
	v_cmp_eq_u32_e64 s0, s25, v6
	v_cndmask_b32_e64 v11, 0, -1, vcc_lo
	v_cmp_le_u32_e32 vcc_lo, s25, v8
	v_cndmask_b32_e64 v13, 0, -1, vcc_lo
	v_cmp_le_u32_e32 vcc_lo, s24, v5
	;; [unrolled: 2-line block ×3, first 2 shown]
	v_cndmask_b32_e64 v14, 0, -1, vcc_lo
	v_cmp_eq_u32_e32 vcc_lo, s25, v8
	s_delay_alu instid0(VALU_DEP_2) | instskip(SKIP_3) | instid1(VALU_DEP_3)
	v_cndmask_b32_e64 v5, v14, v5, s0
	v_cndmask_b32_e32 v8, v13, v11, vcc_lo
	v_add_co_u32 v11, vcc_lo, v3, 1
	v_add_co_ci_u32_e32 v13, vcc_lo, 0, v7, vcc_lo
	v_cmp_ne_u32_e32 vcc_lo, 0, v8
	s_delay_alu instid0(VALU_DEP_3) | instskip(NEXT) | instid1(VALU_DEP_3)
	v_cndmask_b32_e32 v8, v11, v9, vcc_lo
	v_cndmask_b32_e32 v6, v13, v10, vcc_lo
	v_cmp_ne_u32_e32 vcc_lo, 0, v5
	v_xor_b32_e32 v5, s22, v12
	s_delay_alu instid0(VALU_DEP_4) | instskip(NEXT) | instid1(VALU_DEP_4)
	v_cndmask_b32_e32 v3, v3, v8, vcc_lo
	v_cndmask_b32_e32 v6, v7, v6, vcc_lo
	v_xor_b32_e32 v7, s23, v12
	s_delay_alu instid0(VALU_DEP_3) | instskip(NEXT) | instid1(VALU_DEP_2)
	v_xor_b32_e32 v3, v3, v5
	v_xor_b32_e32 v6, v6, v7
	s_delay_alu instid0(VALU_DEP_2) | instskip(NEXT) | instid1(VALU_DEP_2)
	v_sub_co_u32 v8, vcc_lo, v3, v5
	v_sub_co_ci_u32_e32 v9, vcc_lo, v6, v7, vcc_lo
.LBB89_9:                               ;   in Loop: Header=BB89_3 Depth=1
	s_and_not1_saveexec_b32 s0, s13
	s_cbranch_execz .LBB89_11
; %bb.10:                               ;   in Loop: Header=BB89_3 Depth=1
	v_cvt_f32_u32_e32 v3, s8
	s_sub_i32 s13, 0, s8
	v_mov_b32_e32 v9, v2
	s_delay_alu instid0(VALU_DEP_2) | instskip(SKIP_2) | instid1(VALU_DEP_1)
	v_rcp_iflag_f32_e32 v3, v3
	s_waitcnt_depctr 0xfff
	v_mul_f32_e32 v3, 0x4f7ffffe, v3
	v_cvt_u32_f32_e32 v3, v3
	s_delay_alu instid0(VALU_DEP_1) | instskip(NEXT) | instid1(VALU_DEP_1)
	v_mul_lo_u32 v5, s13, v3
	v_mul_hi_u32 v5, v3, v5
	s_delay_alu instid0(VALU_DEP_1) | instskip(NEXT) | instid1(VALU_DEP_1)
	v_add_nc_u32_e32 v3, v3, v5
	v_mul_hi_u32 v3, v4, v3
	s_delay_alu instid0(VALU_DEP_1) | instskip(SKIP_1) | instid1(VALU_DEP_2)
	v_mul_lo_u32 v5, v3, s8
	v_add_nc_u32_e32 v6, 1, v3
	v_sub_nc_u32_e32 v5, v4, v5
	s_delay_alu instid0(VALU_DEP_1) | instskip(SKIP_1) | instid1(VALU_DEP_4)
	v_cmp_le_u32_e32 vcc_lo, s8, v5
	v_subrev_nc_u32_e32 v7, s8, v5
	v_cndmask_b32_e32 v3, v3, v6, vcc_lo
	s_delay_alu instid0(VALU_DEP_1) | instskip(NEXT) | instid1(VALU_DEP_3)
	v_add_nc_u32_e32 v6, 1, v3
	v_cndmask_b32_e32 v5, v5, v7, vcc_lo
	s_delay_alu instid0(VALU_DEP_1) | instskip(NEXT) | instid1(VALU_DEP_3)
	v_cmp_le_u32_e32 vcc_lo, s8, v5
	v_cndmask_b32_e32 v8, v3, v6, vcc_lo
.LBB89_11:                              ;   in Loop: Header=BB89_3 Depth=1
	s_or_b32 exec_lo, exec_lo, s0
	v_mad_u64_u32 v[5:6], null, v4, s30, 0
	s_delay_alu instid0(VALU_DEP_2) | instskip(SKIP_1) | instid1(VALU_DEP_2)
	v_mad_u64_u32 v[6:7], null, v8, s8, 0
	s_and_not1_b32 vcc_lo, exec_lo, s1
	v_sub_co_u32 v19, null, v0, v5
	s_delay_alu instid0(VALU_DEP_2) | instskip(NEXT) | instid1(VALU_DEP_2)
	v_sub_co_u32 v20, null, v4, v6
	v_mul_lo_u32 v3, s18, v19
	v_mul_lo_u32 v10, s20, v19
	s_delay_alu instid0(VALU_DEP_2) | instskip(NEXT) | instid1(VALU_DEP_2)
	v_mad_u64_u32 v[6:7], null, s10, v20, v[3:4]
	v_mad_u64_u32 v[4:5], null, s12, v20, v[10:11]
	s_cbranch_vccnz .LBB89_40
; %bb.12:                               ;   in Loop: Header=BB89_3 Depth=1
	s_and_not1_b32 vcc_lo, exec_lo, s41
	s_mov_b32 s13, 1
	s_cbranch_vccnz .LBB89_20
; %bb.13:                               ;   in Loop: Header=BB89_3 Depth=1
	v_dual_mov_b32 v11, v9 :: v_dual_mov_b32 v10, v8
	s_mov_b32 s16, s38
.LBB89_14:                              ;   Parent Loop BB89_3 Depth=1
                                        ; =>  This Inner Loop Header: Depth=2
	s_delay_alu instid0(SALU_CYCLE_1)
	s_lshl_b64 s[24:25], s[16:17], 2
                                        ; implicit-def: $vgpr8_vgpr9
	s_mov_b32 s26, exec_lo
	s_add_u32 s22, s31, s24
	s_addc_u32 s23, s33, s25
	s_load_b32 s43, s[22:23], 0x8
	s_waitcnt lgkmcnt(0)
	s_ashr_i32 s0, s43, 31
	s_delay_alu instid0(SALU_CYCLE_1) | instskip(NEXT) | instid1(VALU_DEP_1)
	v_or_b32_e32 v3, s0, v11
	v_cmpx_ne_u64_e32 0, v[2:3]
	s_xor_b32 s44, exec_lo, s26
	s_cbranch_execz .LBB89_16
; %bb.15:                               ;   in Loop: Header=BB89_14 Depth=2
	s_add_u32 s28, s43, s0
	s_mov_b32 s26, s0
	s_mov_b32 s27, s0
	s_addc_u32 s29, s0, s0
	s_delay_alu instid0(SALU_CYCLE_1) | instskip(NEXT) | instid1(SALU_CYCLE_1)
	s_xor_b64 s[28:29], s[28:29], s[26:27]
	v_cvt_f32_u32_e32 v3, s28
	v_cvt_f32_u32_e32 v5, s29
	s_sub_u32 s0, 0, s28
	s_subb_u32 s45, 0, s29
	s_delay_alu instid0(VALU_DEP_1) | instskip(NEXT) | instid1(VALU_DEP_1)
	v_fmac_f32_e32 v3, 0x4f800000, v5
	v_rcp_f32_e32 v3, v3
	s_waitcnt_depctr 0xfff
	v_mul_f32_e32 v3, 0x5f7ffffc, v3
	s_delay_alu instid0(VALU_DEP_1) | instskip(NEXT) | instid1(VALU_DEP_1)
	v_mul_f32_e32 v5, 0x2f800000, v3
	v_trunc_f32_e32 v5, v5
	s_delay_alu instid0(VALU_DEP_1) | instskip(SKIP_1) | instid1(VALU_DEP_2)
	v_fmac_f32_e32 v3, 0xcf800000, v5
	v_cvt_u32_f32_e32 v5, v5
	v_cvt_u32_f32_e32 v3, v3
	s_delay_alu instid0(VALU_DEP_2) | instskip(NEXT) | instid1(VALU_DEP_2)
	v_mul_lo_u32 v7, s0, v5
	v_mul_hi_u32 v8, s0, v3
	v_mul_lo_u32 v9, s45, v3
	s_delay_alu instid0(VALU_DEP_2) | instskip(SKIP_1) | instid1(VALU_DEP_2)
	v_add_nc_u32_e32 v7, v8, v7
	v_mul_lo_u32 v8, s0, v3
	v_add_nc_u32_e32 v7, v7, v9
	s_delay_alu instid0(VALU_DEP_2) | instskip(NEXT) | instid1(VALU_DEP_2)
	v_mul_hi_u32 v9, v3, v8
	v_mul_lo_u32 v12, v3, v7
	v_mul_hi_u32 v13, v3, v7
	v_mul_hi_u32 v14, v5, v8
	v_mul_lo_u32 v8, v5, v8
	v_mul_hi_u32 v15, v5, v7
	v_mul_lo_u32 v7, v5, v7
	v_add_co_u32 v9, vcc_lo, v9, v12
	v_add_co_ci_u32_e32 v12, vcc_lo, 0, v13, vcc_lo
	s_delay_alu instid0(VALU_DEP_2) | instskip(NEXT) | instid1(VALU_DEP_2)
	v_add_co_u32 v8, vcc_lo, v9, v8
	v_add_co_ci_u32_e32 v8, vcc_lo, v12, v14, vcc_lo
	v_add_co_ci_u32_e32 v9, vcc_lo, 0, v15, vcc_lo
	v_ashrrev_i32_e32 v15, 31, v11
	s_delay_alu instid0(VALU_DEP_3) | instskip(NEXT) | instid1(VALU_DEP_3)
	v_add_co_u32 v7, vcc_lo, v8, v7
	v_add_co_ci_u32_e32 v8, vcc_lo, 0, v9, vcc_lo
	s_delay_alu instid0(VALU_DEP_2) | instskip(NEXT) | instid1(VALU_DEP_2)
	v_add_co_u32 v3, vcc_lo, v3, v7
	v_add_co_ci_u32_e32 v5, vcc_lo, v5, v8, vcc_lo
	s_delay_alu instid0(VALU_DEP_2) | instskip(SKIP_1) | instid1(VALU_DEP_3)
	v_mul_hi_u32 v7, s0, v3
	v_mul_lo_u32 v9, s45, v3
	v_mul_lo_u32 v8, s0, v5
	s_delay_alu instid0(VALU_DEP_1) | instskip(SKIP_1) | instid1(VALU_DEP_2)
	v_add_nc_u32_e32 v7, v7, v8
	v_mul_lo_u32 v8, s0, v3
	v_add_nc_u32_e32 v7, v7, v9
	s_delay_alu instid0(VALU_DEP_2) | instskip(NEXT) | instid1(VALU_DEP_2)
	v_mul_hi_u32 v9, v3, v8
	v_mul_lo_u32 v12, v3, v7
	v_mul_hi_u32 v13, v3, v7
	v_mul_hi_u32 v14, v5, v8
	v_mul_lo_u32 v8, v5, v8
	v_mul_hi_u32 v16, v5, v7
	v_mul_lo_u32 v7, v5, v7
	v_add_co_u32 v9, vcc_lo, v9, v12
	v_add_co_ci_u32_e32 v12, vcc_lo, 0, v13, vcc_lo
	s_delay_alu instid0(VALU_DEP_2) | instskip(NEXT) | instid1(VALU_DEP_2)
	v_add_co_u32 v8, vcc_lo, v9, v8
	v_add_co_ci_u32_e32 v8, vcc_lo, v12, v14, vcc_lo
	v_add_co_ci_u32_e32 v9, vcc_lo, 0, v16, vcc_lo
	v_add_co_u32 v12, vcc_lo, v10, v15
	v_add_co_ci_u32_e32 v11, vcc_lo, v11, v15, vcc_lo
	s_delay_alu instid0(VALU_DEP_4) | instskip(NEXT) | instid1(VALU_DEP_4)
	v_add_co_u32 v7, vcc_lo, v8, v7
	v_add_co_ci_u32_e32 v8, vcc_lo, 0, v9, vcc_lo
	s_delay_alu instid0(VALU_DEP_4) | instskip(NEXT) | instid1(VALU_DEP_3)
	v_xor_b32_e32 v9, v12, v15
	v_add_co_u32 v3, vcc_lo, v3, v7
	s_delay_alu instid0(VALU_DEP_3) | instskip(SKIP_1) | instid1(VALU_DEP_3)
	v_add_co_ci_u32_e32 v5, vcc_lo, v5, v8, vcc_lo
	v_xor_b32_e32 v16, v11, v15
	v_mul_hi_u32 v17, v9, v3
	s_delay_alu instid0(VALU_DEP_3) | instskip(NEXT) | instid1(VALU_DEP_3)
	v_mad_u64_u32 v[7:8], null, v9, v5, 0
	v_mad_u64_u32 v[11:12], null, v16, v3, 0
	;; [unrolled: 1-line block ×3, first 2 shown]
	s_delay_alu instid0(VALU_DEP_3) | instskip(NEXT) | instid1(VALU_DEP_4)
	v_add_co_u32 v3, vcc_lo, v17, v7
	v_add_co_ci_u32_e32 v5, vcc_lo, 0, v8, vcc_lo
	s_delay_alu instid0(VALU_DEP_2) | instskip(NEXT) | instid1(VALU_DEP_2)
	v_add_co_u32 v3, vcc_lo, v3, v11
	v_add_co_ci_u32_e32 v3, vcc_lo, v5, v12, vcc_lo
	v_add_co_ci_u32_e32 v5, vcc_lo, 0, v14, vcc_lo
	s_delay_alu instid0(VALU_DEP_2) | instskip(NEXT) | instid1(VALU_DEP_2)
	v_add_co_u32 v3, vcc_lo, v3, v13
	v_add_co_ci_u32_e32 v5, vcc_lo, 0, v5, vcc_lo
	s_delay_alu instid0(VALU_DEP_2) | instskip(SKIP_1) | instid1(VALU_DEP_3)
	v_mul_lo_u32 v11, s29, v3
	v_mad_u64_u32 v[7:8], null, s28, v3, 0
	v_mul_lo_u32 v12, s28, v5
	s_delay_alu instid0(VALU_DEP_2) | instskip(NEXT) | instid1(VALU_DEP_2)
	v_sub_co_u32 v7, vcc_lo, v9, v7
	v_add3_u32 v8, v8, v12, v11
	s_delay_alu instid0(VALU_DEP_1) | instskip(NEXT) | instid1(VALU_DEP_1)
	v_sub_nc_u32_e32 v11, v16, v8
	v_subrev_co_ci_u32_e64 v9, s0, s29, v11, vcc_lo
	v_add_co_u32 v11, s0, v3, 2
	s_delay_alu instid0(VALU_DEP_1) | instskip(SKIP_3) | instid1(VALU_DEP_3)
	v_add_co_ci_u32_e64 v12, s0, 0, v5, s0
	v_sub_co_u32 v13, s0, v7, s28
	v_sub_co_ci_u32_e32 v8, vcc_lo, v16, v8, vcc_lo
	v_subrev_co_ci_u32_e64 v9, s0, 0, v9, s0
	v_cmp_le_u32_e32 vcc_lo, s28, v13
	s_delay_alu instid0(VALU_DEP_3) | instskip(SKIP_1) | instid1(VALU_DEP_4)
	v_cmp_eq_u32_e64 s0, s29, v8
	v_cndmask_b32_e64 v13, 0, -1, vcc_lo
	v_cmp_le_u32_e32 vcc_lo, s29, v9
	v_cndmask_b32_e64 v14, 0, -1, vcc_lo
	v_cmp_le_u32_e32 vcc_lo, s28, v7
	v_cndmask_b32_e64 v7, 0, -1, vcc_lo
	v_cmp_le_u32_e32 vcc_lo, s29, v8
	v_cndmask_b32_e64 v16, 0, -1, vcc_lo
	v_cmp_eq_u32_e32 vcc_lo, s29, v9
	s_delay_alu instid0(VALU_DEP_2) | instskip(SKIP_3) | instid1(VALU_DEP_3)
	v_cndmask_b32_e64 v7, v16, v7, s0
	v_cndmask_b32_e32 v9, v14, v13, vcc_lo
	v_add_co_u32 v13, vcc_lo, v3, 1
	v_add_co_ci_u32_e32 v14, vcc_lo, 0, v5, vcc_lo
	v_cmp_ne_u32_e32 vcc_lo, 0, v9
	s_delay_alu instid0(VALU_DEP_2) | instskip(SKIP_2) | instid1(VALU_DEP_3)
	v_dual_cndmask_b32 v8, v14, v12 :: v_dual_cndmask_b32 v9, v13, v11
	v_cmp_ne_u32_e32 vcc_lo, 0, v7
	v_xor_b32_e32 v7, s26, v15
	v_cndmask_b32_e32 v3, v3, v9, vcc_lo
	s_delay_alu instid0(VALU_DEP_4) | instskip(SKIP_1) | instid1(VALU_DEP_3)
	v_cndmask_b32_e32 v5, v5, v8, vcc_lo
	v_xor_b32_e32 v9, s27, v15
	v_xor_b32_e32 v3, v3, v7
	s_delay_alu instid0(VALU_DEP_2) | instskip(NEXT) | instid1(VALU_DEP_2)
	v_xor_b32_e32 v5, v5, v9
	v_sub_co_u32 v8, vcc_lo, v3, v7
	s_delay_alu instid0(VALU_DEP_2)
	v_sub_co_ci_u32_e32 v9, vcc_lo, v5, v9, vcc_lo
.LBB89_16:                              ;   in Loop: Header=BB89_14 Depth=2
	s_and_not1_saveexec_b32 s0, s44
	s_cbranch_execz .LBB89_18
; %bb.17:                               ;   in Loop: Header=BB89_14 Depth=2
	v_cvt_f32_u32_e32 v3, s43
	s_sub_i32 s26, 0, s43
	v_mov_b32_e32 v9, v2
	s_delay_alu instid0(VALU_DEP_2) | instskip(SKIP_2) | instid1(VALU_DEP_1)
	v_rcp_iflag_f32_e32 v3, v3
	s_waitcnt_depctr 0xfff
	v_mul_f32_e32 v3, 0x4f7ffffe, v3
	v_cvt_u32_f32_e32 v3, v3
	s_delay_alu instid0(VALU_DEP_1) | instskip(NEXT) | instid1(VALU_DEP_1)
	v_mul_lo_u32 v5, s26, v3
	v_mul_hi_u32 v5, v3, v5
	s_delay_alu instid0(VALU_DEP_1) | instskip(NEXT) | instid1(VALU_DEP_1)
	v_add_nc_u32_e32 v3, v3, v5
	v_mul_hi_u32 v3, v10, v3
	s_delay_alu instid0(VALU_DEP_1) | instskip(SKIP_1) | instid1(VALU_DEP_2)
	v_mul_lo_u32 v5, v3, s43
	v_add_nc_u32_e32 v7, 1, v3
	v_sub_nc_u32_e32 v5, v10, v5
	s_delay_alu instid0(VALU_DEP_1) | instskip(SKIP_1) | instid1(VALU_DEP_4)
	v_cmp_le_u32_e32 vcc_lo, s43, v5
	v_subrev_nc_u32_e32 v8, s43, v5
	v_cndmask_b32_e32 v3, v3, v7, vcc_lo
	s_delay_alu instid0(VALU_DEP_1) | instskip(NEXT) | instid1(VALU_DEP_3)
	v_add_nc_u32_e32 v7, 1, v3
	v_cndmask_b32_e32 v5, v5, v8, vcc_lo
	s_delay_alu instid0(VALU_DEP_1) | instskip(NEXT) | instid1(VALU_DEP_3)
	v_cmp_le_u32_e32 vcc_lo, s43, v5
	v_cndmask_b32_e32 v8, v3, v7, vcc_lo
.LBB89_18:                              ;   in Loop: Header=BB89_14 Depth=2
	s_or_b32 exec_lo, exec_lo, s0
	s_add_u32 s24, s36, s24
	s_addc_u32 s25, s37, s25
	s_clause 0x1
	s_load_b32 s0, s[22:23], 0x6c
	s_load_b32 s22, s[24:25], 0x0
	v_mul_lo_u32 v3, v8, s43
	s_add_i32 s16, s16, -1
	s_delay_alu instid0(VALU_DEP_1) | instskip(SKIP_1) | instid1(VALU_DEP_1)
	v_sub_nc_u32_e32 v3, v10, v3
	s_waitcnt lgkmcnt(0)
	v_mad_u64_u32 v[10:11], null, s0, v3, v[6:7]
	v_mad_u64_u32 v[5:6], null, s22, v3, v[4:5]
	s_xor_b32 s0, s39, s13
	s_add_i32 s13, s13, 1
	s_cmp_lg_u32 s0, 2
	s_delay_alu instid0(VALU_DEP_2) | instskip(NEXT) | instid1(VALU_DEP_2)
	v_mov_b32_e32 v6, v10
	v_mov_b32_e32 v4, v5
	s_cbranch_scc0 .LBB89_21
; %bb.19:                               ;   in Loop: Header=BB89_14 Depth=2
	v_dual_mov_b32 v11, v9 :: v_dual_mov_b32 v10, v8
	s_branch .LBB89_14
.LBB89_20:                              ;   in Loop: Header=BB89_3 Depth=1
	s_mov_b32 s16, s38
.LBB89_21:                              ;   in Loop: Header=BB89_3 Depth=1
	s_and_b32 vcc_lo, exec_lo, s42
	s_cbranch_vccz .LBB89_40
.LBB89_22:                              ;   Parent Loop BB89_3 Depth=1
                                        ; =>  This Inner Loop Header: Depth=2
	s_lshl_b64 s[22:23], s[16:17], 2
                                        ; implicit-def: $vgpr10_vgpr11
	s_mov_b32 s26, exec_lo
	s_add_u32 s24, s31, s22
	s_addc_u32 s25, s33, s23
	s_load_b32 s13, s[24:25], 0x8
	s_waitcnt lgkmcnt(0)
	s_ashr_i32 s0, s13, 31
	s_delay_alu instid0(SALU_CYCLE_1) | instskip(NEXT) | instid1(VALU_DEP_1)
	v_or_b32_e32 v3, s0, v9
	v_cmpx_ne_u64_e32 0, v[2:3]
	s_xor_b32 s43, exec_lo, s26
	s_cbranch_execz .LBB89_24
; %bb.23:                               ;   in Loop: Header=BB89_22 Depth=2
	s_add_u32 s28, s13, s0
	s_mov_b32 s26, s0
	s_mov_b32 s27, s0
	s_addc_u32 s29, s0, s0
	s_delay_alu instid0(SALU_CYCLE_1) | instskip(NEXT) | instid1(SALU_CYCLE_1)
	s_xor_b64 s[28:29], s[28:29], s[26:27]
	v_cvt_f32_u32_e32 v3, s28
	v_cvt_f32_u32_e32 v5, s29
	s_sub_u32 s0, 0, s28
	s_subb_u32 s44, 0, s29
	s_delay_alu instid0(VALU_DEP_1) | instskip(NEXT) | instid1(VALU_DEP_1)
	v_fmac_f32_e32 v3, 0x4f800000, v5
	v_rcp_f32_e32 v3, v3
	s_waitcnt_depctr 0xfff
	v_mul_f32_e32 v3, 0x5f7ffffc, v3
	s_delay_alu instid0(VALU_DEP_1) | instskip(NEXT) | instid1(VALU_DEP_1)
	v_mul_f32_e32 v5, 0x2f800000, v3
	v_trunc_f32_e32 v5, v5
	s_delay_alu instid0(VALU_DEP_1) | instskip(SKIP_1) | instid1(VALU_DEP_2)
	v_fmac_f32_e32 v3, 0xcf800000, v5
	v_cvt_u32_f32_e32 v5, v5
	v_cvt_u32_f32_e32 v3, v3
	s_delay_alu instid0(VALU_DEP_2) | instskip(NEXT) | instid1(VALU_DEP_2)
	v_mul_lo_u32 v7, s0, v5
	v_mul_hi_u32 v10, s0, v3
	v_mul_lo_u32 v11, s44, v3
	s_delay_alu instid0(VALU_DEP_2) | instskip(SKIP_1) | instid1(VALU_DEP_2)
	v_add_nc_u32_e32 v7, v10, v7
	v_mul_lo_u32 v10, s0, v3
	v_add_nc_u32_e32 v7, v7, v11
	s_delay_alu instid0(VALU_DEP_2) | instskip(NEXT) | instid1(VALU_DEP_2)
	v_mul_hi_u32 v11, v3, v10
	v_mul_lo_u32 v12, v3, v7
	v_mul_hi_u32 v13, v3, v7
	v_mul_hi_u32 v14, v5, v10
	v_mul_lo_u32 v10, v5, v10
	v_mul_hi_u32 v15, v5, v7
	v_mul_lo_u32 v7, v5, v7
	v_add_co_u32 v11, vcc_lo, v11, v12
	v_add_co_ci_u32_e32 v12, vcc_lo, 0, v13, vcc_lo
	s_delay_alu instid0(VALU_DEP_2) | instskip(NEXT) | instid1(VALU_DEP_2)
	v_add_co_u32 v10, vcc_lo, v11, v10
	v_add_co_ci_u32_e32 v10, vcc_lo, v12, v14, vcc_lo
	v_add_co_ci_u32_e32 v11, vcc_lo, 0, v15, vcc_lo
	v_ashrrev_i32_e32 v15, 31, v9
	s_delay_alu instid0(VALU_DEP_3) | instskip(NEXT) | instid1(VALU_DEP_3)
	v_add_co_u32 v7, vcc_lo, v10, v7
	v_add_co_ci_u32_e32 v10, vcc_lo, 0, v11, vcc_lo
	s_delay_alu instid0(VALU_DEP_2) | instskip(NEXT) | instid1(VALU_DEP_2)
	v_add_co_u32 v3, vcc_lo, v3, v7
	v_add_co_ci_u32_e32 v5, vcc_lo, v5, v10, vcc_lo
	s_delay_alu instid0(VALU_DEP_2) | instskip(SKIP_1) | instid1(VALU_DEP_3)
	v_mul_hi_u32 v7, s0, v3
	v_mul_lo_u32 v11, s44, v3
	v_mul_lo_u32 v10, s0, v5
	s_delay_alu instid0(VALU_DEP_1) | instskip(SKIP_1) | instid1(VALU_DEP_2)
	v_add_nc_u32_e32 v7, v7, v10
	v_mul_lo_u32 v10, s0, v3
	v_add_nc_u32_e32 v7, v7, v11
	s_delay_alu instid0(VALU_DEP_2) | instskip(NEXT) | instid1(VALU_DEP_2)
	v_mul_hi_u32 v11, v3, v10
	v_mul_lo_u32 v12, v3, v7
	v_mul_hi_u32 v13, v3, v7
	v_mul_hi_u32 v14, v5, v10
	v_mul_lo_u32 v10, v5, v10
	v_mul_hi_u32 v16, v5, v7
	v_mul_lo_u32 v7, v5, v7
	v_add_co_u32 v11, vcc_lo, v11, v12
	v_add_co_ci_u32_e32 v12, vcc_lo, 0, v13, vcc_lo
	s_delay_alu instid0(VALU_DEP_2) | instskip(NEXT) | instid1(VALU_DEP_2)
	v_add_co_u32 v10, vcc_lo, v11, v10
	v_add_co_ci_u32_e32 v10, vcc_lo, v12, v14, vcc_lo
	v_add_co_ci_u32_e32 v11, vcc_lo, 0, v16, vcc_lo
	v_add_co_u32 v12, vcc_lo, v8, v15
	v_add_co_ci_u32_e32 v9, vcc_lo, v9, v15, vcc_lo
	s_delay_alu instid0(VALU_DEP_4) | instskip(NEXT) | instid1(VALU_DEP_4)
	v_add_co_u32 v7, vcc_lo, v10, v7
	v_add_co_ci_u32_e32 v10, vcc_lo, 0, v11, vcc_lo
	s_delay_alu instid0(VALU_DEP_4) | instskip(NEXT) | instid1(VALU_DEP_3)
	v_xor_b32_e32 v16, v12, v15
	v_add_co_u32 v3, vcc_lo, v3, v7
	s_delay_alu instid0(VALU_DEP_3) | instskip(SKIP_1) | instid1(VALU_DEP_3)
	v_add_co_ci_u32_e32 v5, vcc_lo, v5, v10, vcc_lo
	v_xor_b32_e32 v7, v9, v15
	v_mul_hi_u32 v17, v16, v3
	s_delay_alu instid0(VALU_DEP_3) | instskip(NEXT) | instid1(VALU_DEP_3)
	v_mad_u64_u32 v[9:10], null, v16, v5, 0
	v_mad_u64_u32 v[11:12], null, v7, v3, 0
	;; [unrolled: 1-line block ×3, first 2 shown]
	s_delay_alu instid0(VALU_DEP_3) | instskip(NEXT) | instid1(VALU_DEP_4)
	v_add_co_u32 v3, vcc_lo, v17, v9
	v_add_co_ci_u32_e32 v5, vcc_lo, 0, v10, vcc_lo
	s_delay_alu instid0(VALU_DEP_2) | instskip(NEXT) | instid1(VALU_DEP_2)
	v_add_co_u32 v3, vcc_lo, v3, v11
	v_add_co_ci_u32_e32 v3, vcc_lo, v5, v12, vcc_lo
	v_add_co_ci_u32_e32 v5, vcc_lo, 0, v14, vcc_lo
	s_delay_alu instid0(VALU_DEP_2) | instskip(NEXT) | instid1(VALU_DEP_2)
	v_add_co_u32 v3, vcc_lo, v3, v13
	v_add_co_ci_u32_e32 v5, vcc_lo, 0, v5, vcc_lo
	s_delay_alu instid0(VALU_DEP_2) | instskip(SKIP_1) | instid1(VALU_DEP_3)
	v_mul_lo_u32 v11, s29, v3
	v_mad_u64_u32 v[9:10], null, s28, v3, 0
	v_mul_lo_u32 v12, s28, v5
	s_delay_alu instid0(VALU_DEP_2) | instskip(NEXT) | instid1(VALU_DEP_2)
	v_sub_co_u32 v9, vcc_lo, v16, v9
	v_add3_u32 v10, v10, v12, v11
	s_delay_alu instid0(VALU_DEP_1) | instskip(NEXT) | instid1(VALU_DEP_1)
	v_sub_nc_u32_e32 v11, v7, v10
	v_subrev_co_ci_u32_e64 v11, s0, s29, v11, vcc_lo
	v_add_co_u32 v12, s0, v3, 2
	s_delay_alu instid0(VALU_DEP_1) | instskip(SKIP_3) | instid1(VALU_DEP_3)
	v_add_co_ci_u32_e64 v13, s0, 0, v5, s0
	v_sub_co_u32 v14, s0, v9, s28
	v_sub_co_ci_u32_e32 v7, vcc_lo, v7, v10, vcc_lo
	v_subrev_co_ci_u32_e64 v11, s0, 0, v11, s0
	v_cmp_le_u32_e32 vcc_lo, s28, v14
	s_delay_alu instid0(VALU_DEP_3) | instskip(SKIP_1) | instid1(VALU_DEP_4)
	v_cmp_eq_u32_e64 s0, s29, v7
	v_cndmask_b32_e64 v10, 0, -1, vcc_lo
	v_cmp_le_u32_e32 vcc_lo, s29, v11
	v_cndmask_b32_e64 v14, 0, -1, vcc_lo
	v_cmp_le_u32_e32 vcc_lo, s28, v9
	;; [unrolled: 2-line block ×3, first 2 shown]
	v_cndmask_b32_e64 v16, 0, -1, vcc_lo
	v_cmp_eq_u32_e32 vcc_lo, s29, v11
	s_delay_alu instid0(VALU_DEP_2) | instskip(SKIP_3) | instid1(VALU_DEP_3)
	v_cndmask_b32_e64 v7, v16, v9, s0
	v_cndmask_b32_e32 v10, v14, v10, vcc_lo
	v_add_co_u32 v11, vcc_lo, v3, 1
	v_add_co_ci_u32_e32 v14, vcc_lo, 0, v5, vcc_lo
	v_cmp_ne_u32_e32 vcc_lo, 0, v10
	s_delay_alu instid0(VALU_DEP_2) | instskip(SKIP_2) | instid1(VALU_DEP_3)
	v_dual_cndmask_b32 v10, v11, v12 :: v_dual_cndmask_b32 v9, v14, v13
	v_cmp_ne_u32_e32 vcc_lo, 0, v7
	v_xor_b32_e32 v7, s26, v15
	v_cndmask_b32_e32 v3, v3, v10, vcc_lo
	s_delay_alu instid0(VALU_DEP_4) | instskip(SKIP_1) | instid1(VALU_DEP_3)
	v_cndmask_b32_e32 v5, v5, v9, vcc_lo
	v_xor_b32_e32 v9, s27, v15
	v_xor_b32_e32 v3, v3, v7
	s_delay_alu instid0(VALU_DEP_2) | instskip(NEXT) | instid1(VALU_DEP_2)
	v_xor_b32_e32 v5, v5, v9
	v_sub_co_u32 v10, vcc_lo, v3, v7
	s_delay_alu instid0(VALU_DEP_2)
	v_sub_co_ci_u32_e32 v11, vcc_lo, v5, v9, vcc_lo
.LBB89_24:                              ;   in Loop: Header=BB89_22 Depth=2
	s_and_not1_saveexec_b32 s0, s43
	s_cbranch_execz .LBB89_26
; %bb.25:                               ;   in Loop: Header=BB89_22 Depth=2
	v_cvt_f32_u32_e32 v3, s13
	s_sub_i32 s26, 0, s13
	v_mov_b32_e32 v11, v2
	s_delay_alu instid0(VALU_DEP_2) | instskip(SKIP_2) | instid1(VALU_DEP_1)
	v_rcp_iflag_f32_e32 v3, v3
	s_waitcnt_depctr 0xfff
	v_mul_f32_e32 v3, 0x4f7ffffe, v3
	v_cvt_u32_f32_e32 v3, v3
	s_delay_alu instid0(VALU_DEP_1) | instskip(NEXT) | instid1(VALU_DEP_1)
	v_mul_lo_u32 v5, s26, v3
	v_mul_hi_u32 v5, v3, v5
	s_delay_alu instid0(VALU_DEP_1) | instskip(NEXT) | instid1(VALU_DEP_1)
	v_add_nc_u32_e32 v3, v3, v5
	v_mul_hi_u32 v3, v8, v3
	s_delay_alu instid0(VALU_DEP_1) | instskip(SKIP_1) | instid1(VALU_DEP_2)
	v_mul_lo_u32 v5, v3, s13
	v_add_nc_u32_e32 v7, 1, v3
	v_sub_nc_u32_e32 v5, v8, v5
	s_delay_alu instid0(VALU_DEP_1) | instskip(SKIP_1) | instid1(VALU_DEP_4)
	v_cmp_le_u32_e32 vcc_lo, s13, v5
	v_subrev_nc_u32_e32 v9, s13, v5
	v_cndmask_b32_e32 v3, v3, v7, vcc_lo
	s_delay_alu instid0(VALU_DEP_1) | instskip(NEXT) | instid1(VALU_DEP_3)
	v_add_nc_u32_e32 v7, 1, v3
	v_cndmask_b32_e32 v5, v5, v9, vcc_lo
	s_delay_alu instid0(VALU_DEP_1) | instskip(NEXT) | instid1(VALU_DEP_3)
	v_cmp_le_u32_e32 vcc_lo, s13, v5
	v_cndmask_b32_e32 v10, v3, v7, vcc_lo
.LBB89_26:                              ;   in Loop: Header=BB89_22 Depth=2
	s_or_b32 exec_lo, exec_lo, s0
	s_add_u32 s28, s36, s22
	s_addc_u32 s29, s37, s23
	s_add_i32 s22, s16, -1
	s_mov_b32 s23, s17
                                        ; implicit-def: $vgpr12_vgpr13
	s_delay_alu instid0(SALU_CYCLE_1) | instskip(NEXT) | instid1(SALU_CYCLE_1)
	s_lshl_b64 s[26:27], s[22:23], 2
	s_add_u32 s22, s31, s26
	s_addc_u32 s23, s33, s27
	s_clause 0x2
	s_load_b32 s45, s[22:23], 0x8
	s_load_b32 s43, s[24:25], 0x6c
	;; [unrolled: 1-line block ×3, first 2 shown]
	s_mov_b32 s24, exec_lo
	s_waitcnt lgkmcnt(0)
	s_ashr_i32 s0, s45, 31
	s_delay_alu instid0(SALU_CYCLE_1) | instskip(NEXT) | instid1(VALU_DEP_1)
	v_or_b32_e32 v3, s0, v11
	v_cmpx_ne_u64_e32 0, v[2:3]
	s_xor_b32 s46, exec_lo, s24
	s_cbranch_execz .LBB89_28
; %bb.27:                               ;   in Loop: Header=BB89_22 Depth=2
	s_add_u32 s28, s45, s0
	s_mov_b32 s24, s0
	s_mov_b32 s25, s0
	s_addc_u32 s29, s0, s0
	v_ashrrev_i32_e32 v17, 31, v11
	s_xor_b64 s[28:29], s[28:29], s[24:25]
	s_delay_alu instid0(SALU_CYCLE_1) | instskip(SKIP_3) | instid1(VALU_DEP_1)
	v_cvt_f32_u32_e32 v3, s28
	v_cvt_f32_u32_e32 v5, s29
	s_sub_u32 s0, 0, s28
	s_subb_u32 s47, 0, s29
	v_fmac_f32_e32 v3, 0x4f800000, v5
	s_delay_alu instid0(VALU_DEP_1) | instskip(SKIP_2) | instid1(VALU_DEP_1)
	v_rcp_f32_e32 v3, v3
	s_waitcnt_depctr 0xfff
	v_mul_f32_e32 v3, 0x5f7ffffc, v3
	v_mul_f32_e32 v5, 0x2f800000, v3
	s_delay_alu instid0(VALU_DEP_1) | instskip(NEXT) | instid1(VALU_DEP_1)
	v_trunc_f32_e32 v5, v5
	v_fmac_f32_e32 v3, 0xcf800000, v5
	v_cvt_u32_f32_e32 v5, v5
	s_delay_alu instid0(VALU_DEP_2) | instskip(NEXT) | instid1(VALU_DEP_2)
	v_cvt_u32_f32_e32 v3, v3
	v_mul_lo_u32 v7, s0, v5
	s_delay_alu instid0(VALU_DEP_2) | instskip(SKIP_1) | instid1(VALU_DEP_2)
	v_mul_hi_u32 v9, s0, v3
	v_mul_lo_u32 v12, s47, v3
	v_add_nc_u32_e32 v7, v9, v7
	v_mul_lo_u32 v9, s0, v3
	s_delay_alu instid0(VALU_DEP_2) | instskip(NEXT) | instid1(VALU_DEP_2)
	v_add_nc_u32_e32 v7, v7, v12
	v_mul_hi_u32 v12, v3, v9
	s_delay_alu instid0(VALU_DEP_2)
	v_mul_lo_u32 v13, v3, v7
	v_mul_hi_u32 v14, v3, v7
	v_mul_hi_u32 v15, v5, v9
	v_mul_lo_u32 v9, v5, v9
	v_mul_hi_u32 v16, v5, v7
	v_mul_lo_u32 v7, v5, v7
	v_add_co_u32 v12, vcc_lo, v12, v13
	v_add_co_ci_u32_e32 v13, vcc_lo, 0, v14, vcc_lo
	s_delay_alu instid0(VALU_DEP_2) | instskip(NEXT) | instid1(VALU_DEP_2)
	v_add_co_u32 v9, vcc_lo, v12, v9
	v_add_co_ci_u32_e32 v9, vcc_lo, v13, v15, vcc_lo
	v_add_co_ci_u32_e32 v12, vcc_lo, 0, v16, vcc_lo
	s_delay_alu instid0(VALU_DEP_2) | instskip(NEXT) | instid1(VALU_DEP_2)
	v_add_co_u32 v7, vcc_lo, v9, v7
	v_add_co_ci_u32_e32 v9, vcc_lo, 0, v12, vcc_lo
	s_delay_alu instid0(VALU_DEP_2) | instskip(NEXT) | instid1(VALU_DEP_2)
	v_add_co_u32 v3, vcc_lo, v3, v7
	v_add_co_ci_u32_e32 v5, vcc_lo, v5, v9, vcc_lo
	s_delay_alu instid0(VALU_DEP_2) | instskip(SKIP_1) | instid1(VALU_DEP_3)
	v_mul_hi_u32 v7, s0, v3
	v_mul_lo_u32 v12, s47, v3
	v_mul_lo_u32 v9, s0, v5
	s_delay_alu instid0(VALU_DEP_1) | instskip(SKIP_1) | instid1(VALU_DEP_2)
	v_add_nc_u32_e32 v7, v7, v9
	v_mul_lo_u32 v9, s0, v3
	v_add_nc_u32_e32 v7, v7, v12
	s_delay_alu instid0(VALU_DEP_2) | instskip(NEXT) | instid1(VALU_DEP_2)
	v_mul_hi_u32 v12, v3, v9
	v_mul_lo_u32 v13, v3, v7
	v_mul_hi_u32 v14, v3, v7
	v_mul_hi_u32 v15, v5, v9
	v_mul_lo_u32 v9, v5, v9
	v_mul_hi_u32 v16, v5, v7
	v_mul_lo_u32 v7, v5, v7
	v_add_co_u32 v12, vcc_lo, v12, v13
	v_add_co_ci_u32_e32 v13, vcc_lo, 0, v14, vcc_lo
	s_delay_alu instid0(VALU_DEP_2) | instskip(NEXT) | instid1(VALU_DEP_2)
	v_add_co_u32 v9, vcc_lo, v12, v9
	v_add_co_ci_u32_e32 v9, vcc_lo, v13, v15, vcc_lo
	v_add_co_ci_u32_e32 v12, vcc_lo, 0, v16, vcc_lo
	v_add_co_u32 v13, vcc_lo, v10, v17
	v_add_co_ci_u32_e32 v11, vcc_lo, v11, v17, vcc_lo
	s_delay_alu instid0(VALU_DEP_4) | instskip(NEXT) | instid1(VALU_DEP_4)
	v_add_co_u32 v7, vcc_lo, v9, v7
	v_add_co_ci_u32_e32 v9, vcc_lo, 0, v12, vcc_lo
	s_delay_alu instid0(VALU_DEP_4) | instskip(NEXT) | instid1(VALU_DEP_3)
	v_xor_b32_e32 v21, v13, v17
	v_add_co_u32 v3, vcc_lo, v3, v7
	s_delay_alu instid0(VALU_DEP_3) | instskip(SKIP_1) | instid1(VALU_DEP_3)
	v_add_co_ci_u32_e32 v5, vcc_lo, v5, v9, vcc_lo
	v_xor_b32_e32 v7, v11, v17
	v_mul_hi_u32 v9, v21, v3
	s_delay_alu instid0(VALU_DEP_3) | instskip(NEXT) | instid1(VALU_DEP_3)
	v_mad_u64_u32 v[11:12], null, v21, v5, 0
	v_mad_u64_u32 v[13:14], null, v7, v3, 0
	;; [unrolled: 1-line block ×3, first 2 shown]
	s_delay_alu instid0(VALU_DEP_3) | instskip(NEXT) | instid1(VALU_DEP_4)
	v_add_co_u32 v3, vcc_lo, v9, v11
	v_add_co_ci_u32_e32 v5, vcc_lo, 0, v12, vcc_lo
	s_delay_alu instid0(VALU_DEP_2) | instskip(NEXT) | instid1(VALU_DEP_2)
	v_add_co_u32 v3, vcc_lo, v3, v13
	v_add_co_ci_u32_e32 v3, vcc_lo, v5, v14, vcc_lo
	v_add_co_ci_u32_e32 v5, vcc_lo, 0, v16, vcc_lo
	s_delay_alu instid0(VALU_DEP_2) | instskip(NEXT) | instid1(VALU_DEP_2)
	v_add_co_u32 v3, vcc_lo, v3, v15
	v_add_co_ci_u32_e32 v5, vcc_lo, 0, v5, vcc_lo
	s_delay_alu instid0(VALU_DEP_2) | instskip(SKIP_1) | instid1(VALU_DEP_3)
	v_mul_lo_u32 v9, s29, v3
	v_mad_u64_u32 v[11:12], null, s28, v3, 0
	v_mul_lo_u32 v13, s28, v5
	s_delay_alu instid0(VALU_DEP_2) | instskip(NEXT) | instid1(VALU_DEP_2)
	v_sub_co_u32 v11, vcc_lo, v21, v11
	v_add3_u32 v9, v12, v13, v9
	s_delay_alu instid0(VALU_DEP_1) | instskip(NEXT) | instid1(VALU_DEP_1)
	v_sub_nc_u32_e32 v12, v7, v9
	v_subrev_co_ci_u32_e64 v12, s0, s29, v12, vcc_lo
	v_add_co_u32 v13, s0, v3, 2
	s_delay_alu instid0(VALU_DEP_1) | instskip(SKIP_3) | instid1(VALU_DEP_3)
	v_add_co_ci_u32_e64 v14, s0, 0, v5, s0
	v_sub_co_u32 v15, s0, v11, s28
	v_sub_co_ci_u32_e32 v7, vcc_lo, v7, v9, vcc_lo
	v_subrev_co_ci_u32_e64 v12, s0, 0, v12, s0
	v_cmp_le_u32_e32 vcc_lo, s28, v15
	s_delay_alu instid0(VALU_DEP_3) | instskip(SKIP_1) | instid1(VALU_DEP_4)
	v_cmp_eq_u32_e64 s0, s29, v7
	v_cndmask_b32_e64 v9, 0, -1, vcc_lo
	v_cmp_le_u32_e32 vcc_lo, s29, v12
	v_cndmask_b32_e64 v15, 0, -1, vcc_lo
	v_cmp_le_u32_e32 vcc_lo, s28, v11
	;; [unrolled: 2-line block ×3, first 2 shown]
	v_cndmask_b32_e64 v16, 0, -1, vcc_lo
	v_cmp_eq_u32_e32 vcc_lo, s29, v12
	s_delay_alu instid0(VALU_DEP_2) | instskip(SKIP_3) | instid1(VALU_DEP_3)
	v_cndmask_b32_e64 v7, v16, v11, s0
	v_cndmask_b32_e32 v9, v15, v9, vcc_lo
	v_add_co_u32 v12, vcc_lo, v3, 1
	v_add_co_ci_u32_e32 v15, vcc_lo, 0, v5, vcc_lo
	v_cmp_ne_u32_e32 vcc_lo, 0, v9
	s_delay_alu instid0(VALU_DEP_2) | instskip(NEXT) | instid1(VALU_DEP_4)
	v_cndmask_b32_e32 v9, v15, v14, vcc_lo
	v_cndmask_b32_e32 v11, v12, v13, vcc_lo
	v_cmp_ne_u32_e32 vcc_lo, 0, v7
	v_xor_b32_e32 v7, s24, v17
	s_delay_alu instid0(VALU_DEP_3) | instskip(SKIP_2) | instid1(VALU_DEP_3)
	v_cndmask_b32_e32 v3, v3, v11, vcc_lo
	v_cndmask_b32_e32 v5, v5, v9, vcc_lo
	v_xor_b32_e32 v9, s25, v17
	v_xor_b32_e32 v3, v3, v7
	s_delay_alu instid0(VALU_DEP_2) | instskip(NEXT) | instid1(VALU_DEP_2)
	v_xor_b32_e32 v5, v5, v9
	v_sub_co_u32 v12, vcc_lo, v3, v7
	s_delay_alu instid0(VALU_DEP_2)
	v_sub_co_ci_u32_e32 v13, vcc_lo, v5, v9, vcc_lo
.LBB89_28:                              ;   in Loop: Header=BB89_22 Depth=2
	s_and_not1_saveexec_b32 s0, s46
	s_cbranch_execz .LBB89_30
; %bb.29:                               ;   in Loop: Header=BB89_22 Depth=2
	v_cvt_f32_u32_e32 v3, s45
	s_sub_i32 s24, 0, s45
	v_mov_b32_e32 v13, v2
	s_delay_alu instid0(VALU_DEP_2) | instskip(SKIP_2) | instid1(VALU_DEP_1)
	v_rcp_iflag_f32_e32 v3, v3
	s_waitcnt_depctr 0xfff
	v_mul_f32_e32 v3, 0x4f7ffffe, v3
	v_cvt_u32_f32_e32 v3, v3
	s_delay_alu instid0(VALU_DEP_1) | instskip(NEXT) | instid1(VALU_DEP_1)
	v_mul_lo_u32 v5, s24, v3
	v_mul_hi_u32 v5, v3, v5
	s_delay_alu instid0(VALU_DEP_1) | instskip(NEXT) | instid1(VALU_DEP_1)
	v_add_nc_u32_e32 v3, v3, v5
	v_mul_hi_u32 v3, v10, v3
	s_delay_alu instid0(VALU_DEP_1) | instskip(SKIP_1) | instid1(VALU_DEP_2)
	v_mul_lo_u32 v5, v3, s45
	v_add_nc_u32_e32 v7, 1, v3
	v_sub_nc_u32_e32 v5, v10, v5
	s_delay_alu instid0(VALU_DEP_1) | instskip(SKIP_1) | instid1(VALU_DEP_4)
	v_cmp_le_u32_e32 vcc_lo, s45, v5
	v_subrev_nc_u32_e32 v9, s45, v5
	v_cndmask_b32_e32 v3, v3, v7, vcc_lo
	s_delay_alu instid0(VALU_DEP_1) | instskip(NEXT) | instid1(VALU_DEP_3)
	v_add_nc_u32_e32 v7, 1, v3
	v_cndmask_b32_e32 v5, v5, v9, vcc_lo
	s_delay_alu instid0(VALU_DEP_1) | instskip(NEXT) | instid1(VALU_DEP_3)
	v_cmp_le_u32_e32 vcc_lo, s45, v5
	v_cndmask_b32_e32 v12, v3, v7, vcc_lo
.LBB89_30:                              ;   in Loop: Header=BB89_22 Depth=2
	s_or_b32 exec_lo, exec_lo, s0
	s_add_u32 s28, s36, s26
	s_addc_u32 s29, s37, s27
	s_add_i32 s24, s16, -2
	s_mov_b32 s25, s17
                                        ; implicit-def: $vgpr14_vgpr15
	s_delay_alu instid0(SALU_CYCLE_1) | instskip(NEXT) | instid1(SALU_CYCLE_1)
	s_lshl_b64 s[24:25], s[24:25], 2
	s_add_u32 s26, s31, s24
	s_addc_u32 s27, s33, s25
	s_clause 0x2
	s_load_b32 s48, s[26:27], 0x8
	s_load_b32 s46, s[22:23], 0x6c
	;; [unrolled: 1-line block ×3, first 2 shown]
	s_mov_b32 s22, exec_lo
	s_waitcnt lgkmcnt(0)
	s_ashr_i32 s0, s48, 31
	s_delay_alu instid0(SALU_CYCLE_1) | instskip(NEXT) | instid1(VALU_DEP_1)
	v_or_b32_e32 v3, s0, v13
	v_cmpx_ne_u64_e32 0, v[2:3]
	s_xor_b32 s49, exec_lo, s22
	s_cbranch_execz .LBB89_32
; %bb.31:                               ;   in Loop: Header=BB89_22 Depth=2
	s_add_u32 s28, s48, s0
	s_mov_b32 s22, s0
	s_mov_b32 s23, s0
	s_addc_u32 s29, s0, s0
	s_delay_alu instid0(SALU_CYCLE_1) | instskip(NEXT) | instid1(SALU_CYCLE_1)
	s_xor_b64 s[28:29], s[28:29], s[22:23]
	v_cvt_f32_u32_e32 v3, s28
	v_cvt_f32_u32_e32 v5, s29
	s_sub_u32 s0, 0, s28
	s_subb_u32 s50, 0, s29
	s_delay_alu instid0(VALU_DEP_1) | instskip(NEXT) | instid1(VALU_DEP_1)
	v_fmac_f32_e32 v3, 0x4f800000, v5
	v_rcp_f32_e32 v3, v3
	s_waitcnt_depctr 0xfff
	v_mul_f32_e32 v3, 0x5f7ffffc, v3
	s_delay_alu instid0(VALU_DEP_1) | instskip(NEXT) | instid1(VALU_DEP_1)
	v_mul_f32_e32 v5, 0x2f800000, v3
	v_trunc_f32_e32 v5, v5
	s_delay_alu instid0(VALU_DEP_1) | instskip(SKIP_1) | instid1(VALU_DEP_2)
	v_fmac_f32_e32 v3, 0xcf800000, v5
	v_cvt_u32_f32_e32 v5, v5
	v_cvt_u32_f32_e32 v3, v3
	s_delay_alu instid0(VALU_DEP_2) | instskip(NEXT) | instid1(VALU_DEP_2)
	v_mul_lo_u32 v7, s0, v5
	v_mul_hi_u32 v9, s0, v3
	v_mul_lo_u32 v11, s50, v3
	s_delay_alu instid0(VALU_DEP_2) | instskip(SKIP_1) | instid1(VALU_DEP_2)
	v_add_nc_u32_e32 v7, v9, v7
	v_mul_lo_u32 v9, s0, v3
	v_add_nc_u32_e32 v7, v7, v11
	s_delay_alu instid0(VALU_DEP_2) | instskip(NEXT) | instid1(VALU_DEP_2)
	v_mul_hi_u32 v11, v3, v9
	v_mul_lo_u32 v14, v3, v7
	v_mul_hi_u32 v15, v3, v7
	v_mul_hi_u32 v16, v5, v9
	v_mul_lo_u32 v9, v5, v9
	v_mul_hi_u32 v17, v5, v7
	v_mul_lo_u32 v7, v5, v7
	v_add_co_u32 v11, vcc_lo, v11, v14
	v_add_co_ci_u32_e32 v14, vcc_lo, 0, v15, vcc_lo
	s_delay_alu instid0(VALU_DEP_2) | instskip(NEXT) | instid1(VALU_DEP_2)
	v_add_co_u32 v9, vcc_lo, v11, v9
	v_add_co_ci_u32_e32 v9, vcc_lo, v14, v16, vcc_lo
	v_add_co_ci_u32_e32 v11, vcc_lo, 0, v17, vcc_lo
	v_ashrrev_i32_e32 v17, 31, v13
	s_delay_alu instid0(VALU_DEP_3) | instskip(NEXT) | instid1(VALU_DEP_3)
	v_add_co_u32 v7, vcc_lo, v9, v7
	v_add_co_ci_u32_e32 v9, vcc_lo, 0, v11, vcc_lo
	s_delay_alu instid0(VALU_DEP_2) | instskip(NEXT) | instid1(VALU_DEP_2)
	v_add_co_u32 v3, vcc_lo, v3, v7
	v_add_co_ci_u32_e32 v5, vcc_lo, v5, v9, vcc_lo
	s_delay_alu instid0(VALU_DEP_2) | instskip(SKIP_1) | instid1(VALU_DEP_3)
	v_mul_hi_u32 v7, s0, v3
	v_mul_lo_u32 v11, s50, v3
	v_mul_lo_u32 v9, s0, v5
	s_delay_alu instid0(VALU_DEP_1) | instskip(SKIP_1) | instid1(VALU_DEP_2)
	v_add_nc_u32_e32 v7, v7, v9
	v_mul_lo_u32 v9, s0, v3
	v_add_nc_u32_e32 v7, v7, v11
	s_delay_alu instid0(VALU_DEP_2) | instskip(NEXT) | instid1(VALU_DEP_2)
	v_mul_hi_u32 v11, v3, v9
	v_mul_lo_u32 v14, v3, v7
	v_mul_hi_u32 v15, v3, v7
	v_mul_hi_u32 v16, v5, v9
	v_mul_lo_u32 v9, v5, v9
	v_mul_hi_u32 v21, v5, v7
	v_mul_lo_u32 v7, v5, v7
	v_add_co_u32 v11, vcc_lo, v11, v14
	v_add_co_ci_u32_e32 v14, vcc_lo, 0, v15, vcc_lo
	s_delay_alu instid0(VALU_DEP_2) | instskip(NEXT) | instid1(VALU_DEP_2)
	v_add_co_u32 v9, vcc_lo, v11, v9
	v_add_co_ci_u32_e32 v9, vcc_lo, v14, v16, vcc_lo
	v_add_co_ci_u32_e32 v11, vcc_lo, 0, v21, vcc_lo
	v_add_co_u32 v14, vcc_lo, v12, v17
	v_add_co_ci_u32_e32 v13, vcc_lo, v13, v17, vcc_lo
	s_delay_alu instid0(VALU_DEP_4) | instskip(NEXT) | instid1(VALU_DEP_4)
	v_add_co_u32 v7, vcc_lo, v9, v7
	v_add_co_ci_u32_e32 v9, vcc_lo, 0, v11, vcc_lo
	s_delay_alu instid0(VALU_DEP_4) | instskip(NEXT) | instid1(VALU_DEP_3)
	v_xor_b32_e32 v11, v14, v17
	v_add_co_u32 v3, vcc_lo, v3, v7
	s_delay_alu instid0(VALU_DEP_3) | instskip(SKIP_1) | instid1(VALU_DEP_3)
	v_add_co_ci_u32_e32 v5, vcc_lo, v5, v9, vcc_lo
	v_xor_b32_e32 v7, v13, v17
	v_mul_hi_u32 v9, v11, v3
	s_delay_alu instid0(VALU_DEP_3) | instskip(NEXT) | instid1(VALU_DEP_3)
	v_mad_u64_u32 v[13:14], null, v11, v5, 0
	v_mad_u64_u32 v[15:16], null, v7, v3, 0
	;; [unrolled: 1-line block ×3, first 2 shown]
	s_delay_alu instid0(VALU_DEP_3) | instskip(NEXT) | instid1(VALU_DEP_4)
	v_add_co_u32 v3, vcc_lo, v9, v13
	v_add_co_ci_u32_e32 v5, vcc_lo, 0, v14, vcc_lo
	s_delay_alu instid0(VALU_DEP_2) | instskip(NEXT) | instid1(VALU_DEP_2)
	v_add_co_u32 v3, vcc_lo, v3, v15
	v_add_co_ci_u32_e32 v3, vcc_lo, v5, v16, vcc_lo
	v_add_co_ci_u32_e32 v5, vcc_lo, 0, v22, vcc_lo
	s_delay_alu instid0(VALU_DEP_2) | instskip(NEXT) | instid1(VALU_DEP_2)
	v_add_co_u32 v3, vcc_lo, v3, v21
	v_add_co_ci_u32_e32 v5, vcc_lo, 0, v5, vcc_lo
	s_delay_alu instid0(VALU_DEP_2) | instskip(SKIP_1) | instid1(VALU_DEP_3)
	v_mul_lo_u32 v9, s29, v3
	v_mad_u64_u32 v[13:14], null, s28, v3, 0
	v_mul_lo_u32 v15, s28, v5
	s_delay_alu instid0(VALU_DEP_2) | instskip(NEXT) | instid1(VALU_DEP_2)
	v_sub_co_u32 v11, vcc_lo, v11, v13
	v_add3_u32 v9, v14, v15, v9
	s_delay_alu instid0(VALU_DEP_1) | instskip(NEXT) | instid1(VALU_DEP_1)
	v_sub_nc_u32_e32 v14, v7, v9
	v_subrev_co_ci_u32_e64 v13, s0, s29, v14, vcc_lo
	v_add_co_u32 v14, s0, v3, 2
	s_delay_alu instid0(VALU_DEP_1) | instskip(SKIP_3) | instid1(VALU_DEP_3)
	v_add_co_ci_u32_e64 v15, s0, 0, v5, s0
	v_sub_co_u32 v16, s0, v11, s28
	v_sub_co_ci_u32_e32 v7, vcc_lo, v7, v9, vcc_lo
	v_subrev_co_ci_u32_e64 v13, s0, 0, v13, s0
	v_cmp_le_u32_e32 vcc_lo, s28, v16
	s_delay_alu instid0(VALU_DEP_3) | instskip(SKIP_1) | instid1(VALU_DEP_4)
	v_cmp_eq_u32_e64 s0, s29, v7
	v_cndmask_b32_e64 v9, 0, -1, vcc_lo
	v_cmp_le_u32_e32 vcc_lo, s29, v13
	v_cndmask_b32_e64 v16, 0, -1, vcc_lo
	v_cmp_le_u32_e32 vcc_lo, s28, v11
	;; [unrolled: 2-line block ×3, first 2 shown]
	v_cndmask_b32_e64 v21, 0, -1, vcc_lo
	v_cmp_eq_u32_e32 vcc_lo, s29, v13
	s_delay_alu instid0(VALU_DEP_2) | instskip(SKIP_3) | instid1(VALU_DEP_3)
	v_cndmask_b32_e64 v7, v21, v11, s0
	v_cndmask_b32_e32 v9, v16, v9, vcc_lo
	v_add_co_u32 v13, vcc_lo, v3, 1
	v_add_co_ci_u32_e32 v16, vcc_lo, 0, v5, vcc_lo
	v_cmp_ne_u32_e32 vcc_lo, 0, v9
	s_delay_alu instid0(VALU_DEP_2) | instskip(NEXT) | instid1(VALU_DEP_4)
	v_cndmask_b32_e32 v9, v16, v15, vcc_lo
	v_cndmask_b32_e32 v11, v13, v14, vcc_lo
	v_cmp_ne_u32_e32 vcc_lo, 0, v7
	v_xor_b32_e32 v7, s22, v17
	s_delay_alu instid0(VALU_DEP_3) | instskip(SKIP_2) | instid1(VALU_DEP_3)
	v_cndmask_b32_e32 v3, v3, v11, vcc_lo
	v_cndmask_b32_e32 v5, v5, v9, vcc_lo
	v_xor_b32_e32 v9, s23, v17
	v_xor_b32_e32 v3, v3, v7
	s_delay_alu instid0(VALU_DEP_2) | instskip(NEXT) | instid1(VALU_DEP_2)
	v_xor_b32_e32 v5, v5, v9
	v_sub_co_u32 v14, vcc_lo, v3, v7
	s_delay_alu instid0(VALU_DEP_2)
	v_sub_co_ci_u32_e32 v15, vcc_lo, v5, v9, vcc_lo
.LBB89_32:                              ;   in Loop: Header=BB89_22 Depth=2
	s_and_not1_saveexec_b32 s0, s49
	s_cbranch_execz .LBB89_34
; %bb.33:                               ;   in Loop: Header=BB89_22 Depth=2
	v_cvt_f32_u32_e32 v3, s48
	s_sub_i32 s22, 0, s48
	v_mov_b32_e32 v15, v2
	s_delay_alu instid0(VALU_DEP_2) | instskip(SKIP_2) | instid1(VALU_DEP_1)
	v_rcp_iflag_f32_e32 v3, v3
	s_waitcnt_depctr 0xfff
	v_mul_f32_e32 v3, 0x4f7ffffe, v3
	v_cvt_u32_f32_e32 v3, v3
	s_delay_alu instid0(VALU_DEP_1) | instskip(NEXT) | instid1(VALU_DEP_1)
	v_mul_lo_u32 v5, s22, v3
	v_mul_hi_u32 v5, v3, v5
	s_delay_alu instid0(VALU_DEP_1) | instskip(NEXT) | instid1(VALU_DEP_1)
	v_add_nc_u32_e32 v3, v3, v5
	v_mul_hi_u32 v3, v12, v3
	s_delay_alu instid0(VALU_DEP_1) | instskip(SKIP_1) | instid1(VALU_DEP_2)
	v_mul_lo_u32 v5, v3, s48
	v_add_nc_u32_e32 v7, 1, v3
	v_sub_nc_u32_e32 v5, v12, v5
	s_delay_alu instid0(VALU_DEP_1) | instskip(SKIP_1) | instid1(VALU_DEP_4)
	v_cmp_le_u32_e32 vcc_lo, s48, v5
	v_subrev_nc_u32_e32 v9, s48, v5
	v_cndmask_b32_e32 v3, v3, v7, vcc_lo
	s_delay_alu instid0(VALU_DEP_1) | instskip(NEXT) | instid1(VALU_DEP_3)
	v_add_nc_u32_e32 v7, 1, v3
	v_cndmask_b32_e32 v5, v5, v9, vcc_lo
	s_delay_alu instid0(VALU_DEP_1) | instskip(NEXT) | instid1(VALU_DEP_3)
	v_cmp_le_u32_e32 vcc_lo, s48, v5
	v_cndmask_b32_e32 v14, v3, v7, vcc_lo
.LBB89_34:                              ;   in Loop: Header=BB89_22 Depth=2
	s_or_b32 exec_lo, exec_lo, s0
	s_add_u32 s28, s36, s24
	s_addc_u32 s29, s37, s25
	s_add_i32 s22, s16, -3
	s_mov_b32 s23, s17
                                        ; implicit-def: $vgpr16_vgpr17
	s_delay_alu instid0(SALU_CYCLE_1) | instskip(NEXT) | instid1(SALU_CYCLE_1)
	s_lshl_b64 s[24:25], s[22:23], 2
	s_add_u32 s22, s31, s24
	s_addc_u32 s23, s33, s25
	s_clause 0x2
	s_load_b32 s51, s[22:23], 0x8
	s_load_b32 s49, s[26:27], 0x6c
	s_load_b32 s50, s[28:29], 0x0
	s_mov_b32 s26, exec_lo
	s_waitcnt lgkmcnt(0)
	s_ashr_i32 s0, s51, 31
	s_delay_alu instid0(SALU_CYCLE_1) | instskip(NEXT) | instid1(VALU_DEP_1)
	v_or_b32_e32 v3, s0, v15
	v_cmpx_ne_u64_e32 0, v[2:3]
	s_xor_b32 s52, exec_lo, s26
	s_cbranch_execz .LBB89_36
; %bb.35:                               ;   in Loop: Header=BB89_22 Depth=2
	s_add_u32 s28, s51, s0
	s_mov_b32 s26, s0
	s_mov_b32 s27, s0
	s_addc_u32 s29, s0, s0
	s_delay_alu instid0(SALU_CYCLE_1) | instskip(NEXT) | instid1(SALU_CYCLE_1)
	s_xor_b64 s[28:29], s[28:29], s[26:27]
	v_cvt_f32_u32_e32 v3, s28
	v_cvt_f32_u32_e32 v5, s29
	s_sub_u32 s0, 0, s28
	s_subb_u32 s53, 0, s29
	s_delay_alu instid0(VALU_DEP_1) | instskip(NEXT) | instid1(VALU_DEP_1)
	v_fmac_f32_e32 v3, 0x4f800000, v5
	v_rcp_f32_e32 v3, v3
	s_waitcnt_depctr 0xfff
	v_mul_f32_e32 v3, 0x5f7ffffc, v3
	s_delay_alu instid0(VALU_DEP_1) | instskip(NEXT) | instid1(VALU_DEP_1)
	v_mul_f32_e32 v5, 0x2f800000, v3
	v_trunc_f32_e32 v5, v5
	s_delay_alu instid0(VALU_DEP_1) | instskip(SKIP_1) | instid1(VALU_DEP_2)
	v_fmac_f32_e32 v3, 0xcf800000, v5
	v_cvt_u32_f32_e32 v5, v5
	v_cvt_u32_f32_e32 v3, v3
	s_delay_alu instid0(VALU_DEP_2) | instskip(NEXT) | instid1(VALU_DEP_2)
	v_mul_lo_u32 v7, s0, v5
	v_mul_hi_u32 v9, s0, v3
	v_mul_lo_u32 v11, s53, v3
	s_delay_alu instid0(VALU_DEP_2) | instskip(SKIP_1) | instid1(VALU_DEP_2)
	v_add_nc_u32_e32 v7, v9, v7
	v_mul_lo_u32 v9, s0, v3
	v_add_nc_u32_e32 v7, v7, v11
	s_delay_alu instid0(VALU_DEP_2) | instskip(NEXT) | instid1(VALU_DEP_2)
	v_mul_hi_u32 v11, v3, v9
	v_mul_lo_u32 v13, v3, v7
	v_mul_hi_u32 v16, v3, v7
	v_mul_hi_u32 v17, v5, v9
	v_mul_lo_u32 v9, v5, v9
	v_mul_hi_u32 v21, v5, v7
	v_mul_lo_u32 v7, v5, v7
	v_add_co_u32 v11, vcc_lo, v11, v13
	v_add_co_ci_u32_e32 v13, vcc_lo, 0, v16, vcc_lo
	s_delay_alu instid0(VALU_DEP_2) | instskip(NEXT) | instid1(VALU_DEP_2)
	v_add_co_u32 v9, vcc_lo, v11, v9
	v_add_co_ci_u32_e32 v9, vcc_lo, v13, v17, vcc_lo
	v_add_co_ci_u32_e32 v11, vcc_lo, 0, v21, vcc_lo
	v_ashrrev_i32_e32 v17, 31, v15
	s_delay_alu instid0(VALU_DEP_3) | instskip(NEXT) | instid1(VALU_DEP_3)
	v_add_co_u32 v7, vcc_lo, v9, v7
	v_add_co_ci_u32_e32 v9, vcc_lo, 0, v11, vcc_lo
	s_delay_alu instid0(VALU_DEP_2) | instskip(NEXT) | instid1(VALU_DEP_2)
	v_add_co_u32 v3, vcc_lo, v3, v7
	v_add_co_ci_u32_e32 v5, vcc_lo, v5, v9, vcc_lo
	s_delay_alu instid0(VALU_DEP_2) | instskip(SKIP_1) | instid1(VALU_DEP_3)
	v_mul_hi_u32 v7, s0, v3
	v_mul_lo_u32 v11, s53, v3
	v_mul_lo_u32 v9, s0, v5
	s_delay_alu instid0(VALU_DEP_1) | instskip(SKIP_1) | instid1(VALU_DEP_2)
	v_add_nc_u32_e32 v7, v7, v9
	v_mul_lo_u32 v9, s0, v3
	v_add_nc_u32_e32 v7, v7, v11
	s_delay_alu instid0(VALU_DEP_2) | instskip(NEXT) | instid1(VALU_DEP_2)
	v_mul_hi_u32 v11, v3, v9
	v_mul_lo_u32 v13, v3, v7
	v_mul_hi_u32 v16, v3, v7
	v_mul_hi_u32 v21, v5, v9
	v_mul_lo_u32 v9, v5, v9
	v_mul_hi_u32 v22, v5, v7
	v_mul_lo_u32 v7, v5, v7
	v_add_co_u32 v11, vcc_lo, v11, v13
	v_add_co_ci_u32_e32 v13, vcc_lo, 0, v16, vcc_lo
	s_delay_alu instid0(VALU_DEP_2) | instskip(NEXT) | instid1(VALU_DEP_2)
	v_add_co_u32 v9, vcc_lo, v11, v9
	v_add_co_ci_u32_e32 v9, vcc_lo, v13, v21, vcc_lo
	v_add_co_ci_u32_e32 v11, vcc_lo, 0, v22, vcc_lo
	v_add_co_u32 v13, vcc_lo, v14, v17
	v_add_co_ci_u32_e32 v15, vcc_lo, v15, v17, vcc_lo
	s_delay_alu instid0(VALU_DEP_4) | instskip(NEXT) | instid1(VALU_DEP_4)
	v_add_co_u32 v7, vcc_lo, v9, v7
	v_add_co_ci_u32_e32 v9, vcc_lo, 0, v11, vcc_lo
	s_delay_alu instid0(VALU_DEP_4) | instskip(NEXT) | instid1(VALU_DEP_3)
	v_xor_b32_e32 v11, v13, v17
	v_add_co_u32 v3, vcc_lo, v3, v7
	s_delay_alu instid0(VALU_DEP_3) | instskip(SKIP_1) | instid1(VALU_DEP_3)
	v_add_co_ci_u32_e32 v5, vcc_lo, v5, v9, vcc_lo
	v_xor_b32_e32 v7, v15, v17
	v_mul_hi_u32 v9, v11, v3
	s_delay_alu instid0(VALU_DEP_3) | instskip(NEXT) | instid1(VALU_DEP_3)
	v_mad_u64_u32 v[15:16], null, v11, v5, 0
	v_mad_u64_u32 v[21:22], null, v7, v3, 0
	;; [unrolled: 1-line block ×3, first 2 shown]
	s_delay_alu instid0(VALU_DEP_3) | instskip(NEXT) | instid1(VALU_DEP_4)
	v_add_co_u32 v3, vcc_lo, v9, v15
	v_add_co_ci_u32_e32 v5, vcc_lo, 0, v16, vcc_lo
	s_delay_alu instid0(VALU_DEP_2) | instskip(NEXT) | instid1(VALU_DEP_2)
	v_add_co_u32 v3, vcc_lo, v3, v21
	v_add_co_ci_u32_e32 v3, vcc_lo, v5, v22, vcc_lo
	v_add_co_ci_u32_e32 v5, vcc_lo, 0, v24, vcc_lo
	s_delay_alu instid0(VALU_DEP_2) | instskip(NEXT) | instid1(VALU_DEP_2)
	v_add_co_u32 v3, vcc_lo, v3, v23
	v_add_co_ci_u32_e32 v5, vcc_lo, 0, v5, vcc_lo
	s_delay_alu instid0(VALU_DEP_2) | instskip(SKIP_1) | instid1(VALU_DEP_3)
	v_mul_lo_u32 v9, s29, v3
	v_mad_u64_u32 v[15:16], null, s28, v3, 0
	v_mul_lo_u32 v13, s28, v5
	s_delay_alu instid0(VALU_DEP_2) | instskip(NEXT) | instid1(VALU_DEP_2)
	v_sub_co_u32 v11, vcc_lo, v11, v15
	v_add3_u32 v9, v16, v13, v9
	s_delay_alu instid0(VALU_DEP_1) | instskip(NEXT) | instid1(VALU_DEP_1)
	v_sub_nc_u32_e32 v13, v7, v9
	v_subrev_co_ci_u32_e64 v13, s0, s29, v13, vcc_lo
	v_add_co_u32 v15, s0, v3, 2
	s_delay_alu instid0(VALU_DEP_1) | instskip(SKIP_3) | instid1(VALU_DEP_3)
	v_add_co_ci_u32_e64 v16, s0, 0, v5, s0
	v_sub_co_u32 v21, s0, v11, s28
	v_sub_co_ci_u32_e32 v7, vcc_lo, v7, v9, vcc_lo
	v_subrev_co_ci_u32_e64 v13, s0, 0, v13, s0
	v_cmp_le_u32_e32 vcc_lo, s28, v21
	s_delay_alu instid0(VALU_DEP_3) | instskip(SKIP_1) | instid1(VALU_DEP_4)
	v_cmp_eq_u32_e64 s0, s29, v7
	v_cndmask_b32_e64 v9, 0, -1, vcc_lo
	v_cmp_le_u32_e32 vcc_lo, s29, v13
	v_cndmask_b32_e64 v21, 0, -1, vcc_lo
	v_cmp_le_u32_e32 vcc_lo, s28, v11
	;; [unrolled: 2-line block ×3, first 2 shown]
	v_cndmask_b32_e64 v22, 0, -1, vcc_lo
	v_cmp_eq_u32_e32 vcc_lo, s29, v13
	s_delay_alu instid0(VALU_DEP_2) | instskip(SKIP_3) | instid1(VALU_DEP_3)
	v_cndmask_b32_e64 v7, v22, v11, s0
	v_cndmask_b32_e32 v9, v21, v9, vcc_lo
	v_add_co_u32 v13, vcc_lo, v3, 1
	v_add_co_ci_u32_e32 v21, vcc_lo, 0, v5, vcc_lo
	v_cmp_ne_u32_e32 vcc_lo, 0, v9
	s_delay_alu instid0(VALU_DEP_2) | instskip(NEXT) | instid1(VALU_DEP_4)
	v_cndmask_b32_e32 v9, v21, v16, vcc_lo
	v_cndmask_b32_e32 v11, v13, v15, vcc_lo
	v_cmp_ne_u32_e32 vcc_lo, 0, v7
	v_xor_b32_e32 v7, s26, v17
	s_delay_alu instid0(VALU_DEP_3) | instskip(SKIP_2) | instid1(VALU_DEP_3)
	v_cndmask_b32_e32 v3, v3, v11, vcc_lo
	v_cndmask_b32_e32 v5, v5, v9, vcc_lo
	v_xor_b32_e32 v9, s27, v17
	v_xor_b32_e32 v3, v3, v7
	s_delay_alu instid0(VALU_DEP_2) | instskip(NEXT) | instid1(VALU_DEP_2)
	v_xor_b32_e32 v5, v5, v9
	v_sub_co_u32 v16, vcc_lo, v3, v7
	s_delay_alu instid0(VALU_DEP_2)
	v_sub_co_ci_u32_e32 v17, vcc_lo, v5, v9, vcc_lo
.LBB89_36:                              ;   in Loop: Header=BB89_22 Depth=2
	s_and_not1_saveexec_b32 s0, s52
	s_cbranch_execz .LBB89_38
; %bb.37:                               ;   in Loop: Header=BB89_22 Depth=2
	v_cvt_f32_u32_e32 v3, s51
	s_sub_i32 s26, 0, s51
	v_mov_b32_e32 v17, v2
	s_delay_alu instid0(VALU_DEP_2) | instskip(SKIP_2) | instid1(VALU_DEP_1)
	v_rcp_iflag_f32_e32 v3, v3
	s_waitcnt_depctr 0xfff
	v_mul_f32_e32 v3, 0x4f7ffffe, v3
	v_cvt_u32_f32_e32 v3, v3
	s_delay_alu instid0(VALU_DEP_1) | instskip(NEXT) | instid1(VALU_DEP_1)
	v_mul_lo_u32 v5, s26, v3
	v_mul_hi_u32 v5, v3, v5
	s_delay_alu instid0(VALU_DEP_1) | instskip(NEXT) | instid1(VALU_DEP_1)
	v_add_nc_u32_e32 v3, v3, v5
	v_mul_hi_u32 v3, v14, v3
	s_delay_alu instid0(VALU_DEP_1) | instskip(SKIP_1) | instid1(VALU_DEP_2)
	v_mul_lo_u32 v5, v3, s51
	v_add_nc_u32_e32 v7, 1, v3
	v_sub_nc_u32_e32 v5, v14, v5
	s_delay_alu instid0(VALU_DEP_1) | instskip(SKIP_1) | instid1(VALU_DEP_4)
	v_cmp_le_u32_e32 vcc_lo, s51, v5
	v_subrev_nc_u32_e32 v9, s51, v5
	v_cndmask_b32_e32 v3, v3, v7, vcc_lo
	s_delay_alu instid0(VALU_DEP_1) | instskip(NEXT) | instid1(VALU_DEP_3)
	v_add_nc_u32_e32 v7, 1, v3
	v_cndmask_b32_e32 v5, v5, v9, vcc_lo
	s_delay_alu instid0(VALU_DEP_1) | instskip(NEXT) | instid1(VALU_DEP_3)
	v_cmp_le_u32_e32 vcc_lo, s51, v5
	v_cndmask_b32_e32 v16, v3, v7, vcc_lo
.LBB89_38:                              ;   in Loop: Header=BB89_22 Depth=2
	s_or_b32 exec_lo, exec_lo, s0
	s_add_u32 s24, s36, s24
	s_addc_u32 s25, s37, s25
	v_mul_lo_u32 v3, v10, s13
	s_clause 0x1
	s_load_b32 s0, s[22:23], 0x6c
	s_load_b32 s13, s[24:25], 0x0
	v_mul_lo_u32 v5, v12, s45
	v_mul_lo_u32 v7, v14, s48
	;; [unrolled: 1-line block ×3, first 2 shown]
	s_add_i32 s16, s16, -4
	s_delay_alu instid0(SALU_CYCLE_1) | instskip(SKIP_1) | instid1(VALU_DEP_4)
	s_cmp_eq_u32 s16, -1
	v_sub_nc_u32_e32 v3, v8, v3
	v_sub_nc_u32_e32 v5, v10, v5
	s_delay_alu instid0(VALU_DEP_4) | instskip(NEXT) | instid1(VALU_DEP_4)
	v_sub_nc_u32_e32 v7, v12, v7
	v_sub_nc_u32_e32 v8, v14, v9
	s_delay_alu instid0(VALU_DEP_4)
	v_mul_lo_u32 v9, s43, v3
	v_mul_lo_u32 v3, s44, v3
	;; [unrolled: 1-line block ×6, first 2 shown]
	s_waitcnt lgkmcnt(0)
	v_mul_lo_u32 v12, s0, v8
	v_mul_lo_u32 v8, s13, v8
	v_add3_u32 v6, v9, v6, v10
	v_add3_u32 v3, v3, v4, v5
	s_delay_alu instid0(VALU_DEP_2) | instskip(NEXT) | instid1(VALU_DEP_2)
	v_add3_u32 v6, v11, v6, v12
	v_add3_u32 v4, v7, v3, v8
	s_cbranch_scc1 .LBB89_40
; %bb.39:                               ;   in Loop: Header=BB89_22 Depth=2
	v_dual_mov_b32 v8, v16 :: v_dual_mov_b32 v9, v17
	s_branch .LBB89_22
.LBB89_40:                              ;   in Loop: Header=BB89_3 Depth=1
	v_sub_nc_u32_e32 v5, v19, v20
	v_mov_b32_e32 v7, 0
	v_dual_mov_b32 v3, 0 :: v_dual_mov_b32 v8, 0
	s_delay_alu instid0(VALU_DEP_3) | instskip(NEXT) | instid1(VALU_DEP_1)
	v_add_nc_u32_e32 v9, 2, v5
	v_ashrrev_i32_e32 v10, 31, v9
	s_delay_alu instid0(VALU_DEP_1)
	v_cmp_le_i64_e32 vcc_lo, s[4:5], v[9:10]
	v_mov_b32_e32 v10, 0
	s_and_saveexec_b32 s13, vcc_lo
	s_cbranch_execz .LBB89_46
; %bb.41:                               ;   in Loop: Header=BB89_3 Depth=1
	v_dual_mov_b32 v7, 0 :: v_dual_mov_b32 v8, 0
	v_mov_b32_e32 v3, 0
	v_mov_b32_e32 v9, 0
	s_mov_b32 s0, exec_lo
	v_cmpx_gt_i32_e64 s9, v19
	s_cbranch_execz .LBB89_45
; %bb.42:                               ;   in Loop: Header=BB89_3 Depth=1
	v_ashrrev_i32_e32 v7, 31, v6
	v_dual_mov_b32 v9, 0 :: v_dual_add_nc_u32 v8, 1, v19
	s_delay_alu instid0(VALU_DEP_2) | instskip(NEXT) | instid1(VALU_DEP_1)
	v_lshlrev_b64 v[6:7], 2, v[6:7]
	v_add_co_u32 v6, vcc_lo, s2, v6
	s_delay_alu instid0(VALU_DEP_2) | instskip(NEXT) | instid1(VALU_DEP_4)
	v_add_co_ci_u32_e32 v7, vcc_lo, s3, v7, vcc_lo
	v_cmp_gt_i32_e32 vcc_lo, s9, v8
	v_mov_b32_e32 v8, 0
	global_load_b32 v3, v[6:7], off
	s_and_saveexec_b32 s16, vcc_lo
	s_delay_alu instid0(SALU_CYCLE_1)
	s_xor_b32 s16, exec_lo, s16
	s_cbranch_execz .LBB89_44
; %bb.43:                               ;   in Loop: Header=BB89_3 Depth=1
	s_lshl_b64 s[22:23], s[18:19], 2
	s_delay_alu instid0(SALU_CYCLE_1)
	v_add_co_u32 v6, vcc_lo, v6, s22
	v_add_co_ci_u32_e32 v7, vcc_lo, s23, v7, vcc_lo
	global_load_b32 v8, v[6:7], off
	s_waitcnt vmcnt(0)
	v_and_b32_e32 v9, 0xffff0000, v8
.LBB89_44:                              ;   in Loop: Header=BB89_3 Depth=1
	s_or_b32 exec_lo, exec_lo, s16
	s_waitcnt vmcnt(0)
	v_lshrrev_b32_e32 v7, 16, v3
.LBB89_45:                              ;   in Loop: Header=BB89_3 Depth=1
	s_or_b32 exec_lo, exec_lo, s0
	v_add_nc_u32_e32 v10, 1, v5
	v_ashrrev_i32_e32 v6, 31, v5
	s_delay_alu instid0(VALU_DEP_2) | instskip(NEXT) | instid1(VALU_DEP_2)
	v_ashrrev_i32_e32 v11, 31, v10
	v_cmp_gt_i64_e32 vcc_lo, s[4:5], v[5:6]
	s_delay_alu instid0(VALU_DEP_2) | instskip(SKIP_2) | instid1(VALU_DEP_3)
	v_cmp_gt_i64_e64 s0, s[4:5], v[10:11]
	v_cndmask_b32_e64 v3, v3, 0, vcc_lo
	v_cndmask_b32_e64 v10, v7, 0, vcc_lo
	v_cndmask_b32_e64 v7, v8, 0, s0
	v_cndmask_b32_e64 v8, v9, 0, s0
.LBB89_46:                              ;   in Loop: Header=BB89_3 Depth=1
	s_or_b32 exec_lo, exec_lo, s13
	s_delay_alu instid0(SALU_CYCLE_1)
	s_mov_b32 s0, exec_lo
	v_cmpx_gt_i32_e64 s9, v19
	s_cbranch_execz .LBB89_2
; %bb.47:                               ;   in Loop: Header=BB89_3 Depth=1
	v_ashrrev_i32_e32 v5, 31, v4
	v_and_b32_e32 v6, 0xffff, v3
	v_add_nc_u32_e32 v9, 1, v19
	s_mov_b32 s13, exec_lo
	s_delay_alu instid0(VALU_DEP_3) | instskip(NEXT) | instid1(VALU_DEP_1)
	v_lshlrev_b64 v[4:5], 2, v[4:5]
	v_add_co_u32 v3, vcc_lo, s14, v4
	s_delay_alu instid0(VALU_DEP_2)
	v_add_co_ci_u32_e32 v4, vcc_lo, s15, v5, vcc_lo
	v_lshl_or_b32 v5, v10, 16, v6
	global_store_b32 v[3:4], v5, off
	v_cmpx_gt_i32_e64 s9, v9
	s_xor_b32 s13, exec_lo, s13
	s_cbranch_execz .LBB89_2
; %bb.48:                               ;   in Loop: Header=BB89_3 Depth=1
	s_lshl_b64 s[22:23], s[20:21], 2
	v_bfi_b32 v5, 0xffff0000, v8, v7
	v_add_co_u32 v3, vcc_lo, v3, s22
	v_add_co_ci_u32_e32 v4, vcc_lo, s23, v4, vcc_lo
	global_store_b32 v[3:4], v5, off
	s_branch .LBB89_2
.LBB89_49:
	s_nop 0
	s_sendmsg sendmsg(MSG_DEALLOC_VGPRS)
	s_endpgm
	.section	.rodata,"a",@progbits
	.p2align	6, 0x0
	.amdhsa_kernel _ZN2at6native16triu_tril_kernelIN3c107complexINS2_4HalfEEEiLb1ELi2ELb0EEEvNS_4cuda6detail10TensorInfoIT_T0_EENS8_IKS9_SA_EEllSA_
		.amdhsa_group_segment_fixed_size 0
		.amdhsa_private_segment_fixed_size 0
		.amdhsa_kernarg_size 712
		.amdhsa_user_sgpr_count 15
		.amdhsa_user_sgpr_dispatch_ptr 0
		.amdhsa_user_sgpr_queue_ptr 0
		.amdhsa_user_sgpr_kernarg_segment_ptr 1
		.amdhsa_user_sgpr_dispatch_id 0
		.amdhsa_user_sgpr_private_segment_size 0
		.amdhsa_wavefront_size32 1
		.amdhsa_uses_dynamic_stack 0
		.amdhsa_enable_private_segment 0
		.amdhsa_system_sgpr_workgroup_id_x 1
		.amdhsa_system_sgpr_workgroup_id_y 0
		.amdhsa_system_sgpr_workgroup_id_z 0
		.amdhsa_system_sgpr_workgroup_info 0
		.amdhsa_system_vgpr_workitem_id 0
		.amdhsa_next_free_vgpr 25
		.amdhsa_next_free_sgpr 54
		.amdhsa_reserve_vcc 1
		.amdhsa_float_round_mode_32 0
		.amdhsa_float_round_mode_16_64 0
		.amdhsa_float_denorm_mode_32 3
		.amdhsa_float_denorm_mode_16_64 3
		.amdhsa_dx10_clamp 1
		.amdhsa_ieee_mode 1
		.amdhsa_fp16_overflow 0
		.amdhsa_workgroup_processor_mode 1
		.amdhsa_memory_ordered 1
		.amdhsa_forward_progress 0
		.amdhsa_shared_vgpr_count 0
		.amdhsa_exception_fp_ieee_invalid_op 0
		.amdhsa_exception_fp_denorm_src 0
		.amdhsa_exception_fp_ieee_div_zero 0
		.amdhsa_exception_fp_ieee_overflow 0
		.amdhsa_exception_fp_ieee_underflow 0
		.amdhsa_exception_fp_ieee_inexact 0
		.amdhsa_exception_int_div_zero 0
	.end_amdhsa_kernel
	.section	.text._ZN2at6native16triu_tril_kernelIN3c107complexINS2_4HalfEEEiLb1ELi2ELb0EEEvNS_4cuda6detail10TensorInfoIT_T0_EENS8_IKS9_SA_EEllSA_,"axG",@progbits,_ZN2at6native16triu_tril_kernelIN3c107complexINS2_4HalfEEEiLb1ELi2ELb0EEEvNS_4cuda6detail10TensorInfoIT_T0_EENS8_IKS9_SA_EEllSA_,comdat
.Lfunc_end89:
	.size	_ZN2at6native16triu_tril_kernelIN3c107complexINS2_4HalfEEEiLb1ELi2ELb0EEEvNS_4cuda6detail10TensorInfoIT_T0_EENS8_IKS9_SA_EEllSA_, .Lfunc_end89-_ZN2at6native16triu_tril_kernelIN3c107complexINS2_4HalfEEEiLb1ELi2ELb0EEEvNS_4cuda6detail10TensorInfoIT_T0_EENS8_IKS9_SA_EEllSA_
                                        ; -- End function
	.section	.AMDGPU.csdata,"",@progbits
; Kernel info:
; codeLenInByte = 8436
; NumSgprs: 56
; NumVgprs: 25
; ScratchSize: 0
; MemoryBound: 0
; FloatMode: 240
; IeeeMode: 1
; LDSByteSize: 0 bytes/workgroup (compile time only)
; SGPRBlocks: 6
; VGPRBlocks: 3
; NumSGPRsForWavesPerEU: 56
; NumVGPRsForWavesPerEU: 25
; Occupancy: 16
; WaveLimiterHint : 0
; COMPUTE_PGM_RSRC2:SCRATCH_EN: 0
; COMPUTE_PGM_RSRC2:USER_SGPR: 15
; COMPUTE_PGM_RSRC2:TRAP_HANDLER: 0
; COMPUTE_PGM_RSRC2:TGID_X_EN: 1
; COMPUTE_PGM_RSRC2:TGID_Y_EN: 0
; COMPUTE_PGM_RSRC2:TGID_Z_EN: 0
; COMPUTE_PGM_RSRC2:TIDIG_COMP_CNT: 0
	.section	.text._ZN2at6native16triu_tril_kernelIN3c107complexINS2_4HalfEEElLb1ELi2ELb1EEEvNS_4cuda6detail10TensorInfoIT_T0_EENS8_IKS9_SA_EEllSA_,"axG",@progbits,_ZN2at6native16triu_tril_kernelIN3c107complexINS2_4HalfEEElLb1ELi2ELb1EEEvNS_4cuda6detail10TensorInfoIT_T0_EENS8_IKS9_SA_EEllSA_,comdat
	.protected	_ZN2at6native16triu_tril_kernelIN3c107complexINS2_4HalfEEElLb1ELi2ELb1EEEvNS_4cuda6detail10TensorInfoIT_T0_EENS8_IKS9_SA_EEllSA_ ; -- Begin function _ZN2at6native16triu_tril_kernelIN3c107complexINS2_4HalfEEElLb1ELi2ELb1EEEvNS_4cuda6detail10TensorInfoIT_T0_EENS8_IKS9_SA_EEllSA_
	.globl	_ZN2at6native16triu_tril_kernelIN3c107complexINS2_4HalfEEElLb1ELi2ELb1EEEvNS_4cuda6detail10TensorInfoIT_T0_EENS8_IKS9_SA_EEllSA_
	.p2align	8
	.type	_ZN2at6native16triu_tril_kernelIN3c107complexINS2_4HalfEEElLb1ELi2ELb1EEEvNS_4cuda6detail10TensorInfoIT_T0_EENS8_IKS9_SA_EEllSA_,@function
_ZN2at6native16triu_tril_kernelIN3c107complexINS2_4HalfEEElLb1ELi2ELb1EEEvNS_4cuda6detail10TensorInfoIT_T0_EENS8_IKS9_SA_EEllSA_: ; @_ZN2at6native16triu_tril_kernelIN3c107complexINS2_4HalfEEElLb1ELi2ELb1EEEvNS_4cuda6detail10TensorInfoIT_T0_EENS8_IKS9_SA_EEllSA_
; %bb.0:
	s_clause 0x1
	s_load_b32 s2, s[0:1], 0x364
	s_load_b128 s[4:7], s[0:1], 0x340
	v_mov_b32_e32 v2, 0
	s_add_u32 s8, s0, 0x358
	s_addc_u32 s9, s1, 0
	s_delay_alu instid0(VALU_DEP_1) | instskip(SKIP_3) | instid1(VALU_DEP_1)
	v_mov_b32_e32 v1, v2
	s_waitcnt lgkmcnt(0)
	s_and_b32 s10, s2, 0xffff
	s_mov_b32 s2, exec_lo
	v_mad_u64_u32 v[3:4], null, s10, s15, v[0:1]
	s_delay_alu instid0(VALU_DEP_1) | instskip(NEXT) | instid1(VALU_DEP_1)
	v_lshlrev_b64 v[0:1], 1, v[3:4]
	v_cmpx_gt_i64_e64 s[6:7], v[0:1]
	s_cbranch_execz .LBB90_21
; %bb.1:
	s_clause 0x1
	s_load_b32 s24, s[0:1], 0x338
	s_load_b64 s[2:3], s[0:1], 0x350
	s_load_b32 s11, s[8:9], 0x0
	s_load_b64 s[8:9], s[0:1], 0x0
	s_mov_b32 s45, 0
	s_waitcnt lgkmcnt(0)
	s_ashr_i32 s25, s24, 31
	s_add_u32 s20, s0, 0x1a8
	s_addc_u32 s21, s1, 0
	s_lshl_b64 s[12:13], s[24:25], 3
	v_cvt_f32_u32_e32 v3, s2
	s_add_u32 s14, s12, -16
	s_addc_u32 s15, s13, -1
	s_add_u32 s22, s20, s14
	s_addc_u32 s23, s21, s15
	v_rcp_iflag_f32_e32 v3, v3
	s_add_u32 s17, s12, -8
	s_addc_u32 s18, s13, -1
	s_add_u32 s26, s0, 0xd0
	s_addc_u32 s27, s1, 0
	s_mul_i32 s16, s11, s10
	s_add_u32 s10, s26, s17
	s_addc_u32 s11, s27, s18
	s_add_u32 s12, s26, s14
	s_addc_u32 s13, s27, s15
	s_add_i32 s0, s24, -3
	s_waitcnt_depctr 0xfff
	v_mul_f32_e32 v3, 0x4f7ffffe, v3
	s_ashr_i32 s1, s0, 31
	s_add_u32 s14, s20, s17
	s_addc_u32 s15, s21, s18
	s_lshl_b64 s[18:19], s[0:1], 3
	s_lshl_b32 s33, s16, 1
	s_add_u32 s16, s26, s18
	s_addc_u32 s17, s27, s19
	v_cvt_u32_f32_e32 v3, v3
	s_add_u32 s18, s20, s18
	s_addc_u32 s19, s21, s19
	s_add_u32 s20, s0, 1
	s_addc_u32 s21, s1, 0
	s_sub_i32 s0, 0, s2
	s_load_b64 s[22:23], s[22:23], 0x0
	v_mul_lo_u32 v4, s0, v3
	v_cmp_gt_i64_e64 s44, s[24:25], 2
	s_ashr_i32 s24, s3, 31
	s_delay_alu instid0(VALU_DEP_2) | instskip(NEXT) | instid1(VALU_DEP_1)
	v_mul_hi_u32 v4, v3, v4
	v_add_nc_u32_e32 v14, v3, v4
	s_waitcnt lgkmcnt(0)
	s_ashr_i32 s26, s23, 31
	s_branch .LBB90_3
.LBB90_2:                               ;   in Loop: Header=BB90_3 Depth=1
	s_or_b32 exec_lo, exec_lo, s25
	v_add_co_u32 v0, vcc_lo, v0, s33
	v_add_co_ci_u32_e32 v1, vcc_lo, 0, v1, vcc_lo
	s_delay_alu instid0(VALU_DEP_1) | instskip(SKIP_1) | instid1(SALU_CYCLE_1)
	v_cmp_le_i64_e32 vcc_lo, s[6:7], v[0:1]
	s_or_b32 s45, vcc_lo, s45
	s_and_not1_b32 exec_lo, exec_lo, s45
	s_cbranch_execz .LBB90_21
.LBB90_3:                               ; =>This Loop Header: Depth=1
                                        ;     Child Loop BB90_17 Depth 2
	v_or_b32_e32 v3, s3, v1
                                        ; implicit-def: $vgpr8_vgpr9
	s_mov_b32 s0, exec_lo
	s_delay_alu instid0(VALU_DEP_1)
	v_cmpx_ne_u64_e32 0, v[2:3]
	s_xor_b32 s1, exec_lo, s0
	s_cbranch_execz .LBB90_5
; %bb.4:                                ;   in Loop: Header=BB90_3 Depth=1
	s_add_u32 s28, s2, s24
	s_mov_b32 s25, s24
	s_addc_u32 s29, s3, s24
	s_delay_alu instid0(SALU_CYCLE_1) | instskip(NEXT) | instid1(SALU_CYCLE_1)
	s_xor_b64 s[28:29], s[28:29], s[24:25]
	v_cvt_f32_u32_e32 v3, s28
	v_cvt_f32_u32_e32 v4, s29
	s_sub_u32 s0, 0, s28
	s_subb_u32 s25, 0, s29
	s_delay_alu instid0(VALU_DEP_1) | instskip(NEXT) | instid1(VALU_DEP_1)
	v_fmac_f32_e32 v3, 0x4f800000, v4
	v_rcp_f32_e32 v3, v3
	s_waitcnt_depctr 0xfff
	v_mul_f32_e32 v3, 0x5f7ffffc, v3
	s_delay_alu instid0(VALU_DEP_1) | instskip(NEXT) | instid1(VALU_DEP_1)
	v_mul_f32_e32 v4, 0x2f800000, v3
	v_trunc_f32_e32 v4, v4
	s_delay_alu instid0(VALU_DEP_1) | instskip(SKIP_1) | instid1(VALU_DEP_2)
	v_fmac_f32_e32 v3, 0xcf800000, v4
	v_cvt_u32_f32_e32 v4, v4
	v_cvt_u32_f32_e32 v3, v3
	s_delay_alu instid0(VALU_DEP_2) | instskip(NEXT) | instid1(VALU_DEP_2)
	v_mul_lo_u32 v5, s0, v4
	v_mul_hi_u32 v6, s0, v3
	v_mul_lo_u32 v7, s25, v3
	s_delay_alu instid0(VALU_DEP_2) | instskip(SKIP_1) | instid1(VALU_DEP_2)
	v_add_nc_u32_e32 v5, v6, v5
	v_mul_lo_u32 v6, s0, v3
	v_add_nc_u32_e32 v5, v5, v7
	s_delay_alu instid0(VALU_DEP_2) | instskip(NEXT) | instid1(VALU_DEP_2)
	v_mul_hi_u32 v7, v3, v6
	v_mul_lo_u32 v8, v3, v5
	v_mul_hi_u32 v9, v3, v5
	v_mul_hi_u32 v10, v4, v6
	v_mul_lo_u32 v6, v4, v6
	v_mul_hi_u32 v11, v4, v5
	v_mul_lo_u32 v5, v4, v5
	v_add_co_u32 v7, vcc_lo, v7, v8
	v_add_co_ci_u32_e32 v8, vcc_lo, 0, v9, vcc_lo
	s_delay_alu instid0(VALU_DEP_2) | instskip(NEXT) | instid1(VALU_DEP_2)
	v_add_co_u32 v6, vcc_lo, v7, v6
	v_add_co_ci_u32_e32 v6, vcc_lo, v8, v10, vcc_lo
	v_add_co_ci_u32_e32 v7, vcc_lo, 0, v11, vcc_lo
	v_ashrrev_i32_e32 v10, 31, v1
	s_delay_alu instid0(VALU_DEP_3) | instskip(NEXT) | instid1(VALU_DEP_3)
	v_add_co_u32 v5, vcc_lo, v6, v5
	v_add_co_ci_u32_e32 v6, vcc_lo, 0, v7, vcc_lo
	s_delay_alu instid0(VALU_DEP_2) | instskip(NEXT) | instid1(VALU_DEP_2)
	v_add_co_u32 v3, vcc_lo, v3, v5
	v_add_co_ci_u32_e32 v4, vcc_lo, v4, v6, vcc_lo
	s_delay_alu instid0(VALU_DEP_2) | instskip(SKIP_1) | instid1(VALU_DEP_3)
	v_mul_hi_u32 v5, s0, v3
	v_mul_lo_u32 v7, s25, v3
	v_mul_lo_u32 v6, s0, v4
	s_delay_alu instid0(VALU_DEP_1) | instskip(SKIP_1) | instid1(VALU_DEP_2)
	v_add_nc_u32_e32 v5, v5, v6
	v_mul_lo_u32 v6, s0, v3
	v_add_nc_u32_e32 v5, v5, v7
	s_delay_alu instid0(VALU_DEP_2) | instskip(NEXT) | instid1(VALU_DEP_2)
	v_mul_hi_u32 v7, v3, v6
	v_mul_lo_u32 v8, v3, v5
	v_mul_hi_u32 v9, v3, v5
	v_mul_hi_u32 v11, v4, v6
	v_mul_lo_u32 v6, v4, v6
	v_mul_hi_u32 v12, v4, v5
	v_mul_lo_u32 v5, v4, v5
	v_add_co_u32 v7, vcc_lo, v7, v8
	v_add_co_ci_u32_e32 v8, vcc_lo, 0, v9, vcc_lo
	s_delay_alu instid0(VALU_DEP_2) | instskip(NEXT) | instid1(VALU_DEP_2)
	v_add_co_u32 v6, vcc_lo, v7, v6
	v_add_co_ci_u32_e32 v6, vcc_lo, v8, v11, vcc_lo
	v_add_co_ci_u32_e32 v7, vcc_lo, 0, v12, vcc_lo
	v_add_co_u32 v8, vcc_lo, v0, v10
	v_add_co_ci_u32_e32 v9, vcc_lo, v1, v10, vcc_lo
	s_delay_alu instid0(VALU_DEP_4) | instskip(NEXT) | instid1(VALU_DEP_4)
	v_add_co_u32 v5, vcc_lo, v6, v5
	v_add_co_ci_u32_e32 v6, vcc_lo, 0, v7, vcc_lo
	s_delay_alu instid0(VALU_DEP_4) | instskip(NEXT) | instid1(VALU_DEP_3)
	v_xor_b32_e32 v11, v8, v10
	v_add_co_u32 v7, vcc_lo, v3, v5
	s_delay_alu instid0(VALU_DEP_3) | instskip(SKIP_1) | instid1(VALU_DEP_3)
	v_add_co_ci_u32_e32 v12, vcc_lo, v4, v6, vcc_lo
	v_xor_b32_e32 v9, v9, v10
	v_mul_hi_u32 v13, v11, v7
	s_delay_alu instid0(VALU_DEP_3) | instskip(NEXT) | instid1(VALU_DEP_3)
	v_mad_u64_u32 v[3:4], null, v11, v12, 0
	v_mad_u64_u32 v[5:6], null, v9, v7, 0
	;; [unrolled: 1-line block ×3, first 2 shown]
	s_delay_alu instid0(VALU_DEP_3) | instskip(NEXT) | instid1(VALU_DEP_4)
	v_add_co_u32 v3, vcc_lo, v13, v3
	v_add_co_ci_u32_e32 v4, vcc_lo, 0, v4, vcc_lo
	s_delay_alu instid0(VALU_DEP_2) | instskip(NEXT) | instid1(VALU_DEP_2)
	v_add_co_u32 v3, vcc_lo, v3, v5
	v_add_co_ci_u32_e32 v3, vcc_lo, v4, v6, vcc_lo
	v_add_co_ci_u32_e32 v4, vcc_lo, 0, v8, vcc_lo
	s_delay_alu instid0(VALU_DEP_2) | instskip(NEXT) | instid1(VALU_DEP_2)
	v_add_co_u32 v5, vcc_lo, v3, v7
	v_add_co_ci_u32_e32 v6, vcc_lo, 0, v4, vcc_lo
	s_delay_alu instid0(VALU_DEP_2) | instskip(SKIP_1) | instid1(VALU_DEP_3)
	v_mul_lo_u32 v7, s29, v5
	v_mad_u64_u32 v[3:4], null, s28, v5, 0
	v_mul_lo_u32 v8, s28, v6
	s_delay_alu instid0(VALU_DEP_2) | instskip(NEXT) | instid1(VALU_DEP_2)
	v_sub_co_u32 v3, vcc_lo, v11, v3
	v_add3_u32 v4, v4, v8, v7
	s_delay_alu instid0(VALU_DEP_1) | instskip(NEXT) | instid1(VALU_DEP_1)
	v_sub_nc_u32_e32 v7, v9, v4
	v_subrev_co_ci_u32_e64 v7, s0, s29, v7, vcc_lo
	v_add_co_u32 v8, s0, v5, 2
	s_delay_alu instid0(VALU_DEP_1) | instskip(SKIP_3) | instid1(VALU_DEP_3)
	v_add_co_ci_u32_e64 v11, s0, 0, v6, s0
	v_sub_co_u32 v12, s0, v3, s28
	v_sub_co_ci_u32_e32 v4, vcc_lo, v9, v4, vcc_lo
	v_subrev_co_ci_u32_e64 v7, s0, 0, v7, s0
	v_cmp_le_u32_e32 vcc_lo, s28, v12
	s_delay_alu instid0(VALU_DEP_3) | instskip(SKIP_1) | instid1(VALU_DEP_4)
	v_cmp_eq_u32_e64 s0, s29, v4
	v_cndmask_b32_e64 v9, 0, -1, vcc_lo
	v_cmp_le_u32_e32 vcc_lo, s29, v7
	v_cndmask_b32_e64 v12, 0, -1, vcc_lo
	v_cmp_le_u32_e32 vcc_lo, s28, v3
	;; [unrolled: 2-line block ×3, first 2 shown]
	v_cndmask_b32_e64 v13, 0, -1, vcc_lo
	v_cmp_eq_u32_e32 vcc_lo, s29, v7
	s_delay_alu instid0(VALU_DEP_2) | instskip(SKIP_3) | instid1(VALU_DEP_3)
	v_cndmask_b32_e64 v3, v13, v3, s0
	v_cndmask_b32_e32 v7, v12, v9, vcc_lo
	v_add_co_u32 v9, vcc_lo, v5, 1
	v_add_co_ci_u32_e32 v12, vcc_lo, 0, v6, vcc_lo
	v_cmp_ne_u32_e32 vcc_lo, 0, v7
	s_delay_alu instid0(VALU_DEP_2) | instskip(SKIP_2) | instid1(VALU_DEP_3)
	v_dual_cndmask_b32 v4, v12, v11 :: v_dual_cndmask_b32 v7, v9, v8
	v_cmp_ne_u32_e32 vcc_lo, 0, v3
	v_xor_b32_e32 v3, s24, v10
	v_dual_cndmask_b32 v5, v5, v7 :: v_dual_cndmask_b32 v4, v6, v4
	s_delay_alu instid0(VALU_DEP_1) | instskip(NEXT) | instid1(VALU_DEP_2)
	v_xor_b32_e32 v5, v5, v3
	v_xor_b32_e32 v4, v4, v3
	s_delay_alu instid0(VALU_DEP_2) | instskip(NEXT) | instid1(VALU_DEP_2)
	v_sub_co_u32 v8, vcc_lo, v5, v3
	v_sub_co_ci_u32_e32 v9, vcc_lo, v4, v3, vcc_lo
.LBB90_5:                               ;   in Loop: Header=BB90_3 Depth=1
	s_and_not1_saveexec_b32 s0, s1
; %bb.6:                                ;   in Loop: Header=BB90_3 Depth=1
	v_mul_hi_u32 v3, v0, v14
	v_mov_b32_e32 v9, v2
	s_delay_alu instid0(VALU_DEP_2) | instskip(NEXT) | instid1(VALU_DEP_1)
	v_mul_lo_u32 v4, v3, s2
	v_sub_nc_u32_e32 v4, v0, v4
	s_delay_alu instid0(VALU_DEP_1) | instskip(SKIP_1) | instid1(VALU_DEP_2)
	v_subrev_nc_u32_e32 v6, s2, v4
	v_cmp_le_u32_e32 vcc_lo, s2, v4
	v_dual_cndmask_b32 v4, v4, v6 :: v_dual_add_nc_u32 v5, 1, v3
	s_delay_alu instid0(VALU_DEP_1) | instskip(NEXT) | instid1(VALU_DEP_2)
	v_cndmask_b32_e32 v3, v3, v5, vcc_lo
	v_cmp_le_u32_e32 vcc_lo, s2, v4
	s_delay_alu instid0(VALU_DEP_2) | instskip(NEXT) | instid1(VALU_DEP_1)
	v_add_nc_u32_e32 v5, 1, v3
	v_cndmask_b32_e32 v8, v3, v5, vcc_lo
; %bb.7:                                ;   in Loop: Header=BB90_3 Depth=1
	s_or_b32 exec_lo, exec_lo, s0
	v_or_b32_e32 v3, s23, v9
                                        ; implicit-def: $vgpr6_vgpr7
	s_mov_b32 s0, exec_lo
	s_delay_alu instid0(VALU_DEP_1)
	v_cmpx_ne_u64_e32 0, v[2:3]
	s_xor_b32 s1, exec_lo, s0
	s_cbranch_execz .LBB90_9
; %bb.8:                                ;   in Loop: Header=BB90_3 Depth=1
	s_add_u32 s28, s22, s26
	s_mov_b32 s27, s26
	s_addc_u32 s29, s23, s26
	s_delay_alu instid0(SALU_CYCLE_1) | instskip(NEXT) | instid1(SALU_CYCLE_1)
	s_xor_b64 s[28:29], s[28:29], s[26:27]
	v_cvt_f32_u32_e32 v3, s28
	v_cvt_f32_u32_e32 v4, s29
	s_sub_u32 s0, 0, s28
	s_subb_u32 s25, 0, s29
	s_delay_alu instid0(VALU_DEP_1) | instskip(NEXT) | instid1(VALU_DEP_1)
	v_fmac_f32_e32 v3, 0x4f800000, v4
	v_rcp_f32_e32 v3, v3
	s_waitcnt_depctr 0xfff
	v_mul_f32_e32 v3, 0x5f7ffffc, v3
	s_delay_alu instid0(VALU_DEP_1) | instskip(NEXT) | instid1(VALU_DEP_1)
	v_mul_f32_e32 v4, 0x2f800000, v3
	v_trunc_f32_e32 v4, v4
	s_delay_alu instid0(VALU_DEP_1) | instskip(SKIP_1) | instid1(VALU_DEP_2)
	v_fmac_f32_e32 v3, 0xcf800000, v4
	v_cvt_u32_f32_e32 v4, v4
	v_cvt_u32_f32_e32 v3, v3
	s_delay_alu instid0(VALU_DEP_2) | instskip(NEXT) | instid1(VALU_DEP_2)
	v_mul_lo_u32 v5, s0, v4
	v_mul_hi_u32 v6, s0, v3
	v_mul_lo_u32 v7, s25, v3
	s_delay_alu instid0(VALU_DEP_2) | instskip(SKIP_1) | instid1(VALU_DEP_2)
	v_add_nc_u32_e32 v5, v6, v5
	v_mul_lo_u32 v6, s0, v3
	v_add_nc_u32_e32 v5, v5, v7
	s_delay_alu instid0(VALU_DEP_2) | instskip(NEXT) | instid1(VALU_DEP_2)
	v_mul_hi_u32 v7, v3, v6
	v_mul_lo_u32 v10, v3, v5
	v_mul_hi_u32 v11, v3, v5
	v_mul_hi_u32 v12, v4, v6
	v_mul_lo_u32 v6, v4, v6
	v_mul_hi_u32 v13, v4, v5
	v_mul_lo_u32 v5, v4, v5
	v_add_co_u32 v7, vcc_lo, v7, v10
	v_add_co_ci_u32_e32 v10, vcc_lo, 0, v11, vcc_lo
	s_delay_alu instid0(VALU_DEP_2) | instskip(NEXT) | instid1(VALU_DEP_2)
	v_add_co_u32 v6, vcc_lo, v7, v6
	v_add_co_ci_u32_e32 v6, vcc_lo, v10, v12, vcc_lo
	v_add_co_ci_u32_e32 v7, vcc_lo, 0, v13, vcc_lo
	v_ashrrev_i32_e32 v12, 31, v9
	s_delay_alu instid0(VALU_DEP_3) | instskip(NEXT) | instid1(VALU_DEP_3)
	v_add_co_u32 v5, vcc_lo, v6, v5
	v_add_co_ci_u32_e32 v6, vcc_lo, 0, v7, vcc_lo
	s_delay_alu instid0(VALU_DEP_2) | instskip(NEXT) | instid1(VALU_DEP_2)
	v_add_co_u32 v3, vcc_lo, v3, v5
	v_add_co_ci_u32_e32 v4, vcc_lo, v4, v6, vcc_lo
	s_delay_alu instid0(VALU_DEP_2) | instskip(SKIP_1) | instid1(VALU_DEP_3)
	v_mul_hi_u32 v5, s0, v3
	v_mul_lo_u32 v7, s25, v3
	v_mul_lo_u32 v6, s0, v4
	s_delay_alu instid0(VALU_DEP_1) | instskip(SKIP_1) | instid1(VALU_DEP_2)
	v_add_nc_u32_e32 v5, v5, v6
	v_mul_lo_u32 v6, s0, v3
	v_add_nc_u32_e32 v5, v5, v7
	s_delay_alu instid0(VALU_DEP_2) | instskip(NEXT) | instid1(VALU_DEP_2)
	v_mul_hi_u32 v7, v3, v6
	v_mul_lo_u32 v10, v3, v5
	v_mul_hi_u32 v11, v3, v5
	v_mul_hi_u32 v13, v4, v6
	v_mul_lo_u32 v6, v4, v6
	v_mul_hi_u32 v15, v4, v5
	v_mul_lo_u32 v5, v4, v5
	v_add_co_u32 v7, vcc_lo, v7, v10
	v_add_co_ci_u32_e32 v10, vcc_lo, 0, v11, vcc_lo
	s_delay_alu instid0(VALU_DEP_2) | instskip(NEXT) | instid1(VALU_DEP_2)
	v_add_co_u32 v6, vcc_lo, v7, v6
	v_add_co_ci_u32_e32 v6, vcc_lo, v10, v13, vcc_lo
	v_add_co_ci_u32_e32 v7, vcc_lo, 0, v15, vcc_lo
	v_add_co_u32 v10, vcc_lo, v8, v12
	v_add_co_ci_u32_e32 v11, vcc_lo, v9, v12, vcc_lo
	s_delay_alu instid0(VALU_DEP_4) | instskip(NEXT) | instid1(VALU_DEP_4)
	v_add_co_u32 v5, vcc_lo, v6, v5
	v_add_co_ci_u32_e32 v6, vcc_lo, 0, v7, vcc_lo
	s_delay_alu instid0(VALU_DEP_4) | instskip(NEXT) | instid1(VALU_DEP_3)
	v_xor_b32_e32 v7, v10, v12
	v_add_co_u32 v10, vcc_lo, v3, v5
	s_delay_alu instid0(VALU_DEP_3) | instskip(SKIP_1) | instid1(VALU_DEP_3)
	v_add_co_ci_u32_e32 v13, vcc_lo, v4, v6, vcc_lo
	v_xor_b32_e32 v15, v11, v12
	v_mul_hi_u32 v16, v7, v10
	s_delay_alu instid0(VALU_DEP_3) | instskip(NEXT) | instid1(VALU_DEP_3)
	v_mad_u64_u32 v[3:4], null, v7, v13, 0
	v_mad_u64_u32 v[5:6], null, v15, v10, 0
	;; [unrolled: 1-line block ×3, first 2 shown]
	s_delay_alu instid0(VALU_DEP_3) | instskip(NEXT) | instid1(VALU_DEP_4)
	v_add_co_u32 v3, vcc_lo, v16, v3
	v_add_co_ci_u32_e32 v4, vcc_lo, 0, v4, vcc_lo
	s_delay_alu instid0(VALU_DEP_2) | instskip(NEXT) | instid1(VALU_DEP_2)
	v_add_co_u32 v3, vcc_lo, v3, v5
	v_add_co_ci_u32_e32 v3, vcc_lo, v4, v6, vcc_lo
	v_add_co_ci_u32_e32 v4, vcc_lo, 0, v11, vcc_lo
	s_delay_alu instid0(VALU_DEP_2) | instskip(NEXT) | instid1(VALU_DEP_2)
	v_add_co_u32 v5, vcc_lo, v3, v10
	v_add_co_ci_u32_e32 v6, vcc_lo, 0, v4, vcc_lo
	s_delay_alu instid0(VALU_DEP_2) | instskip(SKIP_1) | instid1(VALU_DEP_3)
	v_mul_lo_u32 v10, s29, v5
	v_mad_u64_u32 v[3:4], null, s28, v5, 0
	v_mul_lo_u32 v11, s28, v6
	s_delay_alu instid0(VALU_DEP_2) | instskip(NEXT) | instid1(VALU_DEP_2)
	v_sub_co_u32 v3, vcc_lo, v7, v3
	v_add3_u32 v4, v4, v11, v10
	s_delay_alu instid0(VALU_DEP_1) | instskip(NEXT) | instid1(VALU_DEP_1)
	v_sub_nc_u32_e32 v10, v15, v4
	v_subrev_co_ci_u32_e64 v7, s0, s29, v10, vcc_lo
	v_add_co_u32 v10, s0, v5, 2
	s_delay_alu instid0(VALU_DEP_1) | instskip(SKIP_3) | instid1(VALU_DEP_3)
	v_add_co_ci_u32_e64 v11, s0, 0, v6, s0
	v_sub_co_u32 v13, s0, v3, s28
	v_sub_co_ci_u32_e32 v4, vcc_lo, v15, v4, vcc_lo
	v_subrev_co_ci_u32_e64 v7, s0, 0, v7, s0
	v_cmp_le_u32_e32 vcc_lo, s28, v13
	s_delay_alu instid0(VALU_DEP_3) | instskip(SKIP_1) | instid1(VALU_DEP_4)
	v_cmp_eq_u32_e64 s0, s29, v4
	v_cndmask_b32_e64 v13, 0, -1, vcc_lo
	v_cmp_le_u32_e32 vcc_lo, s29, v7
	v_cndmask_b32_e64 v15, 0, -1, vcc_lo
	v_cmp_le_u32_e32 vcc_lo, s28, v3
	;; [unrolled: 2-line block ×3, first 2 shown]
	v_cndmask_b32_e64 v16, 0, -1, vcc_lo
	v_cmp_eq_u32_e32 vcc_lo, s29, v7
	s_delay_alu instid0(VALU_DEP_2) | instskip(SKIP_3) | instid1(VALU_DEP_3)
	v_cndmask_b32_e64 v3, v16, v3, s0
	v_cndmask_b32_e32 v7, v15, v13, vcc_lo
	v_add_co_u32 v13, vcc_lo, v5, 1
	v_add_co_ci_u32_e32 v15, vcc_lo, 0, v6, vcc_lo
	v_cmp_ne_u32_e32 vcc_lo, 0, v7
	s_delay_alu instid0(VALU_DEP_2) | instskip(SKIP_2) | instid1(VALU_DEP_3)
	v_dual_cndmask_b32 v4, v15, v11 :: v_dual_cndmask_b32 v7, v13, v10
	v_cmp_ne_u32_e32 vcc_lo, 0, v3
	v_xor_b32_e32 v3, s26, v12
	v_dual_cndmask_b32 v5, v5, v7 :: v_dual_cndmask_b32 v4, v6, v4
	s_delay_alu instid0(VALU_DEP_1) | instskip(NEXT) | instid1(VALU_DEP_2)
	v_xor_b32_e32 v5, v5, v3
	v_xor_b32_e32 v4, v4, v3
	s_delay_alu instid0(VALU_DEP_2) | instskip(NEXT) | instid1(VALU_DEP_2)
	v_sub_co_u32 v6, vcc_lo, v5, v3
	v_sub_co_ci_u32_e32 v7, vcc_lo, v4, v3, vcc_lo
.LBB90_9:                               ;   in Loop: Header=BB90_3 Depth=1
	s_and_not1_saveexec_b32 s0, s1
	s_cbranch_execz .LBB90_11
; %bb.10:                               ;   in Loop: Header=BB90_3 Depth=1
	v_cvt_f32_u32_e32 v3, s22
	s_sub_i32 s1, 0, s22
	v_mov_b32_e32 v7, v2
	s_delay_alu instid0(VALU_DEP_2) | instskip(SKIP_2) | instid1(VALU_DEP_1)
	v_rcp_iflag_f32_e32 v3, v3
	s_waitcnt_depctr 0xfff
	v_mul_f32_e32 v3, 0x4f7ffffe, v3
	v_cvt_u32_f32_e32 v3, v3
	s_delay_alu instid0(VALU_DEP_1) | instskip(NEXT) | instid1(VALU_DEP_1)
	v_mul_lo_u32 v4, s1, v3
	v_mul_hi_u32 v4, v3, v4
	s_delay_alu instid0(VALU_DEP_1) | instskip(NEXT) | instid1(VALU_DEP_1)
	v_add_nc_u32_e32 v3, v3, v4
	v_mul_hi_u32 v3, v8, v3
	s_delay_alu instid0(VALU_DEP_1) | instskip(SKIP_1) | instid1(VALU_DEP_2)
	v_mul_lo_u32 v4, v3, s22
	v_add_nc_u32_e32 v5, 1, v3
	v_sub_nc_u32_e32 v4, v8, v4
	s_delay_alu instid0(VALU_DEP_1) | instskip(SKIP_1) | instid1(VALU_DEP_2)
	v_subrev_nc_u32_e32 v6, s22, v4
	v_cmp_le_u32_e32 vcc_lo, s22, v4
	v_dual_cndmask_b32 v4, v4, v6 :: v_dual_cndmask_b32 v3, v3, v5
	s_delay_alu instid0(VALU_DEP_1) | instskip(NEXT) | instid1(VALU_DEP_2)
	v_cmp_le_u32_e32 vcc_lo, s22, v4
	v_add_nc_u32_e32 v5, 1, v3
	s_delay_alu instid0(VALU_DEP_1)
	v_cndmask_b32_e32 v6, v3, v5, vcc_lo
.LBB90_11:                              ;   in Loop: Header=BB90_3 Depth=1
	s_or_b32 exec_lo, exec_lo, s0
	v_mul_lo_u32 v5, v9, s2
	v_mul_lo_u32 v12, v8, s3
	v_mad_u64_u32 v[3:4], null, v8, s2, 0
	v_mul_lo_u32 v13, v7, s22
	v_mul_lo_u32 v15, v6, s23
	v_mad_u64_u32 v[10:11], null, v6, s22, 0
	s_mov_b32 s25, exec_lo
	s_delay_alu instid0(VALU_DEP_4) | instskip(SKIP_1) | instid1(VALU_DEP_3)
	v_add3_u32 v5, v4, v12, v5
	v_sub_co_u32 v4, vcc_lo, v0, v3
	v_add3_u32 v11, v11, v15, v13
	s_delay_alu instid0(VALU_DEP_3) | instskip(SKIP_1) | instid1(VALU_DEP_3)
	v_sub_co_ci_u32_e32 v5, vcc_lo, v1, v5, vcc_lo
	v_sub_co_u32 v15, vcc_lo, v8, v10
	v_sub_co_ci_u32_e32 v16, vcc_lo, v9, v11, vcc_lo
	s_delay_alu instid0(VALU_DEP_2) | instskip(NEXT) | instid1(VALU_DEP_2)
	v_sub_co_u32 v8, vcc_lo, v4, v15
	v_sub_co_ci_u32_e32 v9, vcc_lo, v5, v16, vcc_lo
	s_delay_alu instid0(VALU_DEP_1)
	v_cmpx_gt_i64_e64 s[4:5], v[8:9]
	s_cbranch_execz .LBB90_2
; %bb.12:                               ;   in Loop: Header=BB90_3 Depth=1
	s_clause 0x1
	s_load_b64 s[28:29], s[10:11], 0x0
	s_load_b64 s[0:1], s[12:13], 0x0
	s_and_b32 vcc_lo, exec_lo, s44
	s_mov_b64 s[30:31], s[20:21]
	s_mov_b64 s[34:35], s[18:19]
	;; [unrolled: 1-line block ×3, first 2 shown]
	s_waitcnt lgkmcnt(0)
	v_mul_lo_u32 v3, s29, v4
	v_mul_lo_u32 v10, s28, v5
	v_mad_u64_u32 v[8:9], null, s28, v4, 0
	s_delay_alu instid0(VALU_DEP_1) | instskip(SKIP_1) | instid1(VALU_DEP_2)
	v_add3_u32 v9, v9, v10, v3
	v_mul_lo_u32 v3, s0, v16
	v_mad_u64_u32 v[12:13], null, s0, v15, v[8:9]
	v_mul_lo_u32 v8, s1, v15
	s_delay_alu instid0(VALU_DEP_1) | instskip(NEXT) | instid1(VALU_DEP_1)
	v_add3_u32 v13, v8, v13, v3
	v_dual_mov_b32 v8, v12 :: v_dual_mov_b32 v9, v13
	s_cbranch_vccnz .LBB90_17
.LBB90_13:                              ;   in Loop: Header=BB90_3 Depth=1
	s_load_b64 s[0:1], s[14:15], 0x0
	s_waitcnt lgkmcnt(0)
	v_cmp_gt_i64_e32 vcc_lo, s[0:1], v[4:5]
	s_and_b32 exec_lo, exec_lo, vcc_lo
	s_cbranch_execz .LBB90_2
; %bb.14:                               ;   in Loop: Header=BB90_3 Depth=1
	v_add_co_u32 v3, vcc_lo, v4, 1
	v_add_co_ci_u32_e32 v4, vcc_lo, 0, v5, vcc_lo
	v_lshlrev_b64 v[7:8], 2, v[12:13]
	s_delay_alu instid0(VALU_DEP_3) | instskip(NEXT) | instid1(VALU_DEP_3)
	v_sub_co_u32 v5, vcc_lo, v3, v15
	v_sub_co_ci_u32_e32 v6, vcc_lo, v4, v16, vcc_lo
	v_cmp_gt_i64_e32 vcc_lo, s[0:1], v[3:4]
	s_delay_alu instid0(VALU_DEP_4) | instskip(NEXT) | instid1(VALU_DEP_3)
	v_add_co_u32 v3, s1, s8, v7
	v_cmp_gt_i64_e64 s0, s[4:5], v[5:6]
	v_add_co_ci_u32_e64 v4, s1, s9, v8, s1
	global_store_b32 v[3:4], v2, off
	s_and_b32 s0, vcc_lo, s0
	s_delay_alu instid0(SALU_CYCLE_1)
	s_and_b32 exec_lo, exec_lo, s0
	s_cbranch_execz .LBB90_2
; %bb.15:                               ;   in Loop: Header=BB90_3 Depth=1
	s_lshl_b64 s[0:1], s[28:29], 2
	s_delay_alu instid0(SALU_CYCLE_1)
	v_add_co_u32 v3, vcc_lo, v3, s0
	v_add_co_ci_u32_e32 v4, vcc_lo, s1, v4, vcc_lo
	global_store_b32 v[3:4], v2, off
	s_branch .LBB90_2
.LBB90_16:                              ;   in Loop: Header=BB90_17 Depth=2
	s_or_b32 exec_lo, exec_lo, s0
	s_load_b64 s[0:1], s[36:37], 0x0
	s_delay_alu instid0(VALU_DEP_1)
	v_mul_lo_u32 v3, v11, s38
	v_mul_lo_u32 v17, v10, s39
	v_mad_u64_u32 v[12:13], null, v10, s38, 0
	s_add_u32 s36, s36, -8
	s_addc_u32 s37, s37, -1
	s_add_u32 s34, s34, -8
	s_addc_u32 s35, s35, -1
	;; [unrolled: 2-line block ×3, first 2 shown]
	s_delay_alu instid0(VALU_DEP_1) | instskip(SKIP_1) | instid1(VALU_DEP_2)
	v_add3_u32 v3, v13, v17, v3
	v_sub_co_u32 v6, vcc_lo, v6, v12
	v_sub_co_ci_u32_e32 v3, vcc_lo, v7, v3, vcc_lo
	s_waitcnt lgkmcnt(0)
	s_delay_alu instid0(VALU_DEP_2) | instskip(NEXT) | instid1(VALU_DEP_2)
	v_mul_lo_u32 v7, s1, v6
	v_mul_lo_u32 v3, s0, v3
	v_mad_u64_u32 v[12:13], null, s0, v6, v[8:9]
	v_cmp_lt_i64_e64 s0, s[30:31], 1
	s_delay_alu instid0(VALU_DEP_1) | instskip(NEXT) | instid1(VALU_DEP_2)
	s_and_b32 vcc_lo, exec_lo, s0
	v_add3_u32 v13, v7, v13, v3
	s_delay_alu instid0(VALU_DEP_3) | instskip(SKIP_1) | instid1(VALU_DEP_3)
	v_mov_b32_e32 v8, v12
	v_dual_mov_b32 v6, v10 :: v_dual_mov_b32 v7, v11
	v_mov_b32_e32 v9, v13
	s_cbranch_vccnz .LBB90_13
.LBB90_17:                              ;   Parent Loop BB90_3 Depth=1
                                        ; =>  This Inner Loop Header: Depth=2
	s_load_b64 s[38:39], s[34:35], 0x0
                                        ; implicit-def: $vgpr10_vgpr11
	s_mov_b32 s0, exec_lo
	s_waitcnt lgkmcnt(0)
	v_or_b32_e32 v3, s39, v7
	s_delay_alu instid0(VALU_DEP_1)
	v_cmpx_ne_u64_e32 0, v[2:3]
	s_xor_b32 s1, exec_lo, s0
	s_cbranch_execz .LBB90_19
; %bb.18:                               ;   in Loop: Header=BB90_17 Depth=2
	s_ashr_i32 s40, s39, 31
	s_delay_alu instid0(SALU_CYCLE_1) | instskip(SKIP_2) | instid1(SALU_CYCLE_1)
	s_add_u32 s42, s38, s40
	s_mov_b32 s41, s40
	s_addc_u32 s43, s39, s40
	s_xor_b64 s[42:43], s[42:43], s[40:41]
	s_delay_alu instid0(SALU_CYCLE_1) | instskip(SKIP_3) | instid1(VALU_DEP_1)
	v_cvt_f32_u32_e32 v3, s42
	v_cvt_f32_u32_e32 v10, s43
	s_sub_u32 s0, 0, s42
	s_subb_u32 s27, 0, s43
	v_fmac_f32_e32 v3, 0x4f800000, v10
	s_delay_alu instid0(VALU_DEP_1) | instskip(SKIP_2) | instid1(VALU_DEP_1)
	v_rcp_f32_e32 v3, v3
	s_waitcnt_depctr 0xfff
	v_mul_f32_e32 v3, 0x5f7ffffc, v3
	v_mul_f32_e32 v10, 0x2f800000, v3
	s_delay_alu instid0(VALU_DEP_1) | instskip(NEXT) | instid1(VALU_DEP_1)
	v_trunc_f32_e32 v10, v10
	v_fmac_f32_e32 v3, 0xcf800000, v10
	v_cvt_u32_f32_e32 v10, v10
	s_delay_alu instid0(VALU_DEP_2) | instskip(NEXT) | instid1(VALU_DEP_2)
	v_cvt_u32_f32_e32 v3, v3
	v_mul_lo_u32 v11, s0, v10
	s_delay_alu instid0(VALU_DEP_2) | instskip(SKIP_1) | instid1(VALU_DEP_2)
	v_mul_hi_u32 v12, s0, v3
	v_mul_lo_u32 v13, s27, v3
	v_add_nc_u32_e32 v11, v12, v11
	v_mul_lo_u32 v12, s0, v3
	s_delay_alu instid0(VALU_DEP_2) | instskip(NEXT) | instid1(VALU_DEP_2)
	v_add_nc_u32_e32 v11, v11, v13
	v_mul_hi_u32 v13, v3, v12
	s_delay_alu instid0(VALU_DEP_2)
	v_mul_lo_u32 v17, v3, v11
	v_mul_hi_u32 v18, v3, v11
	v_mul_hi_u32 v19, v10, v12
	v_mul_lo_u32 v12, v10, v12
	v_mul_hi_u32 v20, v10, v11
	v_mul_lo_u32 v11, v10, v11
	v_add_co_u32 v13, vcc_lo, v13, v17
	v_add_co_ci_u32_e32 v17, vcc_lo, 0, v18, vcc_lo
	s_delay_alu instid0(VALU_DEP_2) | instskip(NEXT) | instid1(VALU_DEP_2)
	v_add_co_u32 v12, vcc_lo, v13, v12
	v_add_co_ci_u32_e32 v12, vcc_lo, v17, v19, vcc_lo
	v_add_co_ci_u32_e32 v13, vcc_lo, 0, v20, vcc_lo
	v_ashrrev_i32_e32 v19, 31, v7
	s_delay_alu instid0(VALU_DEP_3) | instskip(NEXT) | instid1(VALU_DEP_3)
	v_add_co_u32 v11, vcc_lo, v12, v11
	v_add_co_ci_u32_e32 v12, vcc_lo, 0, v13, vcc_lo
	s_delay_alu instid0(VALU_DEP_2) | instskip(NEXT) | instid1(VALU_DEP_2)
	v_add_co_u32 v3, vcc_lo, v3, v11
	v_add_co_ci_u32_e32 v10, vcc_lo, v10, v12, vcc_lo
	s_delay_alu instid0(VALU_DEP_2) | instskip(SKIP_1) | instid1(VALU_DEP_3)
	v_mul_hi_u32 v11, s0, v3
	v_mul_lo_u32 v13, s27, v3
	v_mul_lo_u32 v12, s0, v10
	s_delay_alu instid0(VALU_DEP_1) | instskip(SKIP_1) | instid1(VALU_DEP_2)
	v_add_nc_u32_e32 v11, v11, v12
	v_mul_lo_u32 v12, s0, v3
	v_add_nc_u32_e32 v11, v11, v13
	s_delay_alu instid0(VALU_DEP_2) | instskip(NEXT) | instid1(VALU_DEP_2)
	v_mul_hi_u32 v13, v3, v12
	v_mul_lo_u32 v17, v3, v11
	v_mul_hi_u32 v18, v3, v11
	v_mul_hi_u32 v20, v10, v12
	v_mul_lo_u32 v12, v10, v12
	v_mul_hi_u32 v21, v10, v11
	v_mul_lo_u32 v11, v10, v11
	v_add_co_u32 v13, vcc_lo, v13, v17
	v_add_co_ci_u32_e32 v17, vcc_lo, 0, v18, vcc_lo
	s_delay_alu instid0(VALU_DEP_2) | instskip(NEXT) | instid1(VALU_DEP_2)
	v_add_co_u32 v12, vcc_lo, v13, v12
	v_add_co_ci_u32_e32 v12, vcc_lo, v17, v20, vcc_lo
	v_add_co_ci_u32_e32 v13, vcc_lo, 0, v21, vcc_lo
	v_add_co_u32 v17, vcc_lo, v6, v19
	v_add_co_ci_u32_e32 v18, vcc_lo, v7, v19, vcc_lo
	s_delay_alu instid0(VALU_DEP_4) | instskip(NEXT) | instid1(VALU_DEP_4)
	v_add_co_u32 v11, vcc_lo, v12, v11
	v_add_co_ci_u32_e32 v12, vcc_lo, 0, v13, vcc_lo
	s_delay_alu instid0(VALU_DEP_4) | instskip(NEXT) | instid1(VALU_DEP_3)
	v_xor_b32_e32 v20, v17, v19
	v_add_co_u32 v3, vcc_lo, v3, v11
	s_delay_alu instid0(VALU_DEP_3) | instskip(SKIP_1) | instid1(VALU_DEP_3)
	v_add_co_ci_u32_e32 v21, vcc_lo, v10, v12, vcc_lo
	v_xor_b32_e32 v22, v18, v19
	v_mul_hi_u32 v23, v20, v3
	s_delay_alu instid0(VALU_DEP_3) | instskip(NEXT) | instid1(VALU_DEP_3)
	v_mad_u64_u32 v[10:11], null, v20, v21, 0
	v_mad_u64_u32 v[12:13], null, v22, v3, 0
	;; [unrolled: 1-line block ×3, first 2 shown]
	s_delay_alu instid0(VALU_DEP_3) | instskip(NEXT) | instid1(VALU_DEP_4)
	v_add_co_u32 v3, vcc_lo, v23, v10
	v_add_co_ci_u32_e32 v10, vcc_lo, 0, v11, vcc_lo
	s_delay_alu instid0(VALU_DEP_2) | instskip(NEXT) | instid1(VALU_DEP_2)
	v_add_co_u32 v3, vcc_lo, v3, v12
	v_add_co_ci_u32_e32 v3, vcc_lo, v10, v13, vcc_lo
	v_add_co_ci_u32_e32 v10, vcc_lo, 0, v18, vcc_lo
	s_delay_alu instid0(VALU_DEP_2) | instskip(NEXT) | instid1(VALU_DEP_2)
	v_add_co_u32 v3, vcc_lo, v3, v17
	v_add_co_ci_u32_e32 v12, vcc_lo, 0, v10, vcc_lo
	s_delay_alu instid0(VALU_DEP_2) | instskip(SKIP_1) | instid1(VALU_DEP_3)
	v_mul_lo_u32 v13, s43, v3
	v_mad_u64_u32 v[10:11], null, s42, v3, 0
	v_mul_lo_u32 v17, s42, v12
	s_delay_alu instid0(VALU_DEP_2) | instskip(NEXT) | instid1(VALU_DEP_2)
	v_sub_co_u32 v10, vcc_lo, v20, v10
	v_add3_u32 v11, v11, v17, v13
	s_delay_alu instid0(VALU_DEP_1) | instskip(NEXT) | instid1(VALU_DEP_1)
	v_sub_nc_u32_e32 v13, v22, v11
	v_subrev_co_ci_u32_e64 v13, s0, s43, v13, vcc_lo
	v_add_co_u32 v17, s0, v3, 2
	s_delay_alu instid0(VALU_DEP_1) | instskip(SKIP_3) | instid1(VALU_DEP_3)
	v_add_co_ci_u32_e64 v18, s0, 0, v12, s0
	v_sub_co_u32 v20, s0, v10, s42
	v_sub_co_ci_u32_e32 v11, vcc_lo, v22, v11, vcc_lo
	v_subrev_co_ci_u32_e64 v13, s0, 0, v13, s0
	v_cmp_le_u32_e32 vcc_lo, s42, v20
	s_delay_alu instid0(VALU_DEP_3) | instskip(SKIP_1) | instid1(VALU_DEP_4)
	v_cmp_eq_u32_e64 s0, s43, v11
	v_cndmask_b32_e64 v20, 0, -1, vcc_lo
	v_cmp_le_u32_e32 vcc_lo, s43, v13
	v_cndmask_b32_e64 v21, 0, -1, vcc_lo
	v_cmp_le_u32_e32 vcc_lo, s42, v10
	;; [unrolled: 2-line block ×3, first 2 shown]
	v_cndmask_b32_e64 v22, 0, -1, vcc_lo
	v_cmp_eq_u32_e32 vcc_lo, s43, v13
	s_delay_alu instid0(VALU_DEP_2) | instskip(SKIP_3) | instid1(VALU_DEP_3)
	v_cndmask_b32_e64 v10, v22, v10, s0
	v_cndmask_b32_e32 v13, v21, v20, vcc_lo
	v_add_co_u32 v20, vcc_lo, v3, 1
	v_add_co_ci_u32_e32 v21, vcc_lo, 0, v12, vcc_lo
	v_cmp_ne_u32_e32 vcc_lo, 0, v13
	s_delay_alu instid0(VALU_DEP_2) | instskip(NEXT) | instid1(VALU_DEP_4)
	v_cndmask_b32_e32 v11, v21, v18, vcc_lo
	v_cndmask_b32_e32 v13, v20, v17, vcc_lo
	v_cmp_ne_u32_e32 vcc_lo, 0, v10
	v_xor_b32_e32 v17, s40, v19
	s_delay_alu instid0(VALU_DEP_3) | instskip(NEXT) | instid1(VALU_DEP_1)
	v_dual_cndmask_b32 v3, v3, v13 :: v_dual_cndmask_b32 v10, v12, v11
	v_xor_b32_e32 v3, v3, v17
	s_delay_alu instid0(VALU_DEP_2) | instskip(NEXT) | instid1(VALU_DEP_2)
	v_xor_b32_e32 v11, v10, v17
	v_sub_co_u32 v10, vcc_lo, v3, v17
	s_delay_alu instid0(VALU_DEP_2)
	v_sub_co_ci_u32_e32 v11, vcc_lo, v11, v17, vcc_lo
.LBB90_19:                              ;   in Loop: Header=BB90_17 Depth=2
	s_and_not1_saveexec_b32 s0, s1
	s_cbranch_execz .LBB90_16
; %bb.20:                               ;   in Loop: Header=BB90_17 Depth=2
	v_cvt_f32_u32_e32 v3, s38
	s_sub_i32 s1, 0, s38
	s_delay_alu instid0(VALU_DEP_1) | instskip(SKIP_2) | instid1(VALU_DEP_1)
	v_rcp_iflag_f32_e32 v3, v3
	s_waitcnt_depctr 0xfff
	v_mul_f32_e32 v3, 0x4f7ffffe, v3
	v_cvt_u32_f32_e32 v3, v3
	s_delay_alu instid0(VALU_DEP_1) | instskip(NEXT) | instid1(VALU_DEP_1)
	v_mul_lo_u32 v10, s1, v3
	v_mul_hi_u32 v10, v3, v10
	s_delay_alu instid0(VALU_DEP_1) | instskip(NEXT) | instid1(VALU_DEP_1)
	v_add_nc_u32_e32 v3, v3, v10
	v_mul_hi_u32 v3, v6, v3
	s_delay_alu instid0(VALU_DEP_1) | instskip(SKIP_1) | instid1(VALU_DEP_2)
	v_mul_lo_u32 v10, v3, s38
	v_add_nc_u32_e32 v11, 1, v3
	v_sub_nc_u32_e32 v10, v6, v10
	s_delay_alu instid0(VALU_DEP_1) | instskip(SKIP_1) | instid1(VALU_DEP_2)
	v_subrev_nc_u32_e32 v12, s38, v10
	v_cmp_le_u32_e32 vcc_lo, s38, v10
	v_dual_cndmask_b32 v10, v10, v12 :: v_dual_cndmask_b32 v3, v3, v11
	s_delay_alu instid0(VALU_DEP_1) | instskip(NEXT) | instid1(VALU_DEP_2)
	v_cmp_le_u32_e32 vcc_lo, s38, v10
	v_add_nc_u32_e32 v11, 1, v3
	s_delay_alu instid0(VALU_DEP_1)
	v_dual_cndmask_b32 v10, v3, v11 :: v_dual_mov_b32 v11, v2
	s_branch .LBB90_16
.LBB90_21:
	s_nop 0
	s_sendmsg sendmsg(MSG_DEALLOC_VGPRS)
	s_endpgm
	.section	.rodata,"a",@progbits
	.p2align	6, 0x0
	.amdhsa_kernel _ZN2at6native16triu_tril_kernelIN3c107complexINS2_4HalfEEElLb1ELi2ELb1EEEvNS_4cuda6detail10TensorInfoIT_T0_EENS8_IKS9_SA_EEllSA_
		.amdhsa_group_segment_fixed_size 0
		.amdhsa_private_segment_fixed_size 0
		.amdhsa_kernarg_size 1112
		.amdhsa_user_sgpr_count 15
		.amdhsa_user_sgpr_dispatch_ptr 0
		.amdhsa_user_sgpr_queue_ptr 0
		.amdhsa_user_sgpr_kernarg_segment_ptr 1
		.amdhsa_user_sgpr_dispatch_id 0
		.amdhsa_user_sgpr_private_segment_size 0
		.amdhsa_wavefront_size32 1
		.amdhsa_uses_dynamic_stack 0
		.amdhsa_enable_private_segment 0
		.amdhsa_system_sgpr_workgroup_id_x 1
		.amdhsa_system_sgpr_workgroup_id_y 0
		.amdhsa_system_sgpr_workgroup_id_z 0
		.amdhsa_system_sgpr_workgroup_info 0
		.amdhsa_system_vgpr_workitem_id 0
		.amdhsa_next_free_vgpr 24
		.amdhsa_next_free_sgpr 46
		.amdhsa_reserve_vcc 1
		.amdhsa_float_round_mode_32 0
		.amdhsa_float_round_mode_16_64 0
		.amdhsa_float_denorm_mode_32 3
		.amdhsa_float_denorm_mode_16_64 3
		.amdhsa_dx10_clamp 1
		.amdhsa_ieee_mode 1
		.amdhsa_fp16_overflow 0
		.amdhsa_workgroup_processor_mode 1
		.amdhsa_memory_ordered 1
		.amdhsa_forward_progress 0
		.amdhsa_shared_vgpr_count 0
		.amdhsa_exception_fp_ieee_invalid_op 0
		.amdhsa_exception_fp_denorm_src 0
		.amdhsa_exception_fp_ieee_div_zero 0
		.amdhsa_exception_fp_ieee_overflow 0
		.amdhsa_exception_fp_ieee_underflow 0
		.amdhsa_exception_fp_ieee_inexact 0
		.amdhsa_exception_int_div_zero 0
	.end_amdhsa_kernel
	.section	.text._ZN2at6native16triu_tril_kernelIN3c107complexINS2_4HalfEEElLb1ELi2ELb1EEEvNS_4cuda6detail10TensorInfoIT_T0_EENS8_IKS9_SA_EEllSA_,"axG",@progbits,_ZN2at6native16triu_tril_kernelIN3c107complexINS2_4HalfEEElLb1ELi2ELb1EEEvNS_4cuda6detail10TensorInfoIT_T0_EENS8_IKS9_SA_EEllSA_,comdat
.Lfunc_end90:
	.size	_ZN2at6native16triu_tril_kernelIN3c107complexINS2_4HalfEEElLb1ELi2ELb1EEEvNS_4cuda6detail10TensorInfoIT_T0_EENS8_IKS9_SA_EEllSA_, .Lfunc_end90-_ZN2at6native16triu_tril_kernelIN3c107complexINS2_4HalfEEElLb1ELi2ELb1EEEvNS_4cuda6detail10TensorInfoIT_T0_EENS8_IKS9_SA_EEllSA_
                                        ; -- End function
	.section	.AMDGPU.csdata,"",@progbits
; Kernel info:
; codeLenInByte = 3876
; NumSgprs: 48
; NumVgprs: 24
; ScratchSize: 0
; MemoryBound: 0
; FloatMode: 240
; IeeeMode: 1
; LDSByteSize: 0 bytes/workgroup (compile time only)
; SGPRBlocks: 5
; VGPRBlocks: 2
; NumSGPRsForWavesPerEU: 48
; NumVGPRsForWavesPerEU: 24
; Occupancy: 16
; WaveLimiterHint : 0
; COMPUTE_PGM_RSRC2:SCRATCH_EN: 0
; COMPUTE_PGM_RSRC2:USER_SGPR: 15
; COMPUTE_PGM_RSRC2:TRAP_HANDLER: 0
; COMPUTE_PGM_RSRC2:TGID_X_EN: 1
; COMPUTE_PGM_RSRC2:TGID_Y_EN: 0
; COMPUTE_PGM_RSRC2:TGID_Z_EN: 0
; COMPUTE_PGM_RSRC2:TIDIG_COMP_CNT: 0
	.section	.text._ZN2at6native16triu_tril_kernelIN3c107complexINS2_4HalfEEElLb1ELi2ELb0EEEvNS_4cuda6detail10TensorInfoIT_T0_EENS8_IKS9_SA_EEllSA_,"axG",@progbits,_ZN2at6native16triu_tril_kernelIN3c107complexINS2_4HalfEEElLb1ELi2ELb0EEEvNS_4cuda6detail10TensorInfoIT_T0_EENS8_IKS9_SA_EEllSA_,comdat
	.protected	_ZN2at6native16triu_tril_kernelIN3c107complexINS2_4HalfEEElLb1ELi2ELb0EEEvNS_4cuda6detail10TensorInfoIT_T0_EENS8_IKS9_SA_EEllSA_ ; -- Begin function _ZN2at6native16triu_tril_kernelIN3c107complexINS2_4HalfEEElLb1ELi2ELb0EEEvNS_4cuda6detail10TensorInfoIT_T0_EENS8_IKS9_SA_EEllSA_
	.globl	_ZN2at6native16triu_tril_kernelIN3c107complexINS2_4HalfEEElLb1ELi2ELb0EEEvNS_4cuda6detail10TensorInfoIT_T0_EENS8_IKS9_SA_EEllSA_
	.p2align	8
	.type	_ZN2at6native16triu_tril_kernelIN3c107complexINS2_4HalfEEElLb1ELi2ELb0EEEvNS_4cuda6detail10TensorInfoIT_T0_EENS8_IKS9_SA_EEllSA_,@function
_ZN2at6native16triu_tril_kernelIN3c107complexINS2_4HalfEEElLb1ELi2ELb0EEEvNS_4cuda6detail10TensorInfoIT_T0_EENS8_IKS9_SA_EEllSA_: ; @_ZN2at6native16triu_tril_kernelIN3c107complexINS2_4HalfEEElLb1ELi2ELb0EEEvNS_4cuda6detail10TensorInfoIT_T0_EENS8_IKS9_SA_EEllSA_
; %bb.0:
	s_clause 0x1
	s_load_b32 s2, s[0:1], 0x364
	s_load_b128 s[4:7], s[0:1], 0x340
	v_mov_b32_e32 v2, 0
	s_add_u32 s8, s0, 0x358
	s_addc_u32 s9, s1, 0
	s_delay_alu instid0(VALU_DEP_1) | instskip(SKIP_3) | instid1(VALU_DEP_1)
	v_mov_b32_e32 v1, v2
	s_waitcnt lgkmcnt(0)
	s_and_b32 s24, s2, 0xffff
	s_mov_b32 s2, exec_lo
	v_mad_u64_u32 v[3:4], null, s24, s15, v[0:1]
	s_delay_alu instid0(VALU_DEP_1) | instskip(NEXT) | instid1(VALU_DEP_1)
	v_lshlrev_b64 v[0:1], 1, v[3:4]
	v_cmpx_gt_i64_e64 s[6:7], v[0:1]
	s_cbranch_execz .LBB91_26
; %bb.1:
	s_clause 0x1
	s_load_b32 s26, s[0:1], 0x338
	s_load_b64 s[2:3], s[0:1], 0x350
	s_add_u32 s10, s0, 0x1a0
	s_addc_u32 s11, s1, 0
	s_load_b32 s25, s[8:9], 0x0
	s_clause 0x1
	s_load_b64 s[20:21], s[0:1], 0x1a0
	s_load_b64 s[22:23], s[0:1], 0x0
	s_mov_b32 s46, 0
	s_waitcnt lgkmcnt(0)
	s_ashr_i32 s27, s26, 31
	s_add_u32 s30, s0, 0x1a8
	s_addc_u32 s31, s1, 0
	s_lshl_b64 s[8:9], s[26:27], 3
	v_cvt_f32_u32_e32 v3, s2
	s_add_u32 s14, s8, -16
	s_addc_u32 s15, s9, -1
	s_add_u32 s8, s30, s14
	s_addc_u32 s9, s31, s15
	s_add_u32 s12, s10, s14
	s_addc_u32 s13, s11, s15
	;; [unrolled: 2-line block ×4, first 2 shown]
	s_clause 0x2
	s_load_b128 s[8:11], s[8:9], 0x0
	s_load_b128 s[12:15], s[12:13], 0xd0
	;; [unrolled: 1-line block ×3, first 2 shown]
	v_rcp_iflag_f32_e32 v3, v3
	s_add_i32 s28, s26, -3
	s_mul_i32 s25, s25, s24
	s_ashr_i32 s29, s28, 31
	v_cmp_gt_i64_e64 s1, s[26:27], 2
	s_lshl_b64 s[26:27], s[28:29], 3
	s_lshl_b32 s33, s25, 1
	s_add_u32 s24, s34, s26
	s_addc_u32 s25, s35, s27
	s_add_u32 s26, s30, s26
	s_waitcnt_depctr 0xfff
	v_mul_f32_e32 v3, 0x4f7ffffe, v3
	s_addc_u32 s27, s31, s27
	s_add_u32 s28, s28, 1
	s_addc_u32 s29, s29, 0
	s_ashr_i32 s30, s3, 31
	v_cvt_u32_f32_e32 v18, v3
	s_branch .LBB91_3
.LBB91_2:                               ;   in Loop: Header=BB91_3 Depth=1
	s_or_b32 exec_lo, exec_lo, s0
	v_add_co_u32 v0, vcc_lo, v0, s33
	v_add_co_ci_u32_e32 v1, vcc_lo, 0, v1, vcc_lo
	s_delay_alu instid0(VALU_DEP_1) | instskip(SKIP_1) | instid1(SALU_CYCLE_1)
	v_cmp_le_i64_e32 vcc_lo, s[6:7], v[0:1]
	s_or_b32 s46, vcc_lo, s46
	s_and_not1_b32 exec_lo, exec_lo, s46
	s_cbranch_execz .LBB91_26
.LBB91_3:                               ; =>This Loop Header: Depth=1
                                        ;     Child Loop BB91_22 Depth 2
	v_or_b32_e32 v3, s3, v1
                                        ; implicit-def: $vgpr8_vgpr9
	s_mov_b32 s0, exec_lo
	s_delay_alu instid0(VALU_DEP_1)
	v_cmpx_ne_u64_e32 0, v[2:3]
	s_xor_b32 s36, exec_lo, s0
	s_cbranch_execz .LBB91_5
; %bb.4:                                ;   in Loop: Header=BB91_3 Depth=1
	s_add_u32 s34, s2, s30
	s_mov_b32 s31, s30
	s_addc_u32 s35, s3, s30
	s_delay_alu instid0(SALU_CYCLE_1) | instskip(NEXT) | instid1(SALU_CYCLE_1)
	s_xor_b64 s[34:35], s[34:35], s[30:31]
	v_cvt_f32_u32_e32 v3, s34
	v_cvt_f32_u32_e32 v4, s35
	s_sub_u32 s0, 0, s34
	s_subb_u32 s31, 0, s35
	s_delay_alu instid0(VALU_DEP_1) | instskip(NEXT) | instid1(VALU_DEP_1)
	v_fmac_f32_e32 v3, 0x4f800000, v4
	v_rcp_f32_e32 v3, v3
	s_waitcnt_depctr 0xfff
	v_mul_f32_e32 v3, 0x5f7ffffc, v3
	s_delay_alu instid0(VALU_DEP_1) | instskip(NEXT) | instid1(VALU_DEP_1)
	v_mul_f32_e32 v4, 0x2f800000, v3
	v_trunc_f32_e32 v4, v4
	s_delay_alu instid0(VALU_DEP_1) | instskip(SKIP_1) | instid1(VALU_DEP_2)
	v_fmac_f32_e32 v3, 0xcf800000, v4
	v_cvt_u32_f32_e32 v4, v4
	v_cvt_u32_f32_e32 v3, v3
	s_delay_alu instid0(VALU_DEP_2) | instskip(NEXT) | instid1(VALU_DEP_2)
	v_mul_lo_u32 v5, s0, v4
	v_mul_hi_u32 v6, s0, v3
	v_mul_lo_u32 v7, s31, v3
	s_delay_alu instid0(VALU_DEP_2) | instskip(SKIP_1) | instid1(VALU_DEP_2)
	v_add_nc_u32_e32 v5, v6, v5
	v_mul_lo_u32 v6, s0, v3
	v_add_nc_u32_e32 v5, v5, v7
	s_delay_alu instid0(VALU_DEP_2) | instskip(NEXT) | instid1(VALU_DEP_2)
	v_mul_hi_u32 v7, v3, v6
	v_mul_lo_u32 v8, v3, v5
	v_mul_hi_u32 v9, v3, v5
	v_mul_hi_u32 v10, v4, v6
	v_mul_lo_u32 v6, v4, v6
	v_mul_hi_u32 v11, v4, v5
	v_mul_lo_u32 v5, v4, v5
	v_add_co_u32 v7, vcc_lo, v7, v8
	v_add_co_ci_u32_e32 v8, vcc_lo, 0, v9, vcc_lo
	s_delay_alu instid0(VALU_DEP_2) | instskip(NEXT) | instid1(VALU_DEP_2)
	v_add_co_u32 v6, vcc_lo, v7, v6
	v_add_co_ci_u32_e32 v6, vcc_lo, v8, v10, vcc_lo
	v_add_co_ci_u32_e32 v7, vcc_lo, 0, v11, vcc_lo
	v_ashrrev_i32_e32 v10, 31, v1
	s_delay_alu instid0(VALU_DEP_3) | instskip(NEXT) | instid1(VALU_DEP_3)
	v_add_co_u32 v5, vcc_lo, v6, v5
	v_add_co_ci_u32_e32 v6, vcc_lo, 0, v7, vcc_lo
	s_delay_alu instid0(VALU_DEP_2) | instskip(NEXT) | instid1(VALU_DEP_2)
	v_add_co_u32 v3, vcc_lo, v3, v5
	v_add_co_ci_u32_e32 v4, vcc_lo, v4, v6, vcc_lo
	s_delay_alu instid0(VALU_DEP_2) | instskip(SKIP_1) | instid1(VALU_DEP_3)
	v_mul_hi_u32 v5, s0, v3
	v_mul_lo_u32 v7, s31, v3
	v_mul_lo_u32 v6, s0, v4
	s_delay_alu instid0(VALU_DEP_1) | instskip(SKIP_1) | instid1(VALU_DEP_2)
	v_add_nc_u32_e32 v5, v5, v6
	v_mul_lo_u32 v6, s0, v3
	v_add_nc_u32_e32 v5, v5, v7
	s_delay_alu instid0(VALU_DEP_2) | instskip(NEXT) | instid1(VALU_DEP_2)
	v_mul_hi_u32 v7, v3, v6
	v_mul_lo_u32 v8, v3, v5
	v_mul_hi_u32 v9, v3, v5
	v_mul_hi_u32 v11, v4, v6
	v_mul_lo_u32 v6, v4, v6
	v_mul_hi_u32 v12, v4, v5
	v_mul_lo_u32 v5, v4, v5
	v_add_co_u32 v7, vcc_lo, v7, v8
	v_add_co_ci_u32_e32 v8, vcc_lo, 0, v9, vcc_lo
	s_delay_alu instid0(VALU_DEP_2) | instskip(NEXT) | instid1(VALU_DEP_2)
	v_add_co_u32 v6, vcc_lo, v7, v6
	v_add_co_ci_u32_e32 v6, vcc_lo, v8, v11, vcc_lo
	v_add_co_ci_u32_e32 v7, vcc_lo, 0, v12, vcc_lo
	v_add_co_u32 v8, vcc_lo, v0, v10
	v_add_co_ci_u32_e32 v9, vcc_lo, v1, v10, vcc_lo
	s_delay_alu instid0(VALU_DEP_4) | instskip(NEXT) | instid1(VALU_DEP_4)
	v_add_co_u32 v5, vcc_lo, v6, v5
	v_add_co_ci_u32_e32 v6, vcc_lo, 0, v7, vcc_lo
	s_delay_alu instid0(VALU_DEP_4) | instskip(NEXT) | instid1(VALU_DEP_3)
	v_xor_b32_e32 v11, v8, v10
	v_add_co_u32 v7, vcc_lo, v3, v5
	s_delay_alu instid0(VALU_DEP_3) | instskip(SKIP_1) | instid1(VALU_DEP_3)
	v_add_co_ci_u32_e32 v12, vcc_lo, v4, v6, vcc_lo
	v_xor_b32_e32 v9, v9, v10
	v_mul_hi_u32 v13, v11, v7
	s_delay_alu instid0(VALU_DEP_3) | instskip(NEXT) | instid1(VALU_DEP_3)
	v_mad_u64_u32 v[3:4], null, v11, v12, 0
	v_mad_u64_u32 v[5:6], null, v9, v7, 0
	;; [unrolled: 1-line block ×3, first 2 shown]
	s_delay_alu instid0(VALU_DEP_3) | instskip(NEXT) | instid1(VALU_DEP_4)
	v_add_co_u32 v3, vcc_lo, v13, v3
	v_add_co_ci_u32_e32 v4, vcc_lo, 0, v4, vcc_lo
	s_delay_alu instid0(VALU_DEP_2) | instskip(NEXT) | instid1(VALU_DEP_2)
	v_add_co_u32 v3, vcc_lo, v3, v5
	v_add_co_ci_u32_e32 v3, vcc_lo, v4, v6, vcc_lo
	v_add_co_ci_u32_e32 v4, vcc_lo, 0, v8, vcc_lo
	s_delay_alu instid0(VALU_DEP_2) | instskip(NEXT) | instid1(VALU_DEP_2)
	v_add_co_u32 v5, vcc_lo, v3, v7
	v_add_co_ci_u32_e32 v6, vcc_lo, 0, v4, vcc_lo
	s_delay_alu instid0(VALU_DEP_2) | instskip(SKIP_1) | instid1(VALU_DEP_3)
	v_mul_lo_u32 v7, s35, v5
	v_mad_u64_u32 v[3:4], null, s34, v5, 0
	v_mul_lo_u32 v8, s34, v6
	s_delay_alu instid0(VALU_DEP_2) | instskip(NEXT) | instid1(VALU_DEP_2)
	v_sub_co_u32 v3, vcc_lo, v11, v3
	v_add3_u32 v4, v4, v8, v7
	s_delay_alu instid0(VALU_DEP_1) | instskip(NEXT) | instid1(VALU_DEP_1)
	v_sub_nc_u32_e32 v7, v9, v4
	v_subrev_co_ci_u32_e64 v7, s0, s35, v7, vcc_lo
	v_add_co_u32 v8, s0, v5, 2
	s_delay_alu instid0(VALU_DEP_1) | instskip(SKIP_3) | instid1(VALU_DEP_3)
	v_add_co_ci_u32_e64 v11, s0, 0, v6, s0
	v_sub_co_u32 v12, s0, v3, s34
	v_sub_co_ci_u32_e32 v4, vcc_lo, v9, v4, vcc_lo
	v_subrev_co_ci_u32_e64 v7, s0, 0, v7, s0
	v_cmp_le_u32_e32 vcc_lo, s34, v12
	s_delay_alu instid0(VALU_DEP_3) | instskip(SKIP_1) | instid1(VALU_DEP_4)
	v_cmp_eq_u32_e64 s0, s35, v4
	v_cndmask_b32_e64 v9, 0, -1, vcc_lo
	v_cmp_le_u32_e32 vcc_lo, s35, v7
	v_cndmask_b32_e64 v12, 0, -1, vcc_lo
	v_cmp_le_u32_e32 vcc_lo, s34, v3
	;; [unrolled: 2-line block ×3, first 2 shown]
	v_cndmask_b32_e64 v13, 0, -1, vcc_lo
	v_cmp_eq_u32_e32 vcc_lo, s35, v7
	s_delay_alu instid0(VALU_DEP_2) | instskip(SKIP_3) | instid1(VALU_DEP_3)
	v_cndmask_b32_e64 v3, v13, v3, s0
	v_cndmask_b32_e32 v7, v12, v9, vcc_lo
	v_add_co_u32 v9, vcc_lo, v5, 1
	v_add_co_ci_u32_e32 v12, vcc_lo, 0, v6, vcc_lo
	v_cmp_ne_u32_e32 vcc_lo, 0, v7
	s_delay_alu instid0(VALU_DEP_2) | instskip(SKIP_2) | instid1(VALU_DEP_3)
	v_dual_cndmask_b32 v4, v12, v11 :: v_dual_cndmask_b32 v7, v9, v8
	v_cmp_ne_u32_e32 vcc_lo, 0, v3
	v_xor_b32_e32 v3, s30, v10
	v_dual_cndmask_b32 v5, v5, v7 :: v_dual_cndmask_b32 v4, v6, v4
	s_delay_alu instid0(VALU_DEP_1) | instskip(NEXT) | instid1(VALU_DEP_2)
	v_xor_b32_e32 v5, v5, v3
	v_xor_b32_e32 v4, v4, v3
	s_delay_alu instid0(VALU_DEP_2) | instskip(NEXT) | instid1(VALU_DEP_2)
	v_sub_co_u32 v8, vcc_lo, v5, v3
	v_sub_co_ci_u32_e32 v9, vcc_lo, v4, v3, vcc_lo
.LBB91_5:                               ;   in Loop: Header=BB91_3 Depth=1
	s_and_not1_saveexec_b32 s0, s36
	s_cbranch_execz .LBB91_7
; %bb.6:                                ;   in Loop: Header=BB91_3 Depth=1
	s_sub_i32 s31, 0, s2
	v_mov_b32_e32 v9, v2
	v_mul_lo_u32 v3, s31, v18
	s_delay_alu instid0(VALU_DEP_1) | instskip(NEXT) | instid1(VALU_DEP_1)
	v_mul_hi_u32 v3, v18, v3
	v_add_nc_u32_e32 v3, v18, v3
	s_delay_alu instid0(VALU_DEP_1) | instskip(NEXT) | instid1(VALU_DEP_1)
	v_mul_hi_u32 v3, v0, v3
	v_mul_lo_u32 v4, v3, s2
	v_add_nc_u32_e32 v5, 1, v3
	s_delay_alu instid0(VALU_DEP_2) | instskip(NEXT) | instid1(VALU_DEP_1)
	v_sub_nc_u32_e32 v4, v0, v4
	v_subrev_nc_u32_e32 v6, s2, v4
	v_cmp_le_u32_e32 vcc_lo, s2, v4
	s_delay_alu instid0(VALU_DEP_2) | instskip(NEXT) | instid1(VALU_DEP_1)
	v_dual_cndmask_b32 v4, v4, v6 :: v_dual_cndmask_b32 v3, v3, v5
	v_cmp_le_u32_e32 vcc_lo, s2, v4
	s_delay_alu instid0(VALU_DEP_2) | instskip(NEXT) | instid1(VALU_DEP_1)
	v_add_nc_u32_e32 v5, 1, v3
	v_cndmask_b32_e32 v8, v3, v5, vcc_lo
.LBB91_7:                               ;   in Loop: Header=BB91_3 Depth=1
	s_or_b32 exec_lo, exec_lo, s0
	s_waitcnt lgkmcnt(0)
	v_or_b32_e32 v3, s9, v9
                                        ; implicit-def: $vgpr6_vgpr7
	s_mov_b32 s0, exec_lo
	s_delay_alu instid0(VALU_DEP_1)
	v_cmpx_ne_u64_e32 0, v[2:3]
	s_xor_b32 s31, exec_lo, s0
	s_cbranch_execz .LBB91_9
; %bb.8:                                ;   in Loop: Header=BB91_3 Depth=1
	s_ashr_i32 s34, s9, 31
	s_delay_alu instid0(SALU_CYCLE_1) | instskip(SKIP_2) | instid1(SALU_CYCLE_1)
	s_add_u32 s36, s8, s34
	s_mov_b32 s35, s34
	s_addc_u32 s37, s9, s34
	s_xor_b64 s[36:37], s[36:37], s[34:35]
	s_delay_alu instid0(SALU_CYCLE_1) | instskip(SKIP_3) | instid1(VALU_DEP_1)
	v_cvt_f32_u32_e32 v3, s36
	v_cvt_f32_u32_e32 v4, s37
	s_sub_u32 s0, 0, s36
	s_subb_u32 s35, 0, s37
	v_fmac_f32_e32 v3, 0x4f800000, v4
	s_delay_alu instid0(VALU_DEP_1) | instskip(SKIP_2) | instid1(VALU_DEP_1)
	v_rcp_f32_e32 v3, v3
	s_waitcnt_depctr 0xfff
	v_mul_f32_e32 v3, 0x5f7ffffc, v3
	v_mul_f32_e32 v4, 0x2f800000, v3
	s_delay_alu instid0(VALU_DEP_1) | instskip(NEXT) | instid1(VALU_DEP_1)
	v_trunc_f32_e32 v4, v4
	v_fmac_f32_e32 v3, 0xcf800000, v4
	v_cvt_u32_f32_e32 v4, v4
	s_delay_alu instid0(VALU_DEP_2) | instskip(NEXT) | instid1(VALU_DEP_2)
	v_cvt_u32_f32_e32 v3, v3
	v_mul_lo_u32 v5, s0, v4
	s_delay_alu instid0(VALU_DEP_2) | instskip(SKIP_1) | instid1(VALU_DEP_2)
	v_mul_hi_u32 v6, s0, v3
	v_mul_lo_u32 v7, s35, v3
	v_add_nc_u32_e32 v5, v6, v5
	v_mul_lo_u32 v6, s0, v3
	s_delay_alu instid0(VALU_DEP_2) | instskip(NEXT) | instid1(VALU_DEP_2)
	v_add_nc_u32_e32 v5, v5, v7
	v_mul_hi_u32 v7, v3, v6
	s_delay_alu instid0(VALU_DEP_2)
	v_mul_lo_u32 v10, v3, v5
	v_mul_hi_u32 v11, v3, v5
	v_mul_hi_u32 v12, v4, v6
	v_mul_lo_u32 v6, v4, v6
	v_mul_hi_u32 v13, v4, v5
	v_mul_lo_u32 v5, v4, v5
	v_add_co_u32 v7, vcc_lo, v7, v10
	v_add_co_ci_u32_e32 v10, vcc_lo, 0, v11, vcc_lo
	s_delay_alu instid0(VALU_DEP_2) | instskip(NEXT) | instid1(VALU_DEP_2)
	v_add_co_u32 v6, vcc_lo, v7, v6
	v_add_co_ci_u32_e32 v6, vcc_lo, v10, v12, vcc_lo
	v_add_co_ci_u32_e32 v7, vcc_lo, 0, v13, vcc_lo
	v_ashrrev_i32_e32 v12, 31, v9
	s_delay_alu instid0(VALU_DEP_3) | instskip(NEXT) | instid1(VALU_DEP_3)
	v_add_co_u32 v5, vcc_lo, v6, v5
	v_add_co_ci_u32_e32 v6, vcc_lo, 0, v7, vcc_lo
	s_delay_alu instid0(VALU_DEP_2) | instskip(NEXT) | instid1(VALU_DEP_2)
	v_add_co_u32 v3, vcc_lo, v3, v5
	v_add_co_ci_u32_e32 v4, vcc_lo, v4, v6, vcc_lo
	s_delay_alu instid0(VALU_DEP_2) | instskip(SKIP_1) | instid1(VALU_DEP_3)
	v_mul_hi_u32 v5, s0, v3
	v_mul_lo_u32 v7, s35, v3
	v_mul_lo_u32 v6, s0, v4
	s_delay_alu instid0(VALU_DEP_1) | instskip(SKIP_1) | instid1(VALU_DEP_2)
	v_add_nc_u32_e32 v5, v5, v6
	v_mul_lo_u32 v6, s0, v3
	v_add_nc_u32_e32 v5, v5, v7
	s_delay_alu instid0(VALU_DEP_2) | instskip(NEXT) | instid1(VALU_DEP_2)
	v_mul_hi_u32 v7, v3, v6
	v_mul_lo_u32 v10, v3, v5
	v_mul_hi_u32 v11, v3, v5
	v_mul_hi_u32 v13, v4, v6
	v_mul_lo_u32 v6, v4, v6
	v_mul_hi_u32 v14, v4, v5
	v_mul_lo_u32 v5, v4, v5
	v_add_co_u32 v7, vcc_lo, v7, v10
	v_add_co_ci_u32_e32 v10, vcc_lo, 0, v11, vcc_lo
	s_delay_alu instid0(VALU_DEP_2) | instskip(NEXT) | instid1(VALU_DEP_2)
	v_add_co_u32 v6, vcc_lo, v7, v6
	v_add_co_ci_u32_e32 v6, vcc_lo, v10, v13, vcc_lo
	v_add_co_ci_u32_e32 v7, vcc_lo, 0, v14, vcc_lo
	v_add_co_u32 v10, vcc_lo, v8, v12
	v_add_co_ci_u32_e32 v11, vcc_lo, v9, v12, vcc_lo
	s_delay_alu instid0(VALU_DEP_4) | instskip(NEXT) | instid1(VALU_DEP_4)
	v_add_co_u32 v5, vcc_lo, v6, v5
	v_add_co_ci_u32_e32 v6, vcc_lo, 0, v7, vcc_lo
	s_delay_alu instid0(VALU_DEP_4) | instskip(NEXT) | instid1(VALU_DEP_3)
	v_xor_b32_e32 v7, v10, v12
	v_add_co_u32 v10, vcc_lo, v3, v5
	s_delay_alu instid0(VALU_DEP_3) | instskip(SKIP_1) | instid1(VALU_DEP_3)
	v_add_co_ci_u32_e32 v13, vcc_lo, v4, v6, vcc_lo
	v_xor_b32_e32 v14, v11, v12
	v_mul_hi_u32 v15, v7, v10
	s_delay_alu instid0(VALU_DEP_3) | instskip(NEXT) | instid1(VALU_DEP_3)
	v_mad_u64_u32 v[3:4], null, v7, v13, 0
	v_mad_u64_u32 v[5:6], null, v14, v10, 0
	;; [unrolled: 1-line block ×3, first 2 shown]
	s_delay_alu instid0(VALU_DEP_3) | instskip(NEXT) | instid1(VALU_DEP_4)
	v_add_co_u32 v3, vcc_lo, v15, v3
	v_add_co_ci_u32_e32 v4, vcc_lo, 0, v4, vcc_lo
	s_delay_alu instid0(VALU_DEP_2) | instskip(NEXT) | instid1(VALU_DEP_2)
	v_add_co_u32 v3, vcc_lo, v3, v5
	v_add_co_ci_u32_e32 v3, vcc_lo, v4, v6, vcc_lo
	v_add_co_ci_u32_e32 v4, vcc_lo, 0, v11, vcc_lo
	s_delay_alu instid0(VALU_DEP_2) | instskip(NEXT) | instid1(VALU_DEP_2)
	v_add_co_u32 v5, vcc_lo, v3, v10
	v_add_co_ci_u32_e32 v6, vcc_lo, 0, v4, vcc_lo
	s_delay_alu instid0(VALU_DEP_2) | instskip(SKIP_1) | instid1(VALU_DEP_3)
	v_mul_lo_u32 v10, s37, v5
	v_mad_u64_u32 v[3:4], null, s36, v5, 0
	v_mul_lo_u32 v11, s36, v6
	s_delay_alu instid0(VALU_DEP_2) | instskip(NEXT) | instid1(VALU_DEP_2)
	v_sub_co_u32 v3, vcc_lo, v7, v3
	v_add3_u32 v4, v4, v11, v10
	s_delay_alu instid0(VALU_DEP_1) | instskip(NEXT) | instid1(VALU_DEP_1)
	v_sub_nc_u32_e32 v10, v14, v4
	v_subrev_co_ci_u32_e64 v7, s0, s37, v10, vcc_lo
	v_add_co_u32 v10, s0, v5, 2
	s_delay_alu instid0(VALU_DEP_1) | instskip(SKIP_3) | instid1(VALU_DEP_3)
	v_add_co_ci_u32_e64 v11, s0, 0, v6, s0
	v_sub_co_u32 v13, s0, v3, s36
	v_sub_co_ci_u32_e32 v4, vcc_lo, v14, v4, vcc_lo
	v_subrev_co_ci_u32_e64 v7, s0, 0, v7, s0
	v_cmp_le_u32_e32 vcc_lo, s36, v13
	s_delay_alu instid0(VALU_DEP_3) | instskip(SKIP_1) | instid1(VALU_DEP_4)
	v_cmp_eq_u32_e64 s0, s37, v4
	v_cndmask_b32_e64 v13, 0, -1, vcc_lo
	v_cmp_le_u32_e32 vcc_lo, s37, v7
	v_cndmask_b32_e64 v14, 0, -1, vcc_lo
	v_cmp_le_u32_e32 vcc_lo, s36, v3
	;; [unrolled: 2-line block ×3, first 2 shown]
	v_cndmask_b32_e64 v15, 0, -1, vcc_lo
	v_cmp_eq_u32_e32 vcc_lo, s37, v7
	s_delay_alu instid0(VALU_DEP_2) | instskip(SKIP_3) | instid1(VALU_DEP_3)
	v_cndmask_b32_e64 v3, v15, v3, s0
	v_cndmask_b32_e32 v7, v14, v13, vcc_lo
	v_add_co_u32 v13, vcc_lo, v5, 1
	v_add_co_ci_u32_e32 v14, vcc_lo, 0, v6, vcc_lo
	v_cmp_ne_u32_e32 vcc_lo, 0, v7
	s_delay_alu instid0(VALU_DEP_2) | instskip(SKIP_2) | instid1(VALU_DEP_3)
	v_dual_cndmask_b32 v4, v14, v11 :: v_dual_cndmask_b32 v7, v13, v10
	v_cmp_ne_u32_e32 vcc_lo, 0, v3
	v_xor_b32_e32 v3, s34, v12
	v_dual_cndmask_b32 v5, v5, v7 :: v_dual_cndmask_b32 v4, v6, v4
	s_delay_alu instid0(VALU_DEP_1) | instskip(NEXT) | instid1(VALU_DEP_2)
	v_xor_b32_e32 v5, v5, v3
	v_xor_b32_e32 v4, v4, v3
	s_delay_alu instid0(VALU_DEP_2) | instskip(NEXT) | instid1(VALU_DEP_2)
	v_sub_co_u32 v6, vcc_lo, v5, v3
	v_sub_co_ci_u32_e32 v7, vcc_lo, v4, v3, vcc_lo
.LBB91_9:                               ;   in Loop: Header=BB91_3 Depth=1
	s_and_not1_saveexec_b32 s0, s31
	s_cbranch_execz .LBB91_11
; %bb.10:                               ;   in Loop: Header=BB91_3 Depth=1
	v_cvt_f32_u32_e32 v3, s8
	s_sub_i32 s31, 0, s8
	v_mov_b32_e32 v7, v2
	s_delay_alu instid0(VALU_DEP_2) | instskip(SKIP_2) | instid1(VALU_DEP_1)
	v_rcp_iflag_f32_e32 v3, v3
	s_waitcnt_depctr 0xfff
	v_mul_f32_e32 v3, 0x4f7ffffe, v3
	v_cvt_u32_f32_e32 v3, v3
	s_delay_alu instid0(VALU_DEP_1) | instskip(NEXT) | instid1(VALU_DEP_1)
	v_mul_lo_u32 v4, s31, v3
	v_mul_hi_u32 v4, v3, v4
	s_delay_alu instid0(VALU_DEP_1) | instskip(NEXT) | instid1(VALU_DEP_1)
	v_add_nc_u32_e32 v3, v3, v4
	v_mul_hi_u32 v3, v8, v3
	s_delay_alu instid0(VALU_DEP_1) | instskip(SKIP_1) | instid1(VALU_DEP_2)
	v_mul_lo_u32 v4, v3, s8
	v_add_nc_u32_e32 v5, 1, v3
	v_sub_nc_u32_e32 v4, v8, v4
	s_delay_alu instid0(VALU_DEP_1) | instskip(SKIP_1) | instid1(VALU_DEP_2)
	v_subrev_nc_u32_e32 v6, s8, v4
	v_cmp_le_u32_e32 vcc_lo, s8, v4
	v_dual_cndmask_b32 v4, v4, v6 :: v_dual_cndmask_b32 v3, v3, v5
	s_delay_alu instid0(VALU_DEP_1) | instskip(NEXT) | instid1(VALU_DEP_2)
	v_cmp_le_u32_e32 vcc_lo, s8, v4
	v_add_nc_u32_e32 v5, 1, v3
	s_delay_alu instid0(VALU_DEP_1)
	v_cndmask_b32_e32 v6, v3, v5, vcc_lo
.LBB91_11:                              ;   in Loop: Header=BB91_3 Depth=1
	s_or_b32 exec_lo, exec_lo, s0
	v_mul_lo_u32 v5, v9, s2
	v_mul_lo_u32 v12, v8, s3
	v_mad_u64_u32 v[3:4], null, v8, s2, 0
	v_mul_lo_u32 v13, v7, s8
	v_mul_lo_u32 v14, v6, s9
	v_mad_u64_u32 v[10:11], null, v6, s8, 0
	s_mov_b64 s[34:35], s[28:29]
	s_mov_b64 s[36:37], s[26:27]
	s_delay_alu instid0(VALU_DEP_4) | instskip(SKIP_2) | instid1(VALU_DEP_3)
	v_add3_u32 v5, v4, v12, v5
	v_sub_co_u32 v4, vcc_lo, v0, v3
	s_mov_b64 s[38:39], s[24:25]
	v_add3_u32 v3, v11, v14, v13
	s_delay_alu instid0(VALU_DEP_3) | instskip(NEXT) | instid1(VALU_DEP_3)
	v_sub_co_ci_u32_e32 v5, vcc_lo, v1, v5, vcc_lo
	v_mul_lo_u32 v11, s15, v4
	v_mul_lo_u32 v12, s19, v4
	v_mad_u64_u32 v[14:15], null, s18, v4, 0
	s_delay_alu instid0(VALU_DEP_4)
	v_mul_lo_u32 v13, s14, v5
	v_mul_lo_u32 v21, s18, v5
	v_mad_u64_u32 v[16:17], null, s14, v4, 0
	v_sub_co_u32 v19, vcc_lo, v8, v10
	v_sub_co_ci_u32_e32 v20, vcc_lo, v9, v3, vcc_lo
	s_and_b32 vcc_lo, exec_lo, s1
	s_delay_alu instid0(VALU_DEP_4) | instskip(NEXT) | instid1(VALU_DEP_4)
	v_add3_u32 v15, v15, v21, v12
	v_add3_u32 v17, v17, v13, v11
	v_mul_lo_u32 v3, s13, v19
	v_mul_lo_u32 v8, s12, v20
	;; [unrolled: 1-line block ×3, first 2 shown]
	v_mad_u64_u32 v[12:13], null, s16, v19, v[14:15]
	v_mul_lo_u32 v10, s17, v19
	v_mad_u64_u32 v[14:15], null, s12, v19, v[16:17]
	s_delay_alu instid0(VALU_DEP_2) | instskip(NEXT) | instid1(VALU_DEP_2)
	v_add3_u32 v13, v10, v13, v9
	v_add3_u32 v15, v3, v15, v8
	v_mov_b32_e32 v8, v12
	s_delay_alu instid0(VALU_DEP_3) | instskip(NEXT) | instid1(VALU_DEP_3)
	v_dual_mov_b32 v10, v14 :: v_dual_mov_b32 v9, v13
	v_mov_b32_e32 v11, v15
	s_cbranch_vccnz .LBB91_22
.LBB91_12:                              ;   in Loop: Header=BB91_3 Depth=1
	v_sub_co_u32 v6, vcc_lo, v4, v19
	v_sub_co_ci_u32_e32 v7, vcc_lo, v5, v20, vcc_lo
	v_dual_mov_b32 v8, 0 :: v_dual_mov_b32 v9, 0
	s_delay_alu instid0(VALU_DEP_3) | instskip(NEXT) | instid1(VALU_DEP_3)
	v_add_co_u32 v10, vcc_lo, v6, 2
	v_add_co_ci_u32_e32 v11, vcc_lo, 0, v7, vcc_lo
	v_dual_mov_b32 v3, 0 :: v_dual_mov_b32 v16, 0
	s_mov_b32 s31, exec_lo
	s_delay_alu instid0(VALU_DEP_2)
	v_cmpx_le_i64_e64 s[4:5], v[10:11]
	s_cbranch_execz .LBB91_18
; %bb.13:                               ;   in Loop: Header=BB91_3 Depth=1
	v_dual_mov_b32 v8, 0 :: v_dual_mov_b32 v3, 0
	v_dual_mov_b32 v11, 0 :: v_dual_mov_b32 v10, 0
	s_mov_b32 s0, exec_lo
	v_cmpx_gt_i64_e64 s[10:11], v[4:5]
	s_cbranch_execz .LBB91_17
; %bb.14:                               ;   in Loop: Header=BB91_3 Depth=1
	v_lshlrev_b64 v[8:9], 2, v[14:15]
	s_delay_alu instid0(VALU_DEP_1) | instskip(NEXT) | instid1(VALU_DEP_2)
	v_add_co_u32 v8, vcc_lo, s20, v8
	v_add_co_ci_u32_e32 v9, vcc_lo, s21, v9, vcc_lo
	v_add_co_u32 v10, vcc_lo, v4, 1
	v_add_co_ci_u32_e32 v11, vcc_lo, 0, v5, vcc_lo
	global_load_b32 v3, v[8:9], off
	v_cmp_gt_i64_e32 vcc_lo, s[10:11], v[10:11]
	v_dual_mov_b32 v10, 0 :: v_dual_mov_b32 v11, 0
	s_and_saveexec_b32 s34, vcc_lo
	s_delay_alu instid0(SALU_CYCLE_1)
	s_xor_b32 s34, exec_lo, s34
	s_cbranch_execz .LBB91_16
; %bb.15:                               ;   in Loop: Header=BB91_3 Depth=1
	s_lshl_b64 s[36:37], s[14:15], 2
	s_delay_alu instid0(SALU_CYCLE_1)
	v_add_co_u32 v8, vcc_lo, v8, s36
	v_add_co_ci_u32_e32 v9, vcc_lo, s37, v9, vcc_lo
	global_load_b32 v10, v[8:9], off
	s_waitcnt vmcnt(0)
	v_and_b32_e32 v11, 0xffff0000, v10
.LBB91_16:                              ;   in Loop: Header=BB91_3 Depth=1
	s_or_b32 exec_lo, exec_lo, s34
	s_waitcnt vmcnt(0)
	v_lshrrev_b32_e32 v8, 16, v3
.LBB91_17:                              ;   in Loop: Header=BB91_3 Depth=1
	s_or_b32 exec_lo, exec_lo, s0
	v_add_co_u32 v14, vcc_lo, v6, 1
	v_add_co_ci_u32_e32 v15, vcc_lo, 0, v7, vcc_lo
	v_cmp_gt_i64_e32 vcc_lo, s[4:5], v[6:7]
	s_delay_alu instid0(VALU_DEP_2) | instskip(SKIP_2) | instid1(VALU_DEP_3)
	v_cmp_gt_i64_e64 s0, s[4:5], v[14:15]
	v_cndmask_b32_e64 v3, v3, 0, vcc_lo
	v_cndmask_b32_e64 v16, v8, 0, vcc_lo
	v_cndmask_b32_e64 v8, v10, 0, s0
	v_cndmask_b32_e64 v9, v11, 0, s0
.LBB91_18:                              ;   in Loop: Header=BB91_3 Depth=1
	s_or_b32 exec_lo, exec_lo, s31
	s_delay_alu instid0(SALU_CYCLE_1)
	s_mov_b32 s0, exec_lo
	v_cmpx_gt_i64_e64 s[10:11], v[4:5]
	s_cbranch_execz .LBB91_2
; %bb.19:                               ;   in Loop: Header=BB91_3 Depth=1
	v_lshlrev_b64 v[6:7], 2, v[12:13]
	v_and_b32_e32 v12, 0xffff, v3
	v_add_co_u32 v10, vcc_lo, v4, 1
	v_add_co_ci_u32_e32 v11, vcc_lo, 0, v5, vcc_lo
	s_delay_alu instid0(VALU_DEP_4)
	v_add_co_u32 v3, vcc_lo, s22, v6
	v_add_co_ci_u32_e32 v4, vcc_lo, s23, v7, vcc_lo
	v_lshl_or_b32 v5, v16, 16, v12
	s_mov_b32 s31, exec_lo
	global_store_b32 v[3:4], v5, off
	v_cmpx_gt_i64_e64 s[10:11], v[10:11]
	s_xor_b32 s31, exec_lo, s31
	s_cbranch_execz .LBB91_2
; %bb.20:                               ;   in Loop: Header=BB91_3 Depth=1
	s_lshl_b64 s[34:35], s[18:19], 2
	v_bfi_b32 v5, 0xffff0000, v9, v8
	v_add_co_u32 v3, vcc_lo, v3, s34
	v_add_co_ci_u32_e32 v4, vcc_lo, s35, v4, vcc_lo
	global_store_b32 v[3:4], v5, off
	s_branch .LBB91_2
.LBB91_21:                              ;   in Loop: Header=BB91_22 Depth=2
	s_or_b32 exec_lo, exec_lo, s0
	s_delay_alu instid0(VALU_DEP_1) | instskip(NEXT) | instid1(VALU_DEP_2)
	v_mul_lo_u32 v3, v17, s40
	v_mul_lo_u32 v14, v16, s41
	s_load_b64 s[42:43], s[36:37], 0xc8
	v_mad_u64_u32 v[12:13], null, v16, s40, 0
	s_load_b64 s[40:41], s[38:39], 0x0
	s_add_u32 s38, s38, -8
	s_addc_u32 s39, s39, -1
	s_add_u32 s36, s36, -8
	s_addc_u32 s37, s37, -1
	s_add_u32 s34, s34, -1
	s_delay_alu instid0(VALU_DEP_1) | instskip(SKIP_2) | instid1(VALU_DEP_2)
	v_add3_u32 v3, v13, v14, v3
	v_sub_co_u32 v6, vcc_lo, v6, v12
	s_addc_u32 s35, s35, -1
	v_sub_co_ci_u32_e32 v3, vcc_lo, v7, v3, vcc_lo
	v_cmp_lt_i64_e64 s0, s[34:35], 1
	s_waitcnt lgkmcnt(0)
	s_delay_alu instid0(VALU_DEP_2)
	v_mul_lo_u32 v7, s42, v3
	v_mul_lo_u32 v21, s43, v6
	v_mad_u64_u32 v[14:15], null, s42, v6, v[10:11]
	v_mul_lo_u32 v3, s40, v3
	v_mul_lo_u32 v10, s41, v6
	v_mad_u64_u32 v[12:13], null, s40, v6, v[8:9]
	s_and_b32 vcc_lo, exec_lo, s0
	s_delay_alu instid0(VALU_DEP_4) | instskip(SKIP_1) | instid1(VALU_DEP_3)
	v_add3_u32 v15, v21, v15, v7
	v_dual_mov_b32 v6, v16 :: v_dual_mov_b32 v7, v17
	v_add3_u32 v13, v10, v13, v3
	s_delay_alu instid0(VALU_DEP_4) | instskip(NEXT) | instid1(VALU_DEP_4)
	v_mov_b32_e32 v8, v12
	v_dual_mov_b32 v10, v14 :: v_dual_mov_b32 v11, v15
	s_delay_alu instid0(VALU_DEP_3)
	v_mov_b32_e32 v9, v13
	s_cbranch_vccnz .LBB91_12
.LBB91_22:                              ;   Parent Loop BB91_3 Depth=1
                                        ; =>  This Inner Loop Header: Depth=2
	s_load_b64 s[40:41], s[36:37], 0x0
                                        ; implicit-def: $vgpr16_vgpr17
	s_mov_b32 s0, exec_lo
	s_waitcnt lgkmcnt(0)
	v_or_b32_e32 v3, s41, v7
	s_delay_alu instid0(VALU_DEP_1)
	v_cmpx_ne_u64_e32 0, v[2:3]
	s_xor_b32 s31, exec_lo, s0
	s_cbranch_execz .LBB91_24
; %bb.23:                               ;   in Loop: Header=BB91_22 Depth=2
	s_ashr_i32 s42, s41, 31
	s_delay_alu instid0(SALU_CYCLE_1) | instskip(SKIP_2) | instid1(SALU_CYCLE_1)
	s_add_u32 s44, s40, s42
	s_mov_b32 s43, s42
	s_addc_u32 s45, s41, s42
	s_xor_b64 s[44:45], s[44:45], s[42:43]
	s_delay_alu instid0(SALU_CYCLE_1) | instskip(SKIP_3) | instid1(VALU_DEP_1)
	v_cvt_f32_u32_e32 v3, s44
	v_cvt_f32_u32_e32 v12, s45
	s_sub_u32 s0, 0, s44
	s_subb_u32 s43, 0, s45
	v_fmac_f32_e32 v3, 0x4f800000, v12
	s_delay_alu instid0(VALU_DEP_1) | instskip(SKIP_2) | instid1(VALU_DEP_1)
	v_rcp_f32_e32 v3, v3
	s_waitcnt_depctr 0xfff
	v_mul_f32_e32 v3, 0x5f7ffffc, v3
	v_mul_f32_e32 v12, 0x2f800000, v3
	s_delay_alu instid0(VALU_DEP_1) | instskip(NEXT) | instid1(VALU_DEP_1)
	v_trunc_f32_e32 v12, v12
	v_fmac_f32_e32 v3, 0xcf800000, v12
	v_cvt_u32_f32_e32 v12, v12
	s_delay_alu instid0(VALU_DEP_2) | instskip(NEXT) | instid1(VALU_DEP_2)
	v_cvt_u32_f32_e32 v3, v3
	v_mul_lo_u32 v13, s0, v12
	s_delay_alu instid0(VALU_DEP_2) | instskip(SKIP_1) | instid1(VALU_DEP_2)
	v_mul_hi_u32 v14, s0, v3
	v_mul_lo_u32 v15, s43, v3
	v_add_nc_u32_e32 v13, v14, v13
	v_mul_lo_u32 v14, s0, v3
	s_delay_alu instid0(VALU_DEP_2) | instskip(NEXT) | instid1(VALU_DEP_2)
	v_add_nc_u32_e32 v13, v13, v15
	v_mul_hi_u32 v15, v3, v14
	s_delay_alu instid0(VALU_DEP_2)
	v_mul_lo_u32 v16, v3, v13
	v_mul_hi_u32 v17, v3, v13
	v_mul_hi_u32 v21, v12, v14
	v_mul_lo_u32 v14, v12, v14
	v_mul_hi_u32 v22, v12, v13
	v_mul_lo_u32 v13, v12, v13
	v_add_co_u32 v15, vcc_lo, v15, v16
	v_add_co_ci_u32_e32 v16, vcc_lo, 0, v17, vcc_lo
	s_delay_alu instid0(VALU_DEP_2) | instskip(NEXT) | instid1(VALU_DEP_2)
	v_add_co_u32 v14, vcc_lo, v15, v14
	v_add_co_ci_u32_e32 v14, vcc_lo, v16, v21, vcc_lo
	v_add_co_ci_u32_e32 v15, vcc_lo, 0, v22, vcc_lo
	v_ashrrev_i32_e32 v21, 31, v7
	s_delay_alu instid0(VALU_DEP_3) | instskip(NEXT) | instid1(VALU_DEP_3)
	v_add_co_u32 v13, vcc_lo, v14, v13
	v_add_co_ci_u32_e32 v14, vcc_lo, 0, v15, vcc_lo
	s_delay_alu instid0(VALU_DEP_2) | instskip(NEXT) | instid1(VALU_DEP_2)
	v_add_co_u32 v3, vcc_lo, v3, v13
	v_add_co_ci_u32_e32 v12, vcc_lo, v12, v14, vcc_lo
	s_delay_alu instid0(VALU_DEP_2) | instskip(SKIP_1) | instid1(VALU_DEP_3)
	v_mul_hi_u32 v13, s0, v3
	v_mul_lo_u32 v15, s43, v3
	v_mul_lo_u32 v14, s0, v12
	s_delay_alu instid0(VALU_DEP_1) | instskip(SKIP_1) | instid1(VALU_DEP_2)
	v_add_nc_u32_e32 v13, v13, v14
	v_mul_lo_u32 v14, s0, v3
	v_add_nc_u32_e32 v13, v13, v15
	s_delay_alu instid0(VALU_DEP_2) | instskip(NEXT) | instid1(VALU_DEP_2)
	v_mul_hi_u32 v15, v3, v14
	v_mul_lo_u32 v16, v3, v13
	v_mul_hi_u32 v17, v3, v13
	v_mul_hi_u32 v22, v12, v14
	v_mul_lo_u32 v14, v12, v14
	v_mul_hi_u32 v23, v12, v13
	v_mul_lo_u32 v13, v12, v13
	v_add_co_u32 v15, vcc_lo, v15, v16
	v_add_co_ci_u32_e32 v16, vcc_lo, 0, v17, vcc_lo
	s_delay_alu instid0(VALU_DEP_2) | instskip(NEXT) | instid1(VALU_DEP_2)
	v_add_co_u32 v14, vcc_lo, v15, v14
	v_add_co_ci_u32_e32 v14, vcc_lo, v16, v22, vcc_lo
	v_add_co_ci_u32_e32 v15, vcc_lo, 0, v23, vcc_lo
	v_add_co_u32 v16, vcc_lo, v6, v21
	v_add_co_ci_u32_e32 v17, vcc_lo, v7, v21, vcc_lo
	s_delay_alu instid0(VALU_DEP_4) | instskip(NEXT) | instid1(VALU_DEP_4)
	v_add_co_u32 v13, vcc_lo, v14, v13
	v_add_co_ci_u32_e32 v14, vcc_lo, 0, v15, vcc_lo
	s_delay_alu instid0(VALU_DEP_4) | instskip(NEXT) | instid1(VALU_DEP_3)
	v_xor_b32_e32 v22, v16, v21
	v_add_co_u32 v3, vcc_lo, v3, v13
	s_delay_alu instid0(VALU_DEP_3) | instskip(SKIP_1) | instid1(VALU_DEP_3)
	v_add_co_ci_u32_e32 v23, vcc_lo, v12, v14, vcc_lo
	v_xor_b32_e32 v24, v17, v21
	v_mul_hi_u32 v25, v22, v3
	s_delay_alu instid0(VALU_DEP_3) | instskip(NEXT) | instid1(VALU_DEP_3)
	v_mad_u64_u32 v[12:13], null, v22, v23, 0
	v_mad_u64_u32 v[14:15], null, v24, v3, 0
	;; [unrolled: 1-line block ×3, first 2 shown]
	s_delay_alu instid0(VALU_DEP_3) | instskip(NEXT) | instid1(VALU_DEP_4)
	v_add_co_u32 v3, vcc_lo, v25, v12
	v_add_co_ci_u32_e32 v12, vcc_lo, 0, v13, vcc_lo
	s_delay_alu instid0(VALU_DEP_2) | instskip(NEXT) | instid1(VALU_DEP_2)
	v_add_co_u32 v3, vcc_lo, v3, v14
	v_add_co_ci_u32_e32 v3, vcc_lo, v12, v15, vcc_lo
	v_add_co_ci_u32_e32 v12, vcc_lo, 0, v17, vcc_lo
	s_delay_alu instid0(VALU_DEP_2) | instskip(NEXT) | instid1(VALU_DEP_2)
	v_add_co_u32 v3, vcc_lo, v3, v16
	v_add_co_ci_u32_e32 v14, vcc_lo, 0, v12, vcc_lo
	s_delay_alu instid0(VALU_DEP_2) | instskip(SKIP_1) | instid1(VALU_DEP_3)
	v_mul_lo_u32 v15, s45, v3
	v_mad_u64_u32 v[12:13], null, s44, v3, 0
	v_mul_lo_u32 v16, s44, v14
	s_delay_alu instid0(VALU_DEP_2) | instskip(NEXT) | instid1(VALU_DEP_2)
	v_sub_co_u32 v12, vcc_lo, v22, v12
	v_add3_u32 v13, v13, v16, v15
	s_delay_alu instid0(VALU_DEP_1) | instskip(NEXT) | instid1(VALU_DEP_1)
	v_sub_nc_u32_e32 v15, v24, v13
	v_subrev_co_ci_u32_e64 v15, s0, s45, v15, vcc_lo
	v_add_co_u32 v16, s0, v3, 2
	s_delay_alu instid0(VALU_DEP_1) | instskip(SKIP_3) | instid1(VALU_DEP_3)
	v_add_co_ci_u32_e64 v17, s0, 0, v14, s0
	v_sub_co_u32 v22, s0, v12, s44
	v_sub_co_ci_u32_e32 v13, vcc_lo, v24, v13, vcc_lo
	v_subrev_co_ci_u32_e64 v15, s0, 0, v15, s0
	v_cmp_le_u32_e32 vcc_lo, s44, v22
	s_delay_alu instid0(VALU_DEP_3) | instskip(SKIP_1) | instid1(VALU_DEP_4)
	v_cmp_eq_u32_e64 s0, s45, v13
	v_cndmask_b32_e64 v22, 0, -1, vcc_lo
	v_cmp_le_u32_e32 vcc_lo, s45, v15
	v_cndmask_b32_e64 v23, 0, -1, vcc_lo
	v_cmp_le_u32_e32 vcc_lo, s44, v12
	;; [unrolled: 2-line block ×3, first 2 shown]
	v_cndmask_b32_e64 v24, 0, -1, vcc_lo
	v_cmp_eq_u32_e32 vcc_lo, s45, v15
	s_delay_alu instid0(VALU_DEP_2) | instskip(SKIP_3) | instid1(VALU_DEP_3)
	v_cndmask_b32_e64 v12, v24, v12, s0
	v_cndmask_b32_e32 v15, v23, v22, vcc_lo
	v_add_co_u32 v22, vcc_lo, v3, 1
	v_add_co_ci_u32_e32 v23, vcc_lo, 0, v14, vcc_lo
	v_cmp_ne_u32_e32 vcc_lo, 0, v15
	s_delay_alu instid0(VALU_DEP_2) | instskip(NEXT) | instid1(VALU_DEP_4)
	v_cndmask_b32_e32 v13, v23, v17, vcc_lo
	v_cndmask_b32_e32 v15, v22, v16, vcc_lo
	v_cmp_ne_u32_e32 vcc_lo, 0, v12
	v_xor_b32_e32 v12, s42, v21
	s_delay_alu instid0(VALU_DEP_3) | instskip(SKIP_1) | instid1(VALU_DEP_2)
	v_cndmask_b32_e32 v3, v3, v15, vcc_lo
	v_cndmask_b32_e32 v13, v14, v13, vcc_lo
	v_xor_b32_e32 v3, v3, v12
	s_delay_alu instid0(VALU_DEP_2) | instskip(NEXT) | instid1(VALU_DEP_2)
	v_xor_b32_e32 v13, v13, v12
	v_sub_co_u32 v16, vcc_lo, v3, v12
	s_delay_alu instid0(VALU_DEP_2)
	v_sub_co_ci_u32_e32 v17, vcc_lo, v13, v12, vcc_lo
.LBB91_24:                              ;   in Loop: Header=BB91_22 Depth=2
	s_and_not1_saveexec_b32 s0, s31
	s_cbranch_execz .LBB91_21
; %bb.25:                               ;   in Loop: Header=BB91_22 Depth=2
	v_cvt_f32_u32_e32 v3, s40
	s_sub_i32 s31, 0, s40
	v_mov_b32_e32 v17, v2
	s_delay_alu instid0(VALU_DEP_2) | instskip(SKIP_2) | instid1(VALU_DEP_1)
	v_rcp_iflag_f32_e32 v3, v3
	s_waitcnt_depctr 0xfff
	v_mul_f32_e32 v3, 0x4f7ffffe, v3
	v_cvt_u32_f32_e32 v3, v3
	s_delay_alu instid0(VALU_DEP_1) | instskip(NEXT) | instid1(VALU_DEP_1)
	v_mul_lo_u32 v12, s31, v3
	v_mul_hi_u32 v12, v3, v12
	s_delay_alu instid0(VALU_DEP_1) | instskip(NEXT) | instid1(VALU_DEP_1)
	v_add_nc_u32_e32 v3, v3, v12
	v_mul_hi_u32 v3, v6, v3
	s_delay_alu instid0(VALU_DEP_1) | instskip(SKIP_1) | instid1(VALU_DEP_2)
	v_mul_lo_u32 v12, v3, s40
	v_add_nc_u32_e32 v13, 1, v3
	v_sub_nc_u32_e32 v12, v6, v12
	s_delay_alu instid0(VALU_DEP_1) | instskip(SKIP_1) | instid1(VALU_DEP_2)
	v_subrev_nc_u32_e32 v14, s40, v12
	v_cmp_le_u32_e32 vcc_lo, s40, v12
	v_dual_cndmask_b32 v12, v12, v14 :: v_dual_cndmask_b32 v3, v3, v13
	s_delay_alu instid0(VALU_DEP_1) | instskip(NEXT) | instid1(VALU_DEP_2)
	v_cmp_le_u32_e32 vcc_lo, s40, v12
	v_add_nc_u32_e32 v13, 1, v3
	s_delay_alu instid0(VALU_DEP_1)
	v_cndmask_b32_e32 v16, v3, v13, vcc_lo
	s_branch .LBB91_21
.LBB91_26:
	s_nop 0
	s_sendmsg sendmsg(MSG_DEALLOC_VGPRS)
	s_endpgm
	.section	.rodata,"a",@progbits
	.p2align	6, 0x0
	.amdhsa_kernel _ZN2at6native16triu_tril_kernelIN3c107complexINS2_4HalfEEElLb1ELi2ELb0EEEvNS_4cuda6detail10TensorInfoIT_T0_EENS8_IKS9_SA_EEllSA_
		.amdhsa_group_segment_fixed_size 0
		.amdhsa_private_segment_fixed_size 0
		.amdhsa_kernarg_size 1112
		.amdhsa_user_sgpr_count 15
		.amdhsa_user_sgpr_dispatch_ptr 0
		.amdhsa_user_sgpr_queue_ptr 0
		.amdhsa_user_sgpr_kernarg_segment_ptr 1
		.amdhsa_user_sgpr_dispatch_id 0
		.amdhsa_user_sgpr_private_segment_size 0
		.amdhsa_wavefront_size32 1
		.amdhsa_uses_dynamic_stack 0
		.amdhsa_enable_private_segment 0
		.amdhsa_system_sgpr_workgroup_id_x 1
		.amdhsa_system_sgpr_workgroup_id_y 0
		.amdhsa_system_sgpr_workgroup_id_z 0
		.amdhsa_system_sgpr_workgroup_info 0
		.amdhsa_system_vgpr_workitem_id 0
		.amdhsa_next_free_vgpr 26
		.amdhsa_next_free_sgpr 47
		.amdhsa_reserve_vcc 1
		.amdhsa_float_round_mode_32 0
		.amdhsa_float_round_mode_16_64 0
		.amdhsa_float_denorm_mode_32 3
		.amdhsa_float_denorm_mode_16_64 3
		.amdhsa_dx10_clamp 1
		.amdhsa_ieee_mode 1
		.amdhsa_fp16_overflow 0
		.amdhsa_workgroup_processor_mode 1
		.amdhsa_memory_ordered 1
		.amdhsa_forward_progress 0
		.amdhsa_shared_vgpr_count 0
		.amdhsa_exception_fp_ieee_invalid_op 0
		.amdhsa_exception_fp_denorm_src 0
		.amdhsa_exception_fp_ieee_div_zero 0
		.amdhsa_exception_fp_ieee_overflow 0
		.amdhsa_exception_fp_ieee_underflow 0
		.amdhsa_exception_fp_ieee_inexact 0
		.amdhsa_exception_int_div_zero 0
	.end_amdhsa_kernel
	.section	.text._ZN2at6native16triu_tril_kernelIN3c107complexINS2_4HalfEEElLb1ELi2ELb0EEEvNS_4cuda6detail10TensorInfoIT_T0_EENS8_IKS9_SA_EEllSA_,"axG",@progbits,_ZN2at6native16triu_tril_kernelIN3c107complexINS2_4HalfEEElLb1ELi2ELb0EEEvNS_4cuda6detail10TensorInfoIT_T0_EENS8_IKS9_SA_EEllSA_,comdat
.Lfunc_end91:
	.size	_ZN2at6native16triu_tril_kernelIN3c107complexINS2_4HalfEEElLb1ELi2ELb0EEEvNS_4cuda6detail10TensorInfoIT_T0_EENS8_IKS9_SA_EEllSA_, .Lfunc_end91-_ZN2at6native16triu_tril_kernelIN3c107complexINS2_4HalfEEElLb1ELi2ELb0EEEvNS_4cuda6detail10TensorInfoIT_T0_EENS8_IKS9_SA_EEllSA_
                                        ; -- End function
	.section	.AMDGPU.csdata,"",@progbits
; Kernel info:
; codeLenInByte = 4264
; NumSgprs: 49
; NumVgprs: 26
; ScratchSize: 0
; MemoryBound: 0
; FloatMode: 240
; IeeeMode: 1
; LDSByteSize: 0 bytes/workgroup (compile time only)
; SGPRBlocks: 6
; VGPRBlocks: 3
; NumSGPRsForWavesPerEU: 49
; NumVGPRsForWavesPerEU: 26
; Occupancy: 16
; WaveLimiterHint : 0
; COMPUTE_PGM_RSRC2:SCRATCH_EN: 0
; COMPUTE_PGM_RSRC2:USER_SGPR: 15
; COMPUTE_PGM_RSRC2:TRAP_HANDLER: 0
; COMPUTE_PGM_RSRC2:TGID_X_EN: 1
; COMPUTE_PGM_RSRC2:TGID_Y_EN: 0
; COMPUTE_PGM_RSRC2:TGID_Z_EN: 0
; COMPUTE_PGM_RSRC2:TIDIG_COMP_CNT: 0
	.section	.text._ZN2at6native16triu_tril_kernelIN3c104HalfEiLb1ELi4ELb1EEEvNS_4cuda6detail10TensorInfoIT_T0_EENS6_IKS7_S8_EEllS8_,"axG",@progbits,_ZN2at6native16triu_tril_kernelIN3c104HalfEiLb1ELi4ELb1EEEvNS_4cuda6detail10TensorInfoIT_T0_EENS6_IKS7_S8_EEllS8_,comdat
	.protected	_ZN2at6native16triu_tril_kernelIN3c104HalfEiLb1ELi4ELb1EEEvNS_4cuda6detail10TensorInfoIT_T0_EENS6_IKS7_S8_EEllS8_ ; -- Begin function _ZN2at6native16triu_tril_kernelIN3c104HalfEiLb1ELi4ELb1EEEvNS_4cuda6detail10TensorInfoIT_T0_EENS6_IKS7_S8_EEllS8_
	.globl	_ZN2at6native16triu_tril_kernelIN3c104HalfEiLb1ELi4ELb1EEEvNS_4cuda6detail10TensorInfoIT_T0_EENS6_IKS7_S8_EEllS8_
	.p2align	8
	.type	_ZN2at6native16triu_tril_kernelIN3c104HalfEiLb1ELi4ELb1EEEvNS_4cuda6detail10TensorInfoIT_T0_EENS6_IKS7_S8_EEllS8_,@function
_ZN2at6native16triu_tril_kernelIN3c104HalfEiLb1ELi4ELb1EEEvNS_4cuda6detail10TensorInfoIT_T0_EENS6_IKS7_S8_EEllS8_: ; @_ZN2at6native16triu_tril_kernelIN3c104HalfEiLb1ELi4ELb1EEEvNS_4cuda6detail10TensorInfoIT_T0_EENS6_IKS7_S8_EEllS8_
; %bb.0:
	s_clause 0x1
	s_load_b32 s2, s[0:1], 0x1d4
	s_load_b128 s[4:7], s[0:1], 0x1b0
	v_mov_b32_e32 v2, 0
	s_add_u32 s8, s0, 0x1c8
	s_addc_u32 s9, s1, 0
	s_delay_alu instid0(VALU_DEP_1) | instskip(SKIP_3) | instid1(VALU_DEP_1)
	v_mov_b32_e32 v1, v2
	s_waitcnt lgkmcnt(0)
	s_and_b32 s14, s2, 0xffff
	s_mov_b32 s2, exec_lo
	v_mad_u64_u32 v[3:4], null, s14, s15, v[0:1]
	s_delay_alu instid0(VALU_DEP_1) | instskip(NEXT) | instid1(VALU_DEP_1)
	v_lshlrev_b64 v[0:1], 2, v[3:4]
	v_cmpx_gt_i64_e64 s[6:7], v[0:1]
	s_cbranch_execz .LBB92_68
; %bb.1:
	s_clause 0x2
	s_load_b32 s24, s[0:1], 0x1c0
	s_load_b32 s16, s[0:1], 0x1a8
	s_load_b64 s[2:3], s[0:1], 0x0
	s_load_b32 s19, s[8:9], 0x0
	s_mov_b32 s38, 0
	s_waitcnt lgkmcnt(0)
	s_ashr_i32 s25, s24, 31
	s_ashr_i32 s17, s16, 31
	s_add_u32 s26, s0, 0xe0
	s_addc_u32 s27, s1, 0
	s_lshl_b64 s[10:11], s[16:17], 2
	v_cvt_f32_u32_e32 v3, s24
	s_add_u32 s15, s10, -8
	s_addc_u32 s18, s11, -1
	s_add_u32 s12, s26, s15
	s_addc_u32 s13, s27, s18
	v_rcp_iflag_f32_e32 v3, v3
	s_load_b32 s28, s[12:13], 0x0
	s_mul_i32 s19, s19, s14
	v_cmp_gt_i64_e64 s37, s[16:17], 2
	s_waitcnt_depctr 0xfff
	v_mul_f32_e32 v3, 0x4f7ffffe, v3
	s_delay_alu instid0(VALU_DEP_1)
	v_cvt_u32_f32_e32 v3, v3
	s_waitcnt lgkmcnt(0)
	s_ashr_i32 s29, s28, 31
	s_add_u32 s12, s10, -4
	s_addc_u32 s13, s11, -1
	s_add_u32 s30, s0, 0x6c
	s_addc_u32 s1, s1, 0
	s_add_u32 s8, s30, s12
	s_addc_u32 s9, s1, s13
	;; [unrolled: 2-line block ×3, first 2 shown]
	s_add_i32 s31, s16, -3
	s_add_u32 s12, s26, s12
	s_addc_u32 s13, s27, s13
	s_add_i32 s0, s16, 6
	s_lshl_b32 s34, s19, 2
	s_and_b32 s33, s0, 7
	s_mov_b32 s15, 0
	s_cmp_lg_u32 s33, 0
	s_cselect_b32 s35, -1, 0
	s_cmp_gt_u32 s31, 6
	s_cselect_b32 s36, -1, 0
	s_sub_i32 s0, 0, s24
	s_delay_alu instid0(SALU_CYCLE_1) | instskip(NEXT) | instid1(VALU_DEP_1)
	v_mul_lo_u32 v4, s0, v3
	v_mul_hi_u32 v4, v3, v4
	s_delay_alu instid0(VALU_DEP_1)
	v_add_nc_u32_e32 v24, v3, v4
	s_branch .LBB92_3
.LBB92_2:                               ;   in Loop: Header=BB92_3 Depth=1
	s_or_b32 exec_lo, exec_lo, s39
	v_add_co_u32 v0, vcc_lo, v0, s34
	v_add_co_ci_u32_e32 v1, vcc_lo, 0, v1, vcc_lo
	s_delay_alu instid0(VALU_DEP_1) | instskip(SKIP_1) | instid1(SALU_CYCLE_1)
	v_cmp_le_i64_e32 vcc_lo, s[6:7], v[0:1]
	s_or_b32 s38, vcc_lo, s38
	s_and_not1_b32 exec_lo, exec_lo, s38
	s_cbranch_execz .LBB92_68
.LBB92_3:                               ; =>This Loop Header: Depth=1
                                        ;     Child Loop BB92_15 Depth 2
                                        ;     Child Loop BB92_24 Depth 2
	v_or_b32_e32 v3, s25, v1
                                        ; implicit-def: $vgpr4_vgpr5
	s_mov_b32 s0, exec_lo
	s_delay_alu instid0(VALU_DEP_1)
	v_cmpx_ne_u64_e32 0, v[2:3]
	s_xor_b32 s14, exec_lo, s0
	s_cbranch_execz .LBB92_5
; %bb.4:                                ;   in Loop: Header=BB92_3 Depth=1
	s_add_u32 s18, s24, s25
	s_mov_b32 s16, s25
	s_mov_b32 s17, s25
	s_addc_u32 s19, s25, s25
	s_delay_alu instid0(SALU_CYCLE_1) | instskip(NEXT) | instid1(SALU_CYCLE_1)
	s_xor_b64 s[18:19], s[18:19], s[16:17]
	v_cvt_f32_u32_e32 v3, s18
	v_cvt_f32_u32_e32 v4, s19
	s_sub_u32 s0, 0, s18
	s_subb_u32 s20, 0, s19
	s_delay_alu instid0(VALU_DEP_1) | instskip(NEXT) | instid1(VALU_DEP_1)
	v_fmac_f32_e32 v3, 0x4f800000, v4
	v_rcp_f32_e32 v3, v3
	s_waitcnt_depctr 0xfff
	v_mul_f32_e32 v3, 0x5f7ffffc, v3
	s_delay_alu instid0(VALU_DEP_1) | instskip(NEXT) | instid1(VALU_DEP_1)
	v_mul_f32_e32 v4, 0x2f800000, v3
	v_trunc_f32_e32 v4, v4
	s_delay_alu instid0(VALU_DEP_1) | instskip(SKIP_1) | instid1(VALU_DEP_2)
	v_fmac_f32_e32 v3, 0xcf800000, v4
	v_cvt_u32_f32_e32 v4, v4
	v_cvt_u32_f32_e32 v3, v3
	s_delay_alu instid0(VALU_DEP_2) | instskip(NEXT) | instid1(VALU_DEP_2)
	v_mul_lo_u32 v5, s0, v4
	v_mul_hi_u32 v6, s0, v3
	v_mul_lo_u32 v7, s20, v3
	s_delay_alu instid0(VALU_DEP_2) | instskip(SKIP_1) | instid1(VALU_DEP_2)
	v_add_nc_u32_e32 v5, v6, v5
	v_mul_lo_u32 v6, s0, v3
	v_add_nc_u32_e32 v5, v5, v7
	s_delay_alu instid0(VALU_DEP_2) | instskip(NEXT) | instid1(VALU_DEP_2)
	v_mul_hi_u32 v7, v3, v6
	v_mul_lo_u32 v8, v3, v5
	v_mul_hi_u32 v9, v3, v5
	v_mul_hi_u32 v10, v4, v6
	v_mul_lo_u32 v6, v4, v6
	v_mul_hi_u32 v11, v4, v5
	v_mul_lo_u32 v5, v4, v5
	v_add_co_u32 v7, vcc_lo, v7, v8
	v_add_co_ci_u32_e32 v8, vcc_lo, 0, v9, vcc_lo
	s_delay_alu instid0(VALU_DEP_2) | instskip(NEXT) | instid1(VALU_DEP_2)
	v_add_co_u32 v6, vcc_lo, v7, v6
	v_add_co_ci_u32_e32 v6, vcc_lo, v8, v10, vcc_lo
	v_add_co_ci_u32_e32 v7, vcc_lo, 0, v11, vcc_lo
	v_ashrrev_i32_e32 v10, 31, v1
	s_delay_alu instid0(VALU_DEP_3) | instskip(NEXT) | instid1(VALU_DEP_3)
	v_add_co_u32 v5, vcc_lo, v6, v5
	v_add_co_ci_u32_e32 v6, vcc_lo, 0, v7, vcc_lo
	s_delay_alu instid0(VALU_DEP_2) | instskip(NEXT) | instid1(VALU_DEP_2)
	v_add_co_u32 v3, vcc_lo, v3, v5
	v_add_co_ci_u32_e32 v4, vcc_lo, v4, v6, vcc_lo
	s_delay_alu instid0(VALU_DEP_2) | instskip(SKIP_1) | instid1(VALU_DEP_3)
	v_mul_hi_u32 v5, s0, v3
	v_mul_lo_u32 v7, s20, v3
	v_mul_lo_u32 v6, s0, v4
	s_delay_alu instid0(VALU_DEP_1) | instskip(SKIP_1) | instid1(VALU_DEP_2)
	v_add_nc_u32_e32 v5, v5, v6
	v_mul_lo_u32 v6, s0, v3
	v_add_nc_u32_e32 v5, v5, v7
	s_delay_alu instid0(VALU_DEP_2) | instskip(NEXT) | instid1(VALU_DEP_2)
	v_mul_hi_u32 v7, v3, v6
	v_mul_lo_u32 v8, v3, v5
	v_mul_hi_u32 v9, v3, v5
	v_mul_hi_u32 v11, v4, v6
	v_mul_lo_u32 v6, v4, v6
	v_mul_hi_u32 v12, v4, v5
	v_mul_lo_u32 v5, v4, v5
	v_add_co_u32 v7, vcc_lo, v7, v8
	v_add_co_ci_u32_e32 v8, vcc_lo, 0, v9, vcc_lo
	s_delay_alu instid0(VALU_DEP_2) | instskip(NEXT) | instid1(VALU_DEP_2)
	v_add_co_u32 v6, vcc_lo, v7, v6
	v_add_co_ci_u32_e32 v6, vcc_lo, v8, v11, vcc_lo
	v_add_co_ci_u32_e32 v7, vcc_lo, 0, v12, vcc_lo
	v_add_co_u32 v8, vcc_lo, v0, v10
	v_add_co_ci_u32_e32 v9, vcc_lo, v1, v10, vcc_lo
	s_delay_alu instid0(VALU_DEP_4) | instskip(NEXT) | instid1(VALU_DEP_4)
	v_add_co_u32 v5, vcc_lo, v6, v5
	v_add_co_ci_u32_e32 v6, vcc_lo, 0, v7, vcc_lo
	s_delay_alu instid0(VALU_DEP_4) | instskip(NEXT) | instid1(VALU_DEP_3)
	v_xor_b32_e32 v11, v8, v10
	v_add_co_u32 v7, vcc_lo, v3, v5
	s_delay_alu instid0(VALU_DEP_3) | instskip(SKIP_1) | instid1(VALU_DEP_3)
	v_add_co_ci_u32_e32 v12, vcc_lo, v4, v6, vcc_lo
	v_xor_b32_e32 v9, v9, v10
	v_mul_hi_u32 v13, v11, v7
	s_delay_alu instid0(VALU_DEP_3) | instskip(NEXT) | instid1(VALU_DEP_3)
	v_mad_u64_u32 v[3:4], null, v11, v12, 0
	v_mad_u64_u32 v[5:6], null, v9, v7, 0
	;; [unrolled: 1-line block ×3, first 2 shown]
	s_delay_alu instid0(VALU_DEP_3) | instskip(NEXT) | instid1(VALU_DEP_4)
	v_add_co_u32 v3, vcc_lo, v13, v3
	v_add_co_ci_u32_e32 v4, vcc_lo, 0, v4, vcc_lo
	s_delay_alu instid0(VALU_DEP_2) | instskip(NEXT) | instid1(VALU_DEP_2)
	v_add_co_u32 v3, vcc_lo, v3, v5
	v_add_co_ci_u32_e32 v3, vcc_lo, v4, v6, vcc_lo
	v_add_co_ci_u32_e32 v4, vcc_lo, 0, v8, vcc_lo
	s_delay_alu instid0(VALU_DEP_2) | instskip(NEXT) | instid1(VALU_DEP_2)
	v_add_co_u32 v5, vcc_lo, v3, v7
	v_add_co_ci_u32_e32 v6, vcc_lo, 0, v4, vcc_lo
	s_delay_alu instid0(VALU_DEP_2) | instskip(SKIP_1) | instid1(VALU_DEP_3)
	v_mul_lo_u32 v7, s19, v5
	v_mad_u64_u32 v[3:4], null, s18, v5, 0
	v_mul_lo_u32 v8, s18, v6
	s_delay_alu instid0(VALU_DEP_2) | instskip(NEXT) | instid1(VALU_DEP_2)
	v_sub_co_u32 v3, vcc_lo, v11, v3
	v_add3_u32 v4, v4, v8, v7
	s_delay_alu instid0(VALU_DEP_1) | instskip(NEXT) | instid1(VALU_DEP_1)
	v_sub_nc_u32_e32 v7, v9, v4
	v_subrev_co_ci_u32_e64 v7, s0, s19, v7, vcc_lo
	v_add_co_u32 v8, s0, v5, 2
	s_delay_alu instid0(VALU_DEP_1) | instskip(SKIP_3) | instid1(VALU_DEP_3)
	v_add_co_ci_u32_e64 v11, s0, 0, v6, s0
	v_sub_co_u32 v12, s0, v3, s18
	v_sub_co_ci_u32_e32 v4, vcc_lo, v9, v4, vcc_lo
	v_subrev_co_ci_u32_e64 v7, s0, 0, v7, s0
	v_cmp_le_u32_e32 vcc_lo, s18, v12
	s_delay_alu instid0(VALU_DEP_3) | instskip(SKIP_1) | instid1(VALU_DEP_4)
	v_cmp_eq_u32_e64 s0, s19, v4
	v_cndmask_b32_e64 v9, 0, -1, vcc_lo
	v_cmp_le_u32_e32 vcc_lo, s19, v7
	v_cndmask_b32_e64 v12, 0, -1, vcc_lo
	v_cmp_le_u32_e32 vcc_lo, s18, v3
	;; [unrolled: 2-line block ×3, first 2 shown]
	v_cndmask_b32_e64 v13, 0, -1, vcc_lo
	v_cmp_eq_u32_e32 vcc_lo, s19, v7
	s_delay_alu instid0(VALU_DEP_2) | instskip(SKIP_3) | instid1(VALU_DEP_3)
	v_cndmask_b32_e64 v3, v13, v3, s0
	v_cndmask_b32_e32 v7, v12, v9, vcc_lo
	v_add_co_u32 v9, vcc_lo, v5, 1
	v_add_co_ci_u32_e32 v12, vcc_lo, 0, v6, vcc_lo
	v_cmp_ne_u32_e32 vcc_lo, 0, v7
	s_delay_alu instid0(VALU_DEP_2) | instskip(SKIP_2) | instid1(VALU_DEP_3)
	v_dual_cndmask_b32 v4, v12, v11 :: v_dual_cndmask_b32 v7, v9, v8
	v_cmp_ne_u32_e32 vcc_lo, 0, v3
	v_xor_b32_e32 v3, s16, v10
	v_dual_cndmask_b32 v5, v5, v7 :: v_dual_cndmask_b32 v4, v6, v4
	v_xor_b32_e32 v6, s17, v10
	s_delay_alu instid0(VALU_DEP_2) | instskip(NEXT) | instid1(VALU_DEP_2)
	v_xor_b32_e32 v5, v5, v3
	v_xor_b32_e32 v7, v4, v6
	s_delay_alu instid0(VALU_DEP_2) | instskip(NEXT) | instid1(VALU_DEP_2)
	v_sub_co_u32 v4, vcc_lo, v5, v3
	v_sub_co_ci_u32_e32 v5, vcc_lo, v7, v6, vcc_lo
.LBB92_5:                               ;   in Loop: Header=BB92_3 Depth=1
	s_and_not1_saveexec_b32 s0, s14
; %bb.6:                                ;   in Loop: Header=BB92_3 Depth=1
	v_mul_hi_u32 v3, v0, v24
	s_delay_alu instid0(VALU_DEP_1) | instskip(NEXT) | instid1(VALU_DEP_1)
	v_mul_lo_u32 v4, v3, s24
	v_sub_nc_u32_e32 v4, v0, v4
	s_delay_alu instid0(VALU_DEP_1) | instskip(SKIP_1) | instid1(VALU_DEP_2)
	v_subrev_nc_u32_e32 v6, s24, v4
	v_cmp_le_u32_e32 vcc_lo, s24, v4
	v_dual_cndmask_b32 v4, v4, v6 :: v_dual_add_nc_u32 v5, 1, v3
	s_delay_alu instid0(VALU_DEP_1) | instskip(NEXT) | instid1(VALU_DEP_2)
	v_cndmask_b32_e32 v3, v3, v5, vcc_lo
	v_cmp_le_u32_e32 vcc_lo, s24, v4
	s_delay_alu instid0(VALU_DEP_2) | instskip(NEXT) | instid1(VALU_DEP_1)
	v_add_nc_u32_e32 v5, 1, v3
	v_dual_cndmask_b32 v4, v3, v5 :: v_dual_mov_b32 v5, v2
; %bb.7:                                ;   in Loop: Header=BB92_3 Depth=1
	s_or_b32 exec_lo, exec_lo, s0
	s_delay_alu instid0(VALU_DEP_1) | instskip(SKIP_1) | instid1(VALU_DEP_1)
	v_or_b32_e32 v3, s29, v5
                                        ; implicit-def: $vgpr6_vgpr7
	s_mov_b32 s0, exec_lo
	v_cmpx_ne_u64_e32 0, v[2:3]
	s_xor_b32 s14, exec_lo, s0
	s_cbranch_execz .LBB92_9
; %bb.8:                                ;   in Loop: Header=BB92_3 Depth=1
	s_add_u32 s18, s28, s29
	s_mov_b32 s16, s29
	s_mov_b32 s17, s29
	s_addc_u32 s19, s29, s29
	s_delay_alu instid0(SALU_CYCLE_1) | instskip(NEXT) | instid1(SALU_CYCLE_1)
	s_xor_b64 s[18:19], s[18:19], s[16:17]
	v_cvt_f32_u32_e32 v3, s18
	v_cvt_f32_u32_e32 v6, s19
	s_sub_u32 s0, 0, s18
	s_subb_u32 s20, 0, s19
	s_delay_alu instid0(VALU_DEP_1) | instskip(NEXT) | instid1(VALU_DEP_1)
	v_fmac_f32_e32 v3, 0x4f800000, v6
	v_rcp_f32_e32 v3, v3
	s_waitcnt_depctr 0xfff
	v_mul_f32_e32 v3, 0x5f7ffffc, v3
	s_delay_alu instid0(VALU_DEP_1) | instskip(NEXT) | instid1(VALU_DEP_1)
	v_mul_f32_e32 v6, 0x2f800000, v3
	v_trunc_f32_e32 v6, v6
	s_delay_alu instid0(VALU_DEP_1) | instskip(SKIP_1) | instid1(VALU_DEP_2)
	v_fmac_f32_e32 v3, 0xcf800000, v6
	v_cvt_u32_f32_e32 v6, v6
	v_cvt_u32_f32_e32 v3, v3
	s_delay_alu instid0(VALU_DEP_2) | instskip(NEXT) | instid1(VALU_DEP_2)
	v_mul_lo_u32 v7, s0, v6
	v_mul_hi_u32 v8, s0, v3
	v_mul_lo_u32 v9, s20, v3
	s_delay_alu instid0(VALU_DEP_2) | instskip(SKIP_1) | instid1(VALU_DEP_2)
	v_add_nc_u32_e32 v7, v8, v7
	v_mul_lo_u32 v8, s0, v3
	v_add_nc_u32_e32 v7, v7, v9
	s_delay_alu instid0(VALU_DEP_2) | instskip(NEXT) | instid1(VALU_DEP_2)
	v_mul_hi_u32 v9, v3, v8
	v_mul_lo_u32 v10, v3, v7
	v_mul_hi_u32 v11, v3, v7
	v_mul_hi_u32 v12, v6, v8
	v_mul_lo_u32 v8, v6, v8
	v_mul_hi_u32 v13, v6, v7
	v_mul_lo_u32 v7, v6, v7
	v_add_co_u32 v9, vcc_lo, v9, v10
	v_add_co_ci_u32_e32 v10, vcc_lo, 0, v11, vcc_lo
	s_delay_alu instid0(VALU_DEP_2) | instskip(NEXT) | instid1(VALU_DEP_2)
	v_add_co_u32 v8, vcc_lo, v9, v8
	v_add_co_ci_u32_e32 v8, vcc_lo, v10, v12, vcc_lo
	v_add_co_ci_u32_e32 v9, vcc_lo, 0, v13, vcc_lo
	v_ashrrev_i32_e32 v12, 31, v5
	s_delay_alu instid0(VALU_DEP_3) | instskip(NEXT) | instid1(VALU_DEP_3)
	v_add_co_u32 v7, vcc_lo, v8, v7
	v_add_co_ci_u32_e32 v8, vcc_lo, 0, v9, vcc_lo
	s_delay_alu instid0(VALU_DEP_2) | instskip(NEXT) | instid1(VALU_DEP_2)
	v_add_co_u32 v3, vcc_lo, v3, v7
	v_add_co_ci_u32_e32 v6, vcc_lo, v6, v8, vcc_lo
	s_delay_alu instid0(VALU_DEP_2) | instskip(SKIP_1) | instid1(VALU_DEP_3)
	v_mul_hi_u32 v7, s0, v3
	v_mul_lo_u32 v9, s20, v3
	v_mul_lo_u32 v8, s0, v6
	s_delay_alu instid0(VALU_DEP_1) | instskip(SKIP_1) | instid1(VALU_DEP_2)
	v_add_nc_u32_e32 v7, v7, v8
	v_mul_lo_u32 v8, s0, v3
	v_add_nc_u32_e32 v7, v7, v9
	s_delay_alu instid0(VALU_DEP_2) | instskip(NEXT) | instid1(VALU_DEP_2)
	v_mul_hi_u32 v9, v3, v8
	v_mul_lo_u32 v10, v3, v7
	v_mul_hi_u32 v11, v3, v7
	v_mul_hi_u32 v13, v6, v8
	v_mul_lo_u32 v8, v6, v8
	v_mul_hi_u32 v14, v6, v7
	v_mul_lo_u32 v7, v6, v7
	v_add_co_u32 v9, vcc_lo, v9, v10
	v_add_co_ci_u32_e32 v10, vcc_lo, 0, v11, vcc_lo
	s_delay_alu instid0(VALU_DEP_2) | instskip(NEXT) | instid1(VALU_DEP_2)
	v_add_co_u32 v8, vcc_lo, v9, v8
	v_add_co_ci_u32_e32 v8, vcc_lo, v10, v13, vcc_lo
	v_add_co_ci_u32_e32 v9, vcc_lo, 0, v14, vcc_lo
	v_add_co_u32 v10, vcc_lo, v4, v12
	v_add_co_ci_u32_e32 v5, vcc_lo, v5, v12, vcc_lo
	s_delay_alu instid0(VALU_DEP_4) | instskip(NEXT) | instid1(VALU_DEP_4)
	v_add_co_u32 v7, vcc_lo, v8, v7
	v_add_co_ci_u32_e32 v8, vcc_lo, 0, v9, vcc_lo
	s_delay_alu instid0(VALU_DEP_4) | instskip(NEXT) | instid1(VALU_DEP_3)
	v_xor_b32_e32 v11, v10, v12
	v_add_co_u32 v3, vcc_lo, v3, v7
	s_delay_alu instid0(VALU_DEP_3) | instskip(SKIP_1) | instid1(VALU_DEP_3)
	v_add_co_ci_u32_e32 v13, vcc_lo, v6, v8, vcc_lo
	v_xor_b32_e32 v14, v5, v12
	v_mul_hi_u32 v15, v11, v3
	s_delay_alu instid0(VALU_DEP_3) | instskip(NEXT) | instid1(VALU_DEP_3)
	v_mad_u64_u32 v[5:6], null, v11, v13, 0
	v_mad_u64_u32 v[7:8], null, v14, v3, 0
	;; [unrolled: 1-line block ×3, first 2 shown]
	s_delay_alu instid0(VALU_DEP_3) | instskip(NEXT) | instid1(VALU_DEP_4)
	v_add_co_u32 v3, vcc_lo, v15, v5
	v_add_co_ci_u32_e32 v5, vcc_lo, 0, v6, vcc_lo
	s_delay_alu instid0(VALU_DEP_2) | instskip(NEXT) | instid1(VALU_DEP_2)
	v_add_co_u32 v3, vcc_lo, v3, v7
	v_add_co_ci_u32_e32 v3, vcc_lo, v5, v8, vcc_lo
	v_add_co_ci_u32_e32 v5, vcc_lo, 0, v10, vcc_lo
	s_delay_alu instid0(VALU_DEP_2) | instskip(NEXT) | instid1(VALU_DEP_2)
	v_add_co_u32 v3, vcc_lo, v3, v9
	v_add_co_ci_u32_e32 v7, vcc_lo, 0, v5, vcc_lo
	s_delay_alu instid0(VALU_DEP_2) | instskip(SKIP_1) | instid1(VALU_DEP_3)
	v_mul_lo_u32 v8, s19, v3
	v_mad_u64_u32 v[5:6], null, s18, v3, 0
	v_mul_lo_u32 v9, s18, v7
	s_delay_alu instid0(VALU_DEP_2) | instskip(NEXT) | instid1(VALU_DEP_2)
	v_sub_co_u32 v5, vcc_lo, v11, v5
	v_add3_u32 v6, v6, v9, v8
	s_delay_alu instid0(VALU_DEP_1) | instskip(NEXT) | instid1(VALU_DEP_1)
	v_sub_nc_u32_e32 v8, v14, v6
	v_subrev_co_ci_u32_e64 v8, s0, s19, v8, vcc_lo
	v_add_co_u32 v9, s0, v3, 2
	s_delay_alu instid0(VALU_DEP_1) | instskip(SKIP_3) | instid1(VALU_DEP_3)
	v_add_co_ci_u32_e64 v10, s0, 0, v7, s0
	v_sub_co_u32 v11, s0, v5, s18
	v_sub_co_ci_u32_e32 v6, vcc_lo, v14, v6, vcc_lo
	v_subrev_co_ci_u32_e64 v8, s0, 0, v8, s0
	v_cmp_le_u32_e32 vcc_lo, s18, v11
	s_delay_alu instid0(VALU_DEP_3) | instskip(SKIP_1) | instid1(VALU_DEP_4)
	v_cmp_eq_u32_e64 s0, s19, v6
	v_cndmask_b32_e64 v11, 0, -1, vcc_lo
	v_cmp_le_u32_e32 vcc_lo, s19, v8
	v_cndmask_b32_e64 v13, 0, -1, vcc_lo
	v_cmp_le_u32_e32 vcc_lo, s18, v5
	;; [unrolled: 2-line block ×3, first 2 shown]
	v_cndmask_b32_e64 v14, 0, -1, vcc_lo
	v_cmp_eq_u32_e32 vcc_lo, s19, v8
	s_delay_alu instid0(VALU_DEP_2) | instskip(SKIP_3) | instid1(VALU_DEP_3)
	v_cndmask_b32_e64 v5, v14, v5, s0
	v_cndmask_b32_e32 v8, v13, v11, vcc_lo
	v_add_co_u32 v11, vcc_lo, v3, 1
	v_add_co_ci_u32_e32 v13, vcc_lo, 0, v7, vcc_lo
	v_cmp_ne_u32_e32 vcc_lo, 0, v8
	s_delay_alu instid0(VALU_DEP_3) | instskip(NEXT) | instid1(VALU_DEP_3)
	v_cndmask_b32_e32 v8, v11, v9, vcc_lo
	v_cndmask_b32_e32 v6, v13, v10, vcc_lo
	v_cmp_ne_u32_e32 vcc_lo, 0, v5
	v_xor_b32_e32 v5, s16, v12
	s_delay_alu instid0(VALU_DEP_4) | instskip(NEXT) | instid1(VALU_DEP_4)
	v_cndmask_b32_e32 v3, v3, v8, vcc_lo
	v_cndmask_b32_e32 v6, v7, v6, vcc_lo
	v_xor_b32_e32 v7, s17, v12
	s_delay_alu instid0(VALU_DEP_3) | instskip(NEXT) | instid1(VALU_DEP_2)
	v_xor_b32_e32 v3, v3, v5
	v_xor_b32_e32 v8, v6, v7
	s_delay_alu instid0(VALU_DEP_2) | instskip(NEXT) | instid1(VALU_DEP_2)
	v_sub_co_u32 v6, vcc_lo, v3, v5
	v_sub_co_ci_u32_e32 v7, vcc_lo, v8, v7, vcc_lo
.LBB92_9:                               ;   in Loop: Header=BB92_3 Depth=1
	s_and_not1_saveexec_b32 s0, s14
	s_cbranch_execz .LBB92_11
; %bb.10:                               ;   in Loop: Header=BB92_3 Depth=1
	v_cvt_f32_u32_e32 v3, s28
	s_sub_i32 s14, 0, s28
	s_delay_alu instid0(VALU_DEP_1) | instskip(SKIP_2) | instid1(VALU_DEP_1)
	v_rcp_iflag_f32_e32 v3, v3
	s_waitcnt_depctr 0xfff
	v_mul_f32_e32 v3, 0x4f7ffffe, v3
	v_cvt_u32_f32_e32 v3, v3
	s_delay_alu instid0(VALU_DEP_1) | instskip(NEXT) | instid1(VALU_DEP_1)
	v_mul_lo_u32 v5, s14, v3
	v_mul_hi_u32 v5, v3, v5
	s_delay_alu instid0(VALU_DEP_1) | instskip(NEXT) | instid1(VALU_DEP_1)
	v_add_nc_u32_e32 v3, v3, v5
	v_mul_hi_u32 v3, v4, v3
	s_delay_alu instid0(VALU_DEP_1) | instskip(SKIP_1) | instid1(VALU_DEP_2)
	v_mul_lo_u32 v5, v3, s28
	v_add_nc_u32_e32 v6, 1, v3
	v_sub_nc_u32_e32 v5, v4, v5
	s_delay_alu instid0(VALU_DEP_1) | instskip(SKIP_1) | instid1(VALU_DEP_2)
	v_subrev_nc_u32_e32 v7, s28, v5
	v_cmp_le_u32_e32 vcc_lo, s28, v5
	v_cndmask_b32_e32 v5, v5, v7, vcc_lo
	v_mov_b32_e32 v7, v2
	v_cndmask_b32_e32 v3, v3, v6, vcc_lo
	s_delay_alu instid0(VALU_DEP_3) | instskip(NEXT) | instid1(VALU_DEP_2)
	v_cmp_le_u32_e32 vcc_lo, s28, v5
	v_add_nc_u32_e32 v6, 1, v3
	s_delay_alu instid0(VALU_DEP_1)
	v_cndmask_b32_e32 v6, v3, v6, vcc_lo
.LBB92_11:                              ;   in Loop: Header=BB92_3 Depth=1
	s_or_b32 exec_lo, exec_lo, s0
	v_mad_u64_u32 v[8:9], null, v4, s24, 0
	s_delay_alu instid0(VALU_DEP_2) | instskip(SKIP_1) | instid1(VALU_DEP_2)
	v_mad_u64_u32 v[9:10], null, v6, s28, 0
	s_mov_b32 s39, exec_lo
	v_sub_co_u32 v26, null, v0, v8
	s_delay_alu instid0(VALU_DEP_2) | instskip(NEXT) | instid1(VALU_DEP_1)
	v_sub_co_u32 v25, null, v4, v9
	v_sub_nc_u32_e32 v3, v26, v25
	s_delay_alu instid0(VALU_DEP_1) | instskip(NEXT) | instid1(VALU_DEP_1)
	v_ashrrev_i32_e32 v4, 31, v3
	v_cmpx_gt_i64_e64 s[4:5], v[3:4]
	s_cbranch_execz .LBB92_2
; %bb.12:                               ;   in Loop: Header=BB92_3 Depth=1
	s_clause 0x1
	s_load_b32 s40, s[8:9], 0x0
	s_load_b32 s0, s[10:11], 0x0
	s_and_not1_b32 vcc_lo, exec_lo, s37
	s_waitcnt lgkmcnt(0)
	v_mul_lo_u32 v3, s40, v26
	s_delay_alu instid0(VALU_DEP_1)
	v_mad_u64_u32 v[4:5], null, s0, v25, v[3:4]
	s_cbranch_vccnz .LBB92_58
; %bb.13:                               ;   in Loop: Header=BB92_3 Depth=1
	s_and_not1_b32 vcc_lo, exec_lo, s35
	s_cbranch_vccnz .LBB92_21
; %bb.14:                               ;   in Loop: Header=BB92_3 Depth=1
	v_dual_mov_b32 v9, v7 :: v_dual_mov_b32 v8, v6
	s_mov_b32 s22, s33
	s_mov_b32 s14, s31
.LBB92_15:                              ;   Parent Loop BB92_3 Depth=1
                                        ; =>  This Inner Loop Header: Depth=2
	s_delay_alu instid0(SALU_CYCLE_1) | instskip(NEXT) | instid1(SALU_CYCLE_1)
	s_lshl_b64 s[16:17], s[14:15], 2
                                        ; implicit-def: $vgpr6_vgpr7
	s_add_u32 s18, s26, s16
	s_addc_u32 s19, s27, s17
	s_load_b32 s23, s[18:19], 0x0
	s_mov_b32 s18, exec_lo
	s_waitcnt lgkmcnt(0)
	s_ashr_i32 s0, s23, 31
	s_delay_alu instid0(SALU_CYCLE_1) | instskip(NEXT) | instid1(VALU_DEP_1)
	v_or_b32_e32 v3, s0, v9
	v_cmpx_ne_u64_e32 0, v[2:3]
	s_xor_b32 s41, exec_lo, s18
	s_cbranch_execz .LBB92_17
; %bb.16:                               ;   in Loop: Header=BB92_15 Depth=2
	s_add_u32 s20, s23, s0
	s_mov_b32 s18, s0
	s_mov_b32 s19, s0
	s_addc_u32 s21, s0, s0
	s_delay_alu instid0(SALU_CYCLE_1) | instskip(NEXT) | instid1(SALU_CYCLE_1)
	s_xor_b64 s[20:21], s[20:21], s[18:19]
	v_cvt_f32_u32_e32 v3, s20
	v_cvt_f32_u32_e32 v5, s21
	s_sub_u32 s0, 0, s20
	s_subb_u32 s42, 0, s21
	s_delay_alu instid0(VALU_DEP_1) | instskip(NEXT) | instid1(VALU_DEP_1)
	v_fmac_f32_e32 v3, 0x4f800000, v5
	v_rcp_f32_e32 v3, v3
	s_waitcnt_depctr 0xfff
	v_mul_f32_e32 v3, 0x5f7ffffc, v3
	s_delay_alu instid0(VALU_DEP_1) | instskip(NEXT) | instid1(VALU_DEP_1)
	v_mul_f32_e32 v5, 0x2f800000, v3
	v_trunc_f32_e32 v5, v5
	s_delay_alu instid0(VALU_DEP_1) | instskip(SKIP_1) | instid1(VALU_DEP_2)
	v_fmac_f32_e32 v3, 0xcf800000, v5
	v_cvt_u32_f32_e32 v5, v5
	v_cvt_u32_f32_e32 v3, v3
	s_delay_alu instid0(VALU_DEP_2) | instskip(NEXT) | instid1(VALU_DEP_2)
	v_mul_lo_u32 v6, s0, v5
	v_mul_hi_u32 v7, s0, v3
	v_mul_lo_u32 v10, s42, v3
	s_delay_alu instid0(VALU_DEP_2) | instskip(SKIP_1) | instid1(VALU_DEP_2)
	v_add_nc_u32_e32 v6, v7, v6
	v_mul_lo_u32 v7, s0, v3
	v_add_nc_u32_e32 v6, v6, v10
	s_delay_alu instid0(VALU_DEP_2) | instskip(NEXT) | instid1(VALU_DEP_2)
	v_mul_hi_u32 v10, v3, v7
	v_mul_lo_u32 v11, v3, v6
	v_mul_hi_u32 v12, v3, v6
	v_mul_hi_u32 v13, v5, v7
	v_mul_lo_u32 v7, v5, v7
	v_mul_hi_u32 v14, v5, v6
	v_mul_lo_u32 v6, v5, v6
	v_add_co_u32 v10, vcc_lo, v10, v11
	v_add_co_ci_u32_e32 v11, vcc_lo, 0, v12, vcc_lo
	s_delay_alu instid0(VALU_DEP_2) | instskip(NEXT) | instid1(VALU_DEP_2)
	v_add_co_u32 v7, vcc_lo, v10, v7
	v_add_co_ci_u32_e32 v7, vcc_lo, v11, v13, vcc_lo
	v_add_co_ci_u32_e32 v10, vcc_lo, 0, v14, vcc_lo
	v_ashrrev_i32_e32 v13, 31, v9
	s_delay_alu instid0(VALU_DEP_3) | instskip(NEXT) | instid1(VALU_DEP_3)
	v_add_co_u32 v6, vcc_lo, v7, v6
	v_add_co_ci_u32_e32 v7, vcc_lo, 0, v10, vcc_lo
	s_delay_alu instid0(VALU_DEP_2) | instskip(NEXT) | instid1(VALU_DEP_2)
	v_add_co_u32 v3, vcc_lo, v3, v6
	v_add_co_ci_u32_e32 v5, vcc_lo, v5, v7, vcc_lo
	s_delay_alu instid0(VALU_DEP_2) | instskip(SKIP_1) | instid1(VALU_DEP_3)
	v_mul_hi_u32 v6, s0, v3
	v_mul_lo_u32 v10, s42, v3
	v_mul_lo_u32 v7, s0, v5
	s_delay_alu instid0(VALU_DEP_1) | instskip(SKIP_1) | instid1(VALU_DEP_2)
	v_add_nc_u32_e32 v6, v6, v7
	v_mul_lo_u32 v7, s0, v3
	v_add_nc_u32_e32 v6, v6, v10
	s_delay_alu instid0(VALU_DEP_2) | instskip(NEXT) | instid1(VALU_DEP_2)
	v_mul_hi_u32 v10, v3, v7
	v_mul_lo_u32 v11, v3, v6
	v_mul_hi_u32 v12, v3, v6
	v_mul_hi_u32 v14, v5, v7
	v_mul_lo_u32 v7, v5, v7
	v_mul_hi_u32 v15, v5, v6
	v_mul_lo_u32 v6, v5, v6
	v_add_co_u32 v10, vcc_lo, v10, v11
	v_add_co_ci_u32_e32 v11, vcc_lo, 0, v12, vcc_lo
	s_delay_alu instid0(VALU_DEP_2) | instskip(NEXT) | instid1(VALU_DEP_2)
	v_add_co_u32 v7, vcc_lo, v10, v7
	v_add_co_ci_u32_e32 v7, vcc_lo, v11, v14, vcc_lo
	v_add_co_ci_u32_e32 v10, vcc_lo, 0, v15, vcc_lo
	v_add_co_u32 v11, vcc_lo, v8, v13
	v_add_co_ci_u32_e32 v9, vcc_lo, v9, v13, vcc_lo
	s_delay_alu instid0(VALU_DEP_4) | instskip(NEXT) | instid1(VALU_DEP_4)
	v_add_co_u32 v6, vcc_lo, v7, v6
	v_add_co_ci_u32_e32 v7, vcc_lo, 0, v10, vcc_lo
	s_delay_alu instid0(VALU_DEP_4) | instskip(NEXT) | instid1(VALU_DEP_3)
	v_xor_b32_e32 v14, v11, v13
	v_add_co_u32 v3, vcc_lo, v3, v6
	s_delay_alu instid0(VALU_DEP_3) | instskip(SKIP_1) | instid1(VALU_DEP_3)
	v_add_co_ci_u32_e32 v7, vcc_lo, v5, v7, vcc_lo
	v_xor_b32_e32 v15, v9, v13
	v_mul_hi_u32 v16, v14, v3
	s_delay_alu instid0(VALU_DEP_3) | instskip(NEXT) | instid1(VALU_DEP_3)
	v_mad_u64_u32 v[5:6], null, v14, v7, 0
	v_mad_u64_u32 v[9:10], null, v15, v3, 0
	;; [unrolled: 1-line block ×3, first 2 shown]
	s_delay_alu instid0(VALU_DEP_3) | instskip(NEXT) | instid1(VALU_DEP_4)
	v_add_co_u32 v3, vcc_lo, v16, v5
	v_add_co_ci_u32_e32 v5, vcc_lo, 0, v6, vcc_lo
	s_delay_alu instid0(VALU_DEP_2) | instskip(NEXT) | instid1(VALU_DEP_2)
	v_add_co_u32 v3, vcc_lo, v3, v9
	v_add_co_ci_u32_e32 v3, vcc_lo, v5, v10, vcc_lo
	v_add_co_ci_u32_e32 v5, vcc_lo, 0, v12, vcc_lo
	s_delay_alu instid0(VALU_DEP_2) | instskip(NEXT) | instid1(VALU_DEP_2)
	v_add_co_u32 v3, vcc_lo, v3, v11
	v_add_co_ci_u32_e32 v7, vcc_lo, 0, v5, vcc_lo
	s_delay_alu instid0(VALU_DEP_2) | instskip(SKIP_1) | instid1(VALU_DEP_3)
	v_mul_lo_u32 v9, s21, v3
	v_mad_u64_u32 v[5:6], null, s20, v3, 0
	v_mul_lo_u32 v10, s20, v7
	s_delay_alu instid0(VALU_DEP_2) | instskip(NEXT) | instid1(VALU_DEP_2)
	v_sub_co_u32 v5, vcc_lo, v14, v5
	v_add3_u32 v6, v6, v10, v9
	s_delay_alu instid0(VALU_DEP_1) | instskip(NEXT) | instid1(VALU_DEP_1)
	v_sub_nc_u32_e32 v9, v15, v6
	v_subrev_co_ci_u32_e64 v9, s0, s21, v9, vcc_lo
	v_add_co_u32 v10, s0, v3, 2
	s_delay_alu instid0(VALU_DEP_1) | instskip(SKIP_3) | instid1(VALU_DEP_3)
	v_add_co_ci_u32_e64 v11, s0, 0, v7, s0
	v_sub_co_u32 v12, s0, v5, s20
	v_sub_co_ci_u32_e32 v6, vcc_lo, v15, v6, vcc_lo
	v_subrev_co_ci_u32_e64 v9, s0, 0, v9, s0
	v_cmp_le_u32_e32 vcc_lo, s20, v12
	s_delay_alu instid0(VALU_DEP_3) | instskip(SKIP_1) | instid1(VALU_DEP_4)
	v_cmp_eq_u32_e64 s0, s21, v6
	v_cndmask_b32_e64 v12, 0, -1, vcc_lo
	v_cmp_le_u32_e32 vcc_lo, s21, v9
	v_cndmask_b32_e64 v14, 0, -1, vcc_lo
	v_cmp_le_u32_e32 vcc_lo, s20, v5
	;; [unrolled: 2-line block ×3, first 2 shown]
	v_cndmask_b32_e64 v15, 0, -1, vcc_lo
	v_cmp_eq_u32_e32 vcc_lo, s21, v9
	s_delay_alu instid0(VALU_DEP_2) | instskip(SKIP_3) | instid1(VALU_DEP_3)
	v_cndmask_b32_e64 v5, v15, v5, s0
	v_cndmask_b32_e32 v9, v14, v12, vcc_lo
	v_add_co_u32 v12, vcc_lo, v3, 1
	v_add_co_ci_u32_e32 v14, vcc_lo, 0, v7, vcc_lo
	v_cmp_ne_u32_e32 vcc_lo, 0, v9
	s_delay_alu instid0(VALU_DEP_2) | instskip(SKIP_2) | instid1(VALU_DEP_3)
	v_dual_cndmask_b32 v6, v14, v11 :: v_dual_cndmask_b32 v9, v12, v10
	v_cmp_ne_u32_e32 vcc_lo, 0, v5
	v_xor_b32_e32 v5, s18, v13
	v_cndmask_b32_e32 v3, v3, v9, vcc_lo
	s_delay_alu instid0(VALU_DEP_4) | instskip(SKIP_1) | instid1(VALU_DEP_3)
	v_cndmask_b32_e32 v6, v7, v6, vcc_lo
	v_xor_b32_e32 v7, s19, v13
	v_xor_b32_e32 v3, v3, v5
	s_delay_alu instid0(VALU_DEP_2) | instskip(NEXT) | instid1(VALU_DEP_2)
	v_xor_b32_e32 v9, v6, v7
	v_sub_co_u32 v6, vcc_lo, v3, v5
	s_delay_alu instid0(VALU_DEP_2)
	v_sub_co_ci_u32_e32 v7, vcc_lo, v9, v7, vcc_lo
.LBB92_17:                              ;   in Loop: Header=BB92_15 Depth=2
	s_and_not1_saveexec_b32 s0, s41
	s_cbranch_execz .LBB92_19
; %bb.18:                               ;   in Loop: Header=BB92_15 Depth=2
	v_cvt_f32_u32_e32 v3, s23
	s_sub_i32 s18, 0, s23
	s_delay_alu instid0(VALU_DEP_1) | instskip(SKIP_2) | instid1(VALU_DEP_1)
	v_rcp_iflag_f32_e32 v3, v3
	s_waitcnt_depctr 0xfff
	v_mul_f32_e32 v3, 0x4f7ffffe, v3
	v_cvt_u32_f32_e32 v3, v3
	s_delay_alu instid0(VALU_DEP_1) | instskip(NEXT) | instid1(VALU_DEP_1)
	v_mul_lo_u32 v5, s18, v3
	v_mul_hi_u32 v5, v3, v5
	s_delay_alu instid0(VALU_DEP_1) | instskip(NEXT) | instid1(VALU_DEP_1)
	v_add_nc_u32_e32 v3, v3, v5
	v_mul_hi_u32 v3, v8, v3
	s_delay_alu instid0(VALU_DEP_1) | instskip(SKIP_1) | instid1(VALU_DEP_2)
	v_mul_lo_u32 v5, v3, s23
	v_add_nc_u32_e32 v6, 1, v3
	v_sub_nc_u32_e32 v5, v8, v5
	s_delay_alu instid0(VALU_DEP_1) | instskip(SKIP_1) | instid1(VALU_DEP_2)
	v_subrev_nc_u32_e32 v7, s23, v5
	v_cmp_le_u32_e32 vcc_lo, s23, v5
	v_cndmask_b32_e32 v5, v5, v7, vcc_lo
	v_mov_b32_e32 v7, v2
	v_cndmask_b32_e32 v3, v3, v6, vcc_lo
	s_delay_alu instid0(VALU_DEP_3) | instskip(NEXT) | instid1(VALU_DEP_2)
	v_cmp_le_u32_e32 vcc_lo, s23, v5
	v_add_nc_u32_e32 v6, 1, v3
	s_delay_alu instid0(VALU_DEP_1)
	v_cndmask_b32_e32 v6, v3, v6, vcc_lo
.LBB92_19:                              ;   in Loop: Header=BB92_15 Depth=2
	s_or_b32 exec_lo, exec_lo, s0
	s_add_u32 s16, s30, s16
	s_addc_u32 s17, s1, s17
	s_delay_alu instid0(VALU_DEP_1) | instskip(SKIP_4) | instid1(VALU_DEP_1)
	v_mul_lo_u32 v3, v6, s23
	s_load_b32 s0, s[16:17], 0x0
	s_add_i32 s22, s22, -1
	s_add_i32 s14, s14, -1
	s_cmp_lg_u32 s22, 0
	v_sub_nc_u32_e32 v3, v8, v3
	s_waitcnt lgkmcnt(0)
	s_delay_alu instid0(VALU_DEP_1) | instskip(NEXT) | instid1(VALU_DEP_1)
	v_mad_u64_u32 v[8:9], null, s0, v3, v[4:5]
	v_mov_b32_e32 v4, v8
	s_cbranch_scc0 .LBB92_22
; %bb.20:                               ;   in Loop: Header=BB92_15 Depth=2
	v_dual_mov_b32 v9, v7 :: v_dual_mov_b32 v8, v6
	s_branch .LBB92_15
.LBB92_21:                              ;   in Loop: Header=BB92_3 Depth=1
	s_mov_b32 s14, s31
.LBB92_22:                              ;   in Loop: Header=BB92_3 Depth=1
	s_and_not1_b32 vcc_lo, exec_lo, s36
	s_cbranch_vccnz .LBB92_58
; %bb.23:                               ;   in Loop: Header=BB92_3 Depth=1
	s_add_i32 s16, s14, -7
.LBB92_24:                              ;   Parent Loop BB92_3 Depth=1
                                        ; =>  This Inner Loop Header: Depth=2
	s_delay_alu instid0(SALU_CYCLE_1) | instskip(NEXT) | instid1(SALU_CYCLE_1)
	s_add_i32 s14, s16, 7
                                        ; implicit-def: $vgpr8_vgpr9
	s_lshl_b64 s[18:19], s[14:15], 2
	s_mov_b32 s14, exec_lo
	s_add_u32 s20, s26, s18
	s_addc_u32 s21, s27, s19
	s_load_b32 s41, s[20:21], 0x0
	s_waitcnt lgkmcnt(0)
	s_ashr_i32 s0, s41, 31
	s_delay_alu instid0(SALU_CYCLE_1) | instskip(NEXT) | instid1(VALU_DEP_1)
	v_or_b32_e32 v3, s0, v7
	v_cmpx_ne_u64_e32 0, v[2:3]
	s_xor_b32 s14, exec_lo, s14
	s_cbranch_execz .LBB92_26
; %bb.25:                               ;   in Loop: Header=BB92_24 Depth=2
	s_add_u32 s22, s41, s0
	s_mov_b32 s20, s0
	s_mov_b32 s21, s0
	s_addc_u32 s23, s0, s0
	s_delay_alu instid0(SALU_CYCLE_1) | instskip(NEXT) | instid1(SALU_CYCLE_1)
	s_xor_b64 s[22:23], s[22:23], s[20:21]
	v_cvt_f32_u32_e32 v3, s22
	v_cvt_f32_u32_e32 v5, s23
	s_sub_u32 s0, 0, s22
	s_subb_u32 s17, 0, s23
	s_delay_alu instid0(VALU_DEP_1) | instskip(NEXT) | instid1(VALU_DEP_1)
	v_fmac_f32_e32 v3, 0x4f800000, v5
	v_rcp_f32_e32 v3, v3
	s_waitcnt_depctr 0xfff
	v_mul_f32_e32 v3, 0x5f7ffffc, v3
	s_delay_alu instid0(VALU_DEP_1) | instskip(NEXT) | instid1(VALU_DEP_1)
	v_mul_f32_e32 v5, 0x2f800000, v3
	v_trunc_f32_e32 v5, v5
	s_delay_alu instid0(VALU_DEP_1) | instskip(SKIP_1) | instid1(VALU_DEP_2)
	v_fmac_f32_e32 v3, 0xcf800000, v5
	v_cvt_u32_f32_e32 v5, v5
	v_cvt_u32_f32_e32 v3, v3
	s_delay_alu instid0(VALU_DEP_2) | instskip(NEXT) | instid1(VALU_DEP_2)
	v_mul_lo_u32 v8, s0, v5
	v_mul_hi_u32 v9, s0, v3
	v_mul_lo_u32 v10, s17, v3
	s_delay_alu instid0(VALU_DEP_2) | instskip(SKIP_1) | instid1(VALU_DEP_2)
	v_add_nc_u32_e32 v8, v9, v8
	v_mul_lo_u32 v9, s0, v3
	v_add_nc_u32_e32 v8, v8, v10
	s_delay_alu instid0(VALU_DEP_2) | instskip(NEXT) | instid1(VALU_DEP_2)
	v_mul_hi_u32 v10, v3, v9
	v_mul_lo_u32 v11, v3, v8
	v_mul_hi_u32 v12, v3, v8
	v_mul_hi_u32 v13, v5, v9
	v_mul_lo_u32 v9, v5, v9
	v_mul_hi_u32 v14, v5, v8
	v_mul_lo_u32 v8, v5, v8
	v_add_co_u32 v10, vcc_lo, v10, v11
	v_add_co_ci_u32_e32 v11, vcc_lo, 0, v12, vcc_lo
	s_delay_alu instid0(VALU_DEP_2) | instskip(NEXT) | instid1(VALU_DEP_2)
	v_add_co_u32 v9, vcc_lo, v10, v9
	v_add_co_ci_u32_e32 v9, vcc_lo, v11, v13, vcc_lo
	v_add_co_ci_u32_e32 v10, vcc_lo, 0, v14, vcc_lo
	v_ashrrev_i32_e32 v13, 31, v7
	s_delay_alu instid0(VALU_DEP_3) | instskip(NEXT) | instid1(VALU_DEP_3)
	v_add_co_u32 v8, vcc_lo, v9, v8
	v_add_co_ci_u32_e32 v9, vcc_lo, 0, v10, vcc_lo
	s_delay_alu instid0(VALU_DEP_2) | instskip(NEXT) | instid1(VALU_DEP_2)
	v_add_co_u32 v3, vcc_lo, v3, v8
	v_add_co_ci_u32_e32 v5, vcc_lo, v5, v9, vcc_lo
	s_delay_alu instid0(VALU_DEP_2) | instskip(SKIP_1) | instid1(VALU_DEP_3)
	v_mul_hi_u32 v8, s0, v3
	v_mul_lo_u32 v10, s17, v3
	v_mul_lo_u32 v9, s0, v5
	s_delay_alu instid0(VALU_DEP_1) | instskip(SKIP_1) | instid1(VALU_DEP_2)
	v_add_nc_u32_e32 v8, v8, v9
	v_mul_lo_u32 v9, s0, v3
	v_add_nc_u32_e32 v8, v8, v10
	s_delay_alu instid0(VALU_DEP_2) | instskip(NEXT) | instid1(VALU_DEP_2)
	v_mul_hi_u32 v10, v3, v9
	v_mul_lo_u32 v11, v3, v8
	v_mul_hi_u32 v12, v3, v8
	v_mul_hi_u32 v14, v5, v9
	v_mul_lo_u32 v9, v5, v9
	v_mul_hi_u32 v15, v5, v8
	v_mul_lo_u32 v8, v5, v8
	v_add_co_u32 v10, vcc_lo, v10, v11
	v_add_co_ci_u32_e32 v11, vcc_lo, 0, v12, vcc_lo
	s_delay_alu instid0(VALU_DEP_2) | instskip(NEXT) | instid1(VALU_DEP_2)
	v_add_co_u32 v9, vcc_lo, v10, v9
	v_add_co_ci_u32_e32 v9, vcc_lo, v11, v14, vcc_lo
	v_add_co_ci_u32_e32 v10, vcc_lo, 0, v15, vcc_lo
	v_add_co_u32 v11, vcc_lo, v6, v13
	v_add_co_ci_u32_e32 v7, vcc_lo, v7, v13, vcc_lo
	s_delay_alu instid0(VALU_DEP_4) | instskip(NEXT) | instid1(VALU_DEP_4)
	v_add_co_u32 v8, vcc_lo, v9, v8
	v_add_co_ci_u32_e32 v9, vcc_lo, 0, v10, vcc_lo
	s_delay_alu instid0(VALU_DEP_4) | instskip(NEXT) | instid1(VALU_DEP_3)
	v_xor_b32_e32 v14, v11, v13
	v_add_co_u32 v3, vcc_lo, v3, v8
	s_delay_alu instid0(VALU_DEP_3) | instskip(SKIP_1) | instid1(VALU_DEP_3)
	v_add_co_ci_u32_e32 v5, vcc_lo, v5, v9, vcc_lo
	v_xor_b32_e32 v15, v7, v13
	v_mul_hi_u32 v16, v14, v3
	s_delay_alu instid0(VALU_DEP_3) | instskip(NEXT) | instid1(VALU_DEP_3)
	v_mad_u64_u32 v[7:8], null, v14, v5, 0
	v_mad_u64_u32 v[9:10], null, v15, v3, 0
	;; [unrolled: 1-line block ×3, first 2 shown]
	s_delay_alu instid0(VALU_DEP_3) | instskip(NEXT) | instid1(VALU_DEP_4)
	v_add_co_u32 v3, vcc_lo, v16, v7
	v_add_co_ci_u32_e32 v5, vcc_lo, 0, v8, vcc_lo
	s_delay_alu instid0(VALU_DEP_2) | instskip(NEXT) | instid1(VALU_DEP_2)
	v_add_co_u32 v3, vcc_lo, v3, v9
	v_add_co_ci_u32_e32 v3, vcc_lo, v5, v10, vcc_lo
	v_add_co_ci_u32_e32 v5, vcc_lo, 0, v12, vcc_lo
	s_delay_alu instid0(VALU_DEP_2) | instskip(NEXT) | instid1(VALU_DEP_2)
	v_add_co_u32 v3, vcc_lo, v3, v11
	v_add_co_ci_u32_e32 v5, vcc_lo, 0, v5, vcc_lo
	s_delay_alu instid0(VALU_DEP_2) | instskip(SKIP_1) | instid1(VALU_DEP_3)
	v_mul_lo_u32 v9, s23, v3
	v_mad_u64_u32 v[7:8], null, s22, v3, 0
	v_mul_lo_u32 v10, s22, v5
	s_delay_alu instid0(VALU_DEP_2) | instskip(NEXT) | instid1(VALU_DEP_2)
	v_sub_co_u32 v7, vcc_lo, v14, v7
	v_add3_u32 v8, v8, v10, v9
	s_delay_alu instid0(VALU_DEP_1) | instskip(NEXT) | instid1(VALU_DEP_1)
	v_sub_nc_u32_e32 v9, v15, v8
	v_subrev_co_ci_u32_e64 v9, s0, s23, v9, vcc_lo
	v_add_co_u32 v10, s0, v3, 2
	s_delay_alu instid0(VALU_DEP_1) | instskip(SKIP_3) | instid1(VALU_DEP_3)
	v_add_co_ci_u32_e64 v11, s0, 0, v5, s0
	v_sub_co_u32 v12, s0, v7, s22
	v_sub_co_ci_u32_e32 v8, vcc_lo, v15, v8, vcc_lo
	v_subrev_co_ci_u32_e64 v9, s0, 0, v9, s0
	v_cmp_le_u32_e32 vcc_lo, s22, v12
	s_delay_alu instid0(VALU_DEP_3) | instskip(SKIP_1) | instid1(VALU_DEP_4)
	v_cmp_eq_u32_e64 s0, s23, v8
	v_cndmask_b32_e64 v12, 0, -1, vcc_lo
	v_cmp_le_u32_e32 vcc_lo, s23, v9
	v_cndmask_b32_e64 v14, 0, -1, vcc_lo
	v_cmp_le_u32_e32 vcc_lo, s22, v7
	;; [unrolled: 2-line block ×3, first 2 shown]
	v_cndmask_b32_e64 v15, 0, -1, vcc_lo
	v_cmp_eq_u32_e32 vcc_lo, s23, v9
	s_delay_alu instid0(VALU_DEP_2) | instskip(SKIP_3) | instid1(VALU_DEP_3)
	v_cndmask_b32_e64 v7, v15, v7, s0
	v_cndmask_b32_e32 v9, v14, v12, vcc_lo
	v_add_co_u32 v12, vcc_lo, v3, 1
	v_add_co_ci_u32_e32 v14, vcc_lo, 0, v5, vcc_lo
	v_cmp_ne_u32_e32 vcc_lo, 0, v9
	s_delay_alu instid0(VALU_DEP_2) | instskip(SKIP_2) | instid1(VALU_DEP_3)
	v_dual_cndmask_b32 v8, v14, v11 :: v_dual_cndmask_b32 v9, v12, v10
	v_cmp_ne_u32_e32 vcc_lo, 0, v7
	v_xor_b32_e32 v7, s20, v13
	v_cndmask_b32_e32 v3, v3, v9, vcc_lo
	s_delay_alu instid0(VALU_DEP_4) | instskip(SKIP_1) | instid1(VALU_DEP_3)
	v_cndmask_b32_e32 v5, v5, v8, vcc_lo
	v_xor_b32_e32 v9, s21, v13
	v_xor_b32_e32 v3, v3, v7
	s_delay_alu instid0(VALU_DEP_2) | instskip(NEXT) | instid1(VALU_DEP_2)
	v_xor_b32_e32 v5, v5, v9
	v_sub_co_u32 v8, vcc_lo, v3, v7
	s_delay_alu instid0(VALU_DEP_2)
	v_sub_co_ci_u32_e32 v9, vcc_lo, v5, v9, vcc_lo
.LBB92_26:                              ;   in Loop: Header=BB92_24 Depth=2
	s_and_not1_saveexec_b32 s0, s14
	s_cbranch_execz .LBB92_28
; %bb.27:                               ;   in Loop: Header=BB92_24 Depth=2
	v_cvt_f32_u32_e32 v3, s41
	s_sub_i32 s14, 0, s41
	v_mov_b32_e32 v9, v2
	s_delay_alu instid0(VALU_DEP_2) | instskip(SKIP_2) | instid1(VALU_DEP_1)
	v_rcp_iflag_f32_e32 v3, v3
	s_waitcnt_depctr 0xfff
	v_mul_f32_e32 v3, 0x4f7ffffe, v3
	v_cvt_u32_f32_e32 v3, v3
	s_delay_alu instid0(VALU_DEP_1) | instskip(NEXT) | instid1(VALU_DEP_1)
	v_mul_lo_u32 v5, s14, v3
	v_mul_hi_u32 v5, v3, v5
	s_delay_alu instid0(VALU_DEP_1) | instskip(NEXT) | instid1(VALU_DEP_1)
	v_add_nc_u32_e32 v3, v3, v5
	v_mul_hi_u32 v3, v6, v3
	s_delay_alu instid0(VALU_DEP_1) | instskip(SKIP_1) | instid1(VALU_DEP_2)
	v_mul_lo_u32 v5, v3, s41
	v_add_nc_u32_e32 v7, 1, v3
	v_sub_nc_u32_e32 v5, v6, v5
	s_delay_alu instid0(VALU_DEP_1) | instskip(SKIP_1) | instid1(VALU_DEP_4)
	v_cmp_le_u32_e32 vcc_lo, s41, v5
	v_subrev_nc_u32_e32 v8, s41, v5
	v_cndmask_b32_e32 v3, v3, v7, vcc_lo
	s_delay_alu instid0(VALU_DEP_1) | instskip(NEXT) | instid1(VALU_DEP_3)
	v_add_nc_u32_e32 v7, 1, v3
	v_cndmask_b32_e32 v5, v5, v8, vcc_lo
	s_delay_alu instid0(VALU_DEP_1) | instskip(NEXT) | instid1(VALU_DEP_3)
	v_cmp_le_u32_e32 vcc_lo, s41, v5
	v_cndmask_b32_e32 v8, v3, v7, vcc_lo
.LBB92_28:                              ;   in Loop: Header=BB92_24 Depth=2
	s_or_b32 exec_lo, exec_lo, s0
	s_add_u32 s20, s30, s18
	s_addc_u32 s21, s1, s19
	s_add_i32 s14, s16, 6
                                        ; implicit-def: $vgpr10_vgpr11
	s_delay_alu instid0(SALU_CYCLE_1)
	s_lshl_b64 s[18:19], s[14:15], 2
	s_mov_b32 s14, exec_lo
	s_add_u32 s22, s26, s18
	s_addc_u32 s23, s27, s19
	s_clause 0x1
	s_load_b32 s43, s[22:23], 0x0
	s_load_b32 s42, s[20:21], 0x0
	s_waitcnt lgkmcnt(0)
	s_ashr_i32 s0, s43, 31
	s_delay_alu instid0(SALU_CYCLE_1) | instskip(NEXT) | instid1(VALU_DEP_1)
	v_or_b32_e32 v3, s0, v9
	v_cmpx_ne_u64_e32 0, v[2:3]
	s_xor_b32 s14, exec_lo, s14
	s_cbranch_execz .LBB92_30
; %bb.29:                               ;   in Loop: Header=BB92_24 Depth=2
	s_add_u32 s22, s43, s0
	s_mov_b32 s20, s0
	s_mov_b32 s21, s0
	s_addc_u32 s23, s0, s0
	s_delay_alu instid0(SALU_CYCLE_1) | instskip(NEXT) | instid1(SALU_CYCLE_1)
	s_xor_b64 s[22:23], s[22:23], s[20:21]
	v_cvt_f32_u32_e32 v3, s22
	v_cvt_f32_u32_e32 v5, s23
	s_sub_u32 s0, 0, s22
	s_subb_u32 s17, 0, s23
	s_delay_alu instid0(VALU_DEP_1) | instskip(NEXT) | instid1(VALU_DEP_1)
	v_fmac_f32_e32 v3, 0x4f800000, v5
	v_rcp_f32_e32 v3, v3
	s_waitcnt_depctr 0xfff
	v_mul_f32_e32 v3, 0x5f7ffffc, v3
	s_delay_alu instid0(VALU_DEP_1) | instskip(NEXT) | instid1(VALU_DEP_1)
	v_mul_f32_e32 v5, 0x2f800000, v3
	v_trunc_f32_e32 v5, v5
	s_delay_alu instid0(VALU_DEP_1) | instskip(SKIP_1) | instid1(VALU_DEP_2)
	v_fmac_f32_e32 v3, 0xcf800000, v5
	v_cvt_u32_f32_e32 v5, v5
	v_cvt_u32_f32_e32 v3, v3
	s_delay_alu instid0(VALU_DEP_2) | instskip(NEXT) | instid1(VALU_DEP_2)
	v_mul_lo_u32 v7, s0, v5
	v_mul_hi_u32 v10, s0, v3
	v_mul_lo_u32 v11, s17, v3
	s_delay_alu instid0(VALU_DEP_2) | instskip(SKIP_1) | instid1(VALU_DEP_2)
	v_add_nc_u32_e32 v7, v10, v7
	v_mul_lo_u32 v10, s0, v3
	v_add_nc_u32_e32 v7, v7, v11
	s_delay_alu instid0(VALU_DEP_2) | instskip(NEXT) | instid1(VALU_DEP_2)
	v_mul_hi_u32 v11, v3, v10
	v_mul_lo_u32 v12, v3, v7
	v_mul_hi_u32 v13, v3, v7
	v_mul_hi_u32 v14, v5, v10
	v_mul_lo_u32 v10, v5, v10
	v_mul_hi_u32 v15, v5, v7
	v_mul_lo_u32 v7, v5, v7
	v_add_co_u32 v11, vcc_lo, v11, v12
	v_add_co_ci_u32_e32 v12, vcc_lo, 0, v13, vcc_lo
	s_delay_alu instid0(VALU_DEP_2) | instskip(NEXT) | instid1(VALU_DEP_2)
	v_add_co_u32 v10, vcc_lo, v11, v10
	v_add_co_ci_u32_e32 v10, vcc_lo, v12, v14, vcc_lo
	v_add_co_ci_u32_e32 v11, vcc_lo, 0, v15, vcc_lo
	v_ashrrev_i32_e32 v15, 31, v9
	s_delay_alu instid0(VALU_DEP_3) | instskip(NEXT) | instid1(VALU_DEP_3)
	v_add_co_u32 v7, vcc_lo, v10, v7
	v_add_co_ci_u32_e32 v10, vcc_lo, 0, v11, vcc_lo
	s_delay_alu instid0(VALU_DEP_2) | instskip(NEXT) | instid1(VALU_DEP_2)
	v_add_co_u32 v3, vcc_lo, v3, v7
	v_add_co_ci_u32_e32 v5, vcc_lo, v5, v10, vcc_lo
	s_delay_alu instid0(VALU_DEP_2) | instskip(SKIP_1) | instid1(VALU_DEP_3)
	v_mul_hi_u32 v7, s0, v3
	v_mul_lo_u32 v11, s17, v3
	v_mul_lo_u32 v10, s0, v5
	s_delay_alu instid0(VALU_DEP_1) | instskip(SKIP_1) | instid1(VALU_DEP_2)
	v_add_nc_u32_e32 v7, v7, v10
	v_mul_lo_u32 v10, s0, v3
	v_add_nc_u32_e32 v7, v7, v11
	s_delay_alu instid0(VALU_DEP_2) | instskip(NEXT) | instid1(VALU_DEP_2)
	v_mul_hi_u32 v11, v3, v10
	v_mul_lo_u32 v12, v3, v7
	v_mul_hi_u32 v13, v3, v7
	v_mul_hi_u32 v14, v5, v10
	v_mul_lo_u32 v10, v5, v10
	v_mul_hi_u32 v16, v5, v7
	v_mul_lo_u32 v7, v5, v7
	v_add_co_u32 v11, vcc_lo, v11, v12
	v_add_co_ci_u32_e32 v12, vcc_lo, 0, v13, vcc_lo
	s_delay_alu instid0(VALU_DEP_2) | instskip(NEXT) | instid1(VALU_DEP_2)
	v_add_co_u32 v10, vcc_lo, v11, v10
	v_add_co_ci_u32_e32 v10, vcc_lo, v12, v14, vcc_lo
	v_add_co_ci_u32_e32 v11, vcc_lo, 0, v16, vcc_lo
	v_add_co_u32 v12, vcc_lo, v8, v15
	v_add_co_ci_u32_e32 v9, vcc_lo, v9, v15, vcc_lo
	s_delay_alu instid0(VALU_DEP_4) | instskip(NEXT) | instid1(VALU_DEP_4)
	v_add_co_u32 v7, vcc_lo, v10, v7
	v_add_co_ci_u32_e32 v10, vcc_lo, 0, v11, vcc_lo
	s_delay_alu instid0(VALU_DEP_4) | instskip(NEXT) | instid1(VALU_DEP_3)
	v_xor_b32_e32 v16, v12, v15
	v_add_co_u32 v3, vcc_lo, v3, v7
	s_delay_alu instid0(VALU_DEP_3) | instskip(SKIP_1) | instid1(VALU_DEP_3)
	v_add_co_ci_u32_e32 v5, vcc_lo, v5, v10, vcc_lo
	v_xor_b32_e32 v7, v9, v15
	v_mul_hi_u32 v17, v16, v3
	s_delay_alu instid0(VALU_DEP_3) | instskip(NEXT) | instid1(VALU_DEP_3)
	v_mad_u64_u32 v[9:10], null, v16, v5, 0
	v_mad_u64_u32 v[11:12], null, v7, v3, 0
	;; [unrolled: 1-line block ×3, first 2 shown]
	s_delay_alu instid0(VALU_DEP_3) | instskip(NEXT) | instid1(VALU_DEP_4)
	v_add_co_u32 v3, vcc_lo, v17, v9
	v_add_co_ci_u32_e32 v5, vcc_lo, 0, v10, vcc_lo
	s_delay_alu instid0(VALU_DEP_2) | instskip(NEXT) | instid1(VALU_DEP_2)
	v_add_co_u32 v3, vcc_lo, v3, v11
	v_add_co_ci_u32_e32 v3, vcc_lo, v5, v12, vcc_lo
	v_add_co_ci_u32_e32 v5, vcc_lo, 0, v14, vcc_lo
	s_delay_alu instid0(VALU_DEP_2) | instskip(NEXT) | instid1(VALU_DEP_2)
	v_add_co_u32 v3, vcc_lo, v3, v13
	v_add_co_ci_u32_e32 v5, vcc_lo, 0, v5, vcc_lo
	s_delay_alu instid0(VALU_DEP_2) | instskip(SKIP_1) | instid1(VALU_DEP_3)
	v_mul_lo_u32 v11, s23, v3
	v_mad_u64_u32 v[9:10], null, s22, v3, 0
	v_mul_lo_u32 v12, s22, v5
	s_delay_alu instid0(VALU_DEP_2) | instskip(NEXT) | instid1(VALU_DEP_2)
	v_sub_co_u32 v9, vcc_lo, v16, v9
	v_add3_u32 v10, v10, v12, v11
	s_delay_alu instid0(VALU_DEP_1) | instskip(NEXT) | instid1(VALU_DEP_1)
	v_sub_nc_u32_e32 v11, v7, v10
	v_subrev_co_ci_u32_e64 v11, s0, s23, v11, vcc_lo
	v_add_co_u32 v12, s0, v3, 2
	s_delay_alu instid0(VALU_DEP_1) | instskip(SKIP_3) | instid1(VALU_DEP_3)
	v_add_co_ci_u32_e64 v13, s0, 0, v5, s0
	v_sub_co_u32 v14, s0, v9, s22
	v_sub_co_ci_u32_e32 v7, vcc_lo, v7, v10, vcc_lo
	v_subrev_co_ci_u32_e64 v11, s0, 0, v11, s0
	v_cmp_le_u32_e32 vcc_lo, s22, v14
	s_delay_alu instid0(VALU_DEP_3) | instskip(SKIP_1) | instid1(VALU_DEP_4)
	v_cmp_eq_u32_e64 s0, s23, v7
	v_cndmask_b32_e64 v10, 0, -1, vcc_lo
	v_cmp_le_u32_e32 vcc_lo, s23, v11
	v_cndmask_b32_e64 v14, 0, -1, vcc_lo
	v_cmp_le_u32_e32 vcc_lo, s22, v9
	;; [unrolled: 2-line block ×3, first 2 shown]
	v_cndmask_b32_e64 v16, 0, -1, vcc_lo
	v_cmp_eq_u32_e32 vcc_lo, s23, v11
	s_delay_alu instid0(VALU_DEP_2) | instskip(SKIP_3) | instid1(VALU_DEP_3)
	v_cndmask_b32_e64 v7, v16, v9, s0
	v_cndmask_b32_e32 v10, v14, v10, vcc_lo
	v_add_co_u32 v11, vcc_lo, v3, 1
	v_add_co_ci_u32_e32 v14, vcc_lo, 0, v5, vcc_lo
	v_cmp_ne_u32_e32 vcc_lo, 0, v10
	s_delay_alu instid0(VALU_DEP_2) | instskip(SKIP_2) | instid1(VALU_DEP_3)
	v_dual_cndmask_b32 v10, v11, v12 :: v_dual_cndmask_b32 v9, v14, v13
	v_cmp_ne_u32_e32 vcc_lo, 0, v7
	v_xor_b32_e32 v7, s20, v15
	v_cndmask_b32_e32 v3, v3, v10, vcc_lo
	s_delay_alu instid0(VALU_DEP_4) | instskip(SKIP_1) | instid1(VALU_DEP_3)
	v_cndmask_b32_e32 v5, v5, v9, vcc_lo
	v_xor_b32_e32 v9, s21, v15
	v_xor_b32_e32 v3, v3, v7
	s_delay_alu instid0(VALU_DEP_2) | instskip(NEXT) | instid1(VALU_DEP_2)
	v_xor_b32_e32 v5, v5, v9
	v_sub_co_u32 v10, vcc_lo, v3, v7
	s_delay_alu instid0(VALU_DEP_2)
	v_sub_co_ci_u32_e32 v11, vcc_lo, v5, v9, vcc_lo
.LBB92_30:                              ;   in Loop: Header=BB92_24 Depth=2
	s_and_not1_saveexec_b32 s0, s14
	s_cbranch_execz .LBB92_32
; %bb.31:                               ;   in Loop: Header=BB92_24 Depth=2
	v_cvt_f32_u32_e32 v3, s43
	s_sub_i32 s14, 0, s43
	v_mov_b32_e32 v11, v2
	s_delay_alu instid0(VALU_DEP_2) | instskip(SKIP_2) | instid1(VALU_DEP_1)
	v_rcp_iflag_f32_e32 v3, v3
	s_waitcnt_depctr 0xfff
	v_mul_f32_e32 v3, 0x4f7ffffe, v3
	v_cvt_u32_f32_e32 v3, v3
	s_delay_alu instid0(VALU_DEP_1) | instskip(NEXT) | instid1(VALU_DEP_1)
	v_mul_lo_u32 v5, s14, v3
	v_mul_hi_u32 v5, v3, v5
	s_delay_alu instid0(VALU_DEP_1) | instskip(NEXT) | instid1(VALU_DEP_1)
	v_add_nc_u32_e32 v3, v3, v5
	v_mul_hi_u32 v3, v8, v3
	s_delay_alu instid0(VALU_DEP_1) | instskip(SKIP_1) | instid1(VALU_DEP_2)
	v_mul_lo_u32 v5, v3, s43
	v_add_nc_u32_e32 v7, 1, v3
	v_sub_nc_u32_e32 v5, v8, v5
	s_delay_alu instid0(VALU_DEP_1) | instskip(SKIP_1) | instid1(VALU_DEP_4)
	v_cmp_le_u32_e32 vcc_lo, s43, v5
	v_subrev_nc_u32_e32 v9, s43, v5
	v_cndmask_b32_e32 v3, v3, v7, vcc_lo
	s_delay_alu instid0(VALU_DEP_1) | instskip(NEXT) | instid1(VALU_DEP_3)
	v_add_nc_u32_e32 v7, 1, v3
	v_cndmask_b32_e32 v5, v5, v9, vcc_lo
	s_delay_alu instid0(VALU_DEP_1) | instskip(NEXT) | instid1(VALU_DEP_3)
	v_cmp_le_u32_e32 vcc_lo, s43, v5
	v_cndmask_b32_e32 v10, v3, v7, vcc_lo
.LBB92_32:                              ;   in Loop: Header=BB92_24 Depth=2
	s_or_b32 exec_lo, exec_lo, s0
	s_add_u32 s20, s30, s18
	s_addc_u32 s21, s1, s19
	s_add_i32 s14, s16, 5
                                        ; implicit-def: $vgpr12_vgpr13
	s_delay_alu instid0(SALU_CYCLE_1)
	s_lshl_b64 s[18:19], s[14:15], 2
	s_mov_b32 s14, exec_lo
	s_add_u32 s22, s26, s18
	s_addc_u32 s23, s27, s19
	s_clause 0x1
	s_load_b32 s45, s[22:23], 0x0
	s_load_b32 s44, s[20:21], 0x0
	s_waitcnt lgkmcnt(0)
	s_ashr_i32 s0, s45, 31
	s_delay_alu instid0(SALU_CYCLE_1) | instskip(NEXT) | instid1(VALU_DEP_1)
	v_or_b32_e32 v3, s0, v11
	v_cmpx_ne_u64_e32 0, v[2:3]
	s_xor_b32 s14, exec_lo, s14
	s_cbranch_execz .LBB92_34
; %bb.33:                               ;   in Loop: Header=BB92_24 Depth=2
	s_add_u32 s22, s45, s0
	s_mov_b32 s20, s0
	s_mov_b32 s21, s0
	s_addc_u32 s23, s0, s0
	v_ashrrev_i32_e32 v17, 31, v11
	s_xor_b64 s[22:23], s[22:23], s[20:21]
	s_delay_alu instid0(SALU_CYCLE_1) | instskip(SKIP_3) | instid1(VALU_DEP_1)
	v_cvt_f32_u32_e32 v3, s22
	v_cvt_f32_u32_e32 v5, s23
	s_sub_u32 s0, 0, s22
	s_subb_u32 s17, 0, s23
	v_fmac_f32_e32 v3, 0x4f800000, v5
	s_delay_alu instid0(VALU_DEP_1) | instskip(SKIP_2) | instid1(VALU_DEP_1)
	v_rcp_f32_e32 v3, v3
	s_waitcnt_depctr 0xfff
	v_mul_f32_e32 v3, 0x5f7ffffc, v3
	v_mul_f32_e32 v5, 0x2f800000, v3
	s_delay_alu instid0(VALU_DEP_1) | instskip(NEXT) | instid1(VALU_DEP_1)
	v_trunc_f32_e32 v5, v5
	v_fmac_f32_e32 v3, 0xcf800000, v5
	v_cvt_u32_f32_e32 v5, v5
	s_delay_alu instid0(VALU_DEP_2) | instskip(NEXT) | instid1(VALU_DEP_2)
	v_cvt_u32_f32_e32 v3, v3
	v_mul_lo_u32 v7, s0, v5
	s_delay_alu instid0(VALU_DEP_2) | instskip(SKIP_1) | instid1(VALU_DEP_2)
	v_mul_hi_u32 v9, s0, v3
	v_mul_lo_u32 v12, s17, v3
	v_add_nc_u32_e32 v7, v9, v7
	v_mul_lo_u32 v9, s0, v3
	s_delay_alu instid0(VALU_DEP_2) | instskip(NEXT) | instid1(VALU_DEP_2)
	v_add_nc_u32_e32 v7, v7, v12
	v_mul_hi_u32 v12, v3, v9
	s_delay_alu instid0(VALU_DEP_2)
	v_mul_lo_u32 v13, v3, v7
	v_mul_hi_u32 v14, v3, v7
	v_mul_hi_u32 v15, v5, v9
	v_mul_lo_u32 v9, v5, v9
	v_mul_hi_u32 v16, v5, v7
	v_mul_lo_u32 v7, v5, v7
	v_add_co_u32 v12, vcc_lo, v12, v13
	v_add_co_ci_u32_e32 v13, vcc_lo, 0, v14, vcc_lo
	s_delay_alu instid0(VALU_DEP_2) | instskip(NEXT) | instid1(VALU_DEP_2)
	v_add_co_u32 v9, vcc_lo, v12, v9
	v_add_co_ci_u32_e32 v9, vcc_lo, v13, v15, vcc_lo
	v_add_co_ci_u32_e32 v12, vcc_lo, 0, v16, vcc_lo
	s_delay_alu instid0(VALU_DEP_2) | instskip(NEXT) | instid1(VALU_DEP_2)
	v_add_co_u32 v7, vcc_lo, v9, v7
	v_add_co_ci_u32_e32 v9, vcc_lo, 0, v12, vcc_lo
	s_delay_alu instid0(VALU_DEP_2) | instskip(NEXT) | instid1(VALU_DEP_2)
	v_add_co_u32 v3, vcc_lo, v3, v7
	v_add_co_ci_u32_e32 v5, vcc_lo, v5, v9, vcc_lo
	s_delay_alu instid0(VALU_DEP_2) | instskip(SKIP_1) | instid1(VALU_DEP_3)
	v_mul_hi_u32 v7, s0, v3
	v_mul_lo_u32 v12, s17, v3
	v_mul_lo_u32 v9, s0, v5
	s_delay_alu instid0(VALU_DEP_1) | instskip(SKIP_1) | instid1(VALU_DEP_2)
	v_add_nc_u32_e32 v7, v7, v9
	v_mul_lo_u32 v9, s0, v3
	v_add_nc_u32_e32 v7, v7, v12
	s_delay_alu instid0(VALU_DEP_2) | instskip(NEXT) | instid1(VALU_DEP_2)
	v_mul_hi_u32 v12, v3, v9
	v_mul_lo_u32 v13, v3, v7
	v_mul_hi_u32 v14, v3, v7
	v_mul_hi_u32 v15, v5, v9
	v_mul_lo_u32 v9, v5, v9
	v_mul_hi_u32 v16, v5, v7
	v_mul_lo_u32 v7, v5, v7
	v_add_co_u32 v12, vcc_lo, v12, v13
	v_add_co_ci_u32_e32 v13, vcc_lo, 0, v14, vcc_lo
	s_delay_alu instid0(VALU_DEP_2) | instskip(NEXT) | instid1(VALU_DEP_2)
	v_add_co_u32 v9, vcc_lo, v12, v9
	v_add_co_ci_u32_e32 v9, vcc_lo, v13, v15, vcc_lo
	v_add_co_ci_u32_e32 v12, vcc_lo, 0, v16, vcc_lo
	v_add_co_u32 v13, vcc_lo, v10, v17
	v_add_co_ci_u32_e32 v11, vcc_lo, v11, v17, vcc_lo
	s_delay_alu instid0(VALU_DEP_4) | instskip(NEXT) | instid1(VALU_DEP_4)
	v_add_co_u32 v7, vcc_lo, v9, v7
	v_add_co_ci_u32_e32 v9, vcc_lo, 0, v12, vcc_lo
	s_delay_alu instid0(VALU_DEP_4) | instskip(NEXT) | instid1(VALU_DEP_3)
	v_xor_b32_e32 v18, v13, v17
	v_add_co_u32 v3, vcc_lo, v3, v7
	s_delay_alu instid0(VALU_DEP_3) | instskip(SKIP_1) | instid1(VALU_DEP_3)
	v_add_co_ci_u32_e32 v5, vcc_lo, v5, v9, vcc_lo
	v_xor_b32_e32 v7, v11, v17
	v_mul_hi_u32 v9, v18, v3
	s_delay_alu instid0(VALU_DEP_3) | instskip(NEXT) | instid1(VALU_DEP_3)
	v_mad_u64_u32 v[11:12], null, v18, v5, 0
	v_mad_u64_u32 v[13:14], null, v7, v3, 0
	;; [unrolled: 1-line block ×3, first 2 shown]
	s_delay_alu instid0(VALU_DEP_3) | instskip(NEXT) | instid1(VALU_DEP_4)
	v_add_co_u32 v3, vcc_lo, v9, v11
	v_add_co_ci_u32_e32 v5, vcc_lo, 0, v12, vcc_lo
	s_delay_alu instid0(VALU_DEP_2) | instskip(NEXT) | instid1(VALU_DEP_2)
	v_add_co_u32 v3, vcc_lo, v3, v13
	v_add_co_ci_u32_e32 v3, vcc_lo, v5, v14, vcc_lo
	v_add_co_ci_u32_e32 v5, vcc_lo, 0, v16, vcc_lo
	s_delay_alu instid0(VALU_DEP_2) | instskip(NEXT) | instid1(VALU_DEP_2)
	v_add_co_u32 v3, vcc_lo, v3, v15
	v_add_co_ci_u32_e32 v5, vcc_lo, 0, v5, vcc_lo
	s_delay_alu instid0(VALU_DEP_2) | instskip(SKIP_1) | instid1(VALU_DEP_3)
	v_mul_lo_u32 v9, s23, v3
	v_mad_u64_u32 v[11:12], null, s22, v3, 0
	v_mul_lo_u32 v13, s22, v5
	s_delay_alu instid0(VALU_DEP_2) | instskip(NEXT) | instid1(VALU_DEP_2)
	v_sub_co_u32 v11, vcc_lo, v18, v11
	v_add3_u32 v9, v12, v13, v9
	s_delay_alu instid0(VALU_DEP_1) | instskip(NEXT) | instid1(VALU_DEP_1)
	v_sub_nc_u32_e32 v12, v7, v9
	v_subrev_co_ci_u32_e64 v12, s0, s23, v12, vcc_lo
	v_add_co_u32 v13, s0, v3, 2
	s_delay_alu instid0(VALU_DEP_1) | instskip(SKIP_3) | instid1(VALU_DEP_3)
	v_add_co_ci_u32_e64 v14, s0, 0, v5, s0
	v_sub_co_u32 v15, s0, v11, s22
	v_sub_co_ci_u32_e32 v7, vcc_lo, v7, v9, vcc_lo
	v_subrev_co_ci_u32_e64 v12, s0, 0, v12, s0
	v_cmp_le_u32_e32 vcc_lo, s22, v15
	s_delay_alu instid0(VALU_DEP_3) | instskip(SKIP_1) | instid1(VALU_DEP_4)
	v_cmp_eq_u32_e64 s0, s23, v7
	v_cndmask_b32_e64 v9, 0, -1, vcc_lo
	v_cmp_le_u32_e32 vcc_lo, s23, v12
	v_cndmask_b32_e64 v15, 0, -1, vcc_lo
	v_cmp_le_u32_e32 vcc_lo, s22, v11
	;; [unrolled: 2-line block ×3, first 2 shown]
	v_cndmask_b32_e64 v16, 0, -1, vcc_lo
	v_cmp_eq_u32_e32 vcc_lo, s23, v12
	s_delay_alu instid0(VALU_DEP_2) | instskip(SKIP_3) | instid1(VALU_DEP_3)
	v_cndmask_b32_e64 v7, v16, v11, s0
	v_cndmask_b32_e32 v9, v15, v9, vcc_lo
	v_add_co_u32 v12, vcc_lo, v3, 1
	v_add_co_ci_u32_e32 v15, vcc_lo, 0, v5, vcc_lo
	v_cmp_ne_u32_e32 vcc_lo, 0, v9
	s_delay_alu instid0(VALU_DEP_2) | instskip(NEXT) | instid1(VALU_DEP_4)
	v_cndmask_b32_e32 v9, v15, v14, vcc_lo
	v_cndmask_b32_e32 v11, v12, v13, vcc_lo
	v_cmp_ne_u32_e32 vcc_lo, 0, v7
	v_xor_b32_e32 v7, s20, v17
	s_delay_alu instid0(VALU_DEP_3) | instskip(SKIP_2) | instid1(VALU_DEP_3)
	v_cndmask_b32_e32 v3, v3, v11, vcc_lo
	v_cndmask_b32_e32 v5, v5, v9, vcc_lo
	v_xor_b32_e32 v9, s21, v17
	v_xor_b32_e32 v3, v3, v7
	s_delay_alu instid0(VALU_DEP_2) | instskip(NEXT) | instid1(VALU_DEP_2)
	v_xor_b32_e32 v5, v5, v9
	v_sub_co_u32 v12, vcc_lo, v3, v7
	s_delay_alu instid0(VALU_DEP_2)
	v_sub_co_ci_u32_e32 v13, vcc_lo, v5, v9, vcc_lo
.LBB92_34:                              ;   in Loop: Header=BB92_24 Depth=2
	s_and_not1_saveexec_b32 s0, s14
	s_cbranch_execz .LBB92_36
; %bb.35:                               ;   in Loop: Header=BB92_24 Depth=2
	v_cvt_f32_u32_e32 v3, s45
	s_sub_i32 s14, 0, s45
	v_mov_b32_e32 v13, v2
	s_delay_alu instid0(VALU_DEP_2) | instskip(SKIP_2) | instid1(VALU_DEP_1)
	v_rcp_iflag_f32_e32 v3, v3
	s_waitcnt_depctr 0xfff
	v_mul_f32_e32 v3, 0x4f7ffffe, v3
	v_cvt_u32_f32_e32 v3, v3
	s_delay_alu instid0(VALU_DEP_1) | instskip(NEXT) | instid1(VALU_DEP_1)
	v_mul_lo_u32 v5, s14, v3
	v_mul_hi_u32 v5, v3, v5
	s_delay_alu instid0(VALU_DEP_1) | instskip(NEXT) | instid1(VALU_DEP_1)
	v_add_nc_u32_e32 v3, v3, v5
	v_mul_hi_u32 v3, v10, v3
	s_delay_alu instid0(VALU_DEP_1) | instskip(SKIP_1) | instid1(VALU_DEP_2)
	v_mul_lo_u32 v5, v3, s45
	v_add_nc_u32_e32 v7, 1, v3
	v_sub_nc_u32_e32 v5, v10, v5
	s_delay_alu instid0(VALU_DEP_1) | instskip(SKIP_1) | instid1(VALU_DEP_4)
	v_cmp_le_u32_e32 vcc_lo, s45, v5
	v_subrev_nc_u32_e32 v9, s45, v5
	v_cndmask_b32_e32 v3, v3, v7, vcc_lo
	s_delay_alu instid0(VALU_DEP_1) | instskip(NEXT) | instid1(VALU_DEP_3)
	v_add_nc_u32_e32 v7, 1, v3
	v_cndmask_b32_e32 v5, v5, v9, vcc_lo
	s_delay_alu instid0(VALU_DEP_1) | instskip(NEXT) | instid1(VALU_DEP_3)
	v_cmp_le_u32_e32 vcc_lo, s45, v5
	v_cndmask_b32_e32 v12, v3, v7, vcc_lo
.LBB92_36:                              ;   in Loop: Header=BB92_24 Depth=2
	s_or_b32 exec_lo, exec_lo, s0
	s_add_u32 s20, s30, s18
	s_addc_u32 s21, s1, s19
	s_add_i32 s14, s16, 4
                                        ; implicit-def: $vgpr14_vgpr15
	s_delay_alu instid0(SALU_CYCLE_1)
	s_lshl_b64 s[18:19], s[14:15], 2
	s_mov_b32 s14, exec_lo
	s_add_u32 s22, s26, s18
	s_addc_u32 s23, s27, s19
	s_clause 0x1
	s_load_b32 s47, s[22:23], 0x0
	s_load_b32 s46, s[20:21], 0x0
	s_waitcnt lgkmcnt(0)
	s_ashr_i32 s0, s47, 31
	s_delay_alu instid0(SALU_CYCLE_1) | instskip(NEXT) | instid1(VALU_DEP_1)
	v_or_b32_e32 v3, s0, v13
	v_cmpx_ne_u64_e32 0, v[2:3]
	s_xor_b32 s14, exec_lo, s14
	s_cbranch_execz .LBB92_38
; %bb.37:                               ;   in Loop: Header=BB92_24 Depth=2
	s_add_u32 s22, s47, s0
	s_mov_b32 s20, s0
	s_mov_b32 s21, s0
	s_addc_u32 s23, s0, s0
	v_ashrrev_i32_e32 v19, 31, v13
	s_xor_b64 s[22:23], s[22:23], s[20:21]
	s_delay_alu instid0(SALU_CYCLE_1) | instskip(SKIP_3) | instid1(VALU_DEP_1)
	v_cvt_f32_u32_e32 v3, s22
	v_cvt_f32_u32_e32 v5, s23
	s_sub_u32 s0, 0, s22
	s_subb_u32 s17, 0, s23
	v_fmac_f32_e32 v3, 0x4f800000, v5
	s_delay_alu instid0(VALU_DEP_1) | instskip(SKIP_2) | instid1(VALU_DEP_1)
	v_rcp_f32_e32 v3, v3
	s_waitcnt_depctr 0xfff
	v_mul_f32_e32 v3, 0x5f7ffffc, v3
	v_mul_f32_e32 v5, 0x2f800000, v3
	s_delay_alu instid0(VALU_DEP_1) | instskip(NEXT) | instid1(VALU_DEP_1)
	v_trunc_f32_e32 v5, v5
	v_fmac_f32_e32 v3, 0xcf800000, v5
	v_cvt_u32_f32_e32 v5, v5
	s_delay_alu instid0(VALU_DEP_2) | instskip(NEXT) | instid1(VALU_DEP_2)
	v_cvt_u32_f32_e32 v3, v3
	v_mul_lo_u32 v7, s0, v5
	s_delay_alu instid0(VALU_DEP_2) | instskip(SKIP_1) | instid1(VALU_DEP_2)
	v_mul_hi_u32 v9, s0, v3
	v_mul_lo_u32 v11, s17, v3
	v_add_nc_u32_e32 v7, v9, v7
	v_mul_lo_u32 v9, s0, v3
	s_delay_alu instid0(VALU_DEP_2) | instskip(NEXT) | instid1(VALU_DEP_2)
	v_add_nc_u32_e32 v7, v7, v11
	v_mul_hi_u32 v11, v3, v9
	s_delay_alu instid0(VALU_DEP_2)
	v_mul_lo_u32 v14, v3, v7
	v_mul_hi_u32 v15, v3, v7
	v_mul_hi_u32 v16, v5, v9
	v_mul_lo_u32 v9, v5, v9
	v_mul_hi_u32 v17, v5, v7
	v_mul_lo_u32 v7, v5, v7
	v_add_co_u32 v11, vcc_lo, v11, v14
	v_add_co_ci_u32_e32 v14, vcc_lo, 0, v15, vcc_lo
	s_delay_alu instid0(VALU_DEP_2) | instskip(NEXT) | instid1(VALU_DEP_2)
	v_add_co_u32 v9, vcc_lo, v11, v9
	v_add_co_ci_u32_e32 v9, vcc_lo, v14, v16, vcc_lo
	v_add_co_ci_u32_e32 v11, vcc_lo, 0, v17, vcc_lo
	s_delay_alu instid0(VALU_DEP_2) | instskip(NEXT) | instid1(VALU_DEP_2)
	v_add_co_u32 v7, vcc_lo, v9, v7
	v_add_co_ci_u32_e32 v9, vcc_lo, 0, v11, vcc_lo
	s_delay_alu instid0(VALU_DEP_2) | instskip(NEXT) | instid1(VALU_DEP_2)
	v_add_co_u32 v3, vcc_lo, v3, v7
	v_add_co_ci_u32_e32 v5, vcc_lo, v5, v9, vcc_lo
	s_delay_alu instid0(VALU_DEP_2) | instskip(SKIP_1) | instid1(VALU_DEP_3)
	v_mul_hi_u32 v7, s0, v3
	v_mul_lo_u32 v11, s17, v3
	v_mul_lo_u32 v9, s0, v5
	s_delay_alu instid0(VALU_DEP_1) | instskip(SKIP_1) | instid1(VALU_DEP_2)
	v_add_nc_u32_e32 v7, v7, v9
	v_mul_lo_u32 v9, s0, v3
	v_add_nc_u32_e32 v7, v7, v11
	s_delay_alu instid0(VALU_DEP_2) | instskip(NEXT) | instid1(VALU_DEP_2)
	v_mul_hi_u32 v11, v3, v9
	v_mul_lo_u32 v14, v3, v7
	v_mul_hi_u32 v15, v3, v7
	v_mul_hi_u32 v16, v5, v9
	v_mul_lo_u32 v9, v5, v9
	v_mul_hi_u32 v17, v5, v7
	v_mul_lo_u32 v7, v5, v7
	v_add_co_u32 v11, vcc_lo, v11, v14
	v_add_co_ci_u32_e32 v14, vcc_lo, 0, v15, vcc_lo
	s_delay_alu instid0(VALU_DEP_2) | instskip(NEXT) | instid1(VALU_DEP_2)
	v_add_co_u32 v9, vcc_lo, v11, v9
	v_add_co_ci_u32_e32 v9, vcc_lo, v14, v16, vcc_lo
	v_add_co_ci_u32_e32 v11, vcc_lo, 0, v17, vcc_lo
	v_add_co_u32 v14, vcc_lo, v12, v19
	v_add_co_ci_u32_e32 v13, vcc_lo, v13, v19, vcc_lo
	s_delay_alu instid0(VALU_DEP_4) | instskip(NEXT) | instid1(VALU_DEP_4)
	v_add_co_u32 v7, vcc_lo, v9, v7
	v_add_co_ci_u32_e32 v9, vcc_lo, 0, v11, vcc_lo
	s_delay_alu instid0(VALU_DEP_4) | instskip(NEXT) | instid1(VALU_DEP_3)
	v_xor_b32_e32 v11, v14, v19
	v_add_co_u32 v3, vcc_lo, v3, v7
	s_delay_alu instid0(VALU_DEP_3) | instskip(SKIP_1) | instid1(VALU_DEP_3)
	v_add_co_ci_u32_e32 v5, vcc_lo, v5, v9, vcc_lo
	v_xor_b32_e32 v7, v13, v19
	v_mul_hi_u32 v9, v11, v3
	s_delay_alu instid0(VALU_DEP_3) | instskip(NEXT) | instid1(VALU_DEP_3)
	v_mad_u64_u32 v[13:14], null, v11, v5, 0
	v_mad_u64_u32 v[15:16], null, v7, v3, 0
	v_mad_u64_u32 v[17:18], null, v7, v5, 0
	s_delay_alu instid0(VALU_DEP_3) | instskip(NEXT) | instid1(VALU_DEP_4)
	v_add_co_u32 v3, vcc_lo, v9, v13
	v_add_co_ci_u32_e32 v5, vcc_lo, 0, v14, vcc_lo
	s_delay_alu instid0(VALU_DEP_2) | instskip(NEXT) | instid1(VALU_DEP_2)
	v_add_co_u32 v3, vcc_lo, v3, v15
	v_add_co_ci_u32_e32 v3, vcc_lo, v5, v16, vcc_lo
	v_add_co_ci_u32_e32 v5, vcc_lo, 0, v18, vcc_lo
	s_delay_alu instid0(VALU_DEP_2) | instskip(NEXT) | instid1(VALU_DEP_2)
	v_add_co_u32 v3, vcc_lo, v3, v17
	v_add_co_ci_u32_e32 v5, vcc_lo, 0, v5, vcc_lo
	s_delay_alu instid0(VALU_DEP_2) | instskip(SKIP_1) | instid1(VALU_DEP_3)
	v_mul_lo_u32 v9, s23, v3
	v_mad_u64_u32 v[13:14], null, s22, v3, 0
	v_mul_lo_u32 v15, s22, v5
	s_delay_alu instid0(VALU_DEP_2) | instskip(NEXT) | instid1(VALU_DEP_2)
	v_sub_co_u32 v11, vcc_lo, v11, v13
	v_add3_u32 v9, v14, v15, v9
	s_delay_alu instid0(VALU_DEP_1) | instskip(NEXT) | instid1(VALU_DEP_1)
	v_sub_nc_u32_e32 v14, v7, v9
	v_subrev_co_ci_u32_e64 v13, s0, s23, v14, vcc_lo
	v_add_co_u32 v14, s0, v3, 2
	s_delay_alu instid0(VALU_DEP_1) | instskip(SKIP_3) | instid1(VALU_DEP_3)
	v_add_co_ci_u32_e64 v15, s0, 0, v5, s0
	v_sub_co_u32 v16, s0, v11, s22
	v_sub_co_ci_u32_e32 v7, vcc_lo, v7, v9, vcc_lo
	v_subrev_co_ci_u32_e64 v13, s0, 0, v13, s0
	v_cmp_le_u32_e32 vcc_lo, s22, v16
	s_delay_alu instid0(VALU_DEP_3) | instskip(SKIP_1) | instid1(VALU_DEP_4)
	v_cmp_eq_u32_e64 s0, s23, v7
	v_cndmask_b32_e64 v9, 0, -1, vcc_lo
	v_cmp_le_u32_e32 vcc_lo, s23, v13
	v_cndmask_b32_e64 v16, 0, -1, vcc_lo
	v_cmp_le_u32_e32 vcc_lo, s22, v11
	;; [unrolled: 2-line block ×3, first 2 shown]
	v_cndmask_b32_e64 v17, 0, -1, vcc_lo
	v_cmp_eq_u32_e32 vcc_lo, s23, v13
	s_delay_alu instid0(VALU_DEP_2) | instskip(SKIP_3) | instid1(VALU_DEP_3)
	v_cndmask_b32_e64 v7, v17, v11, s0
	v_cndmask_b32_e32 v9, v16, v9, vcc_lo
	v_add_co_u32 v13, vcc_lo, v3, 1
	v_add_co_ci_u32_e32 v16, vcc_lo, 0, v5, vcc_lo
	v_cmp_ne_u32_e32 vcc_lo, 0, v9
	s_delay_alu instid0(VALU_DEP_2) | instskip(NEXT) | instid1(VALU_DEP_4)
	v_cndmask_b32_e32 v9, v16, v15, vcc_lo
	v_cndmask_b32_e32 v11, v13, v14, vcc_lo
	v_cmp_ne_u32_e32 vcc_lo, 0, v7
	v_xor_b32_e32 v7, s20, v19
	s_delay_alu instid0(VALU_DEP_3) | instskip(SKIP_2) | instid1(VALU_DEP_3)
	v_cndmask_b32_e32 v3, v3, v11, vcc_lo
	v_cndmask_b32_e32 v5, v5, v9, vcc_lo
	v_xor_b32_e32 v9, s21, v19
	v_xor_b32_e32 v3, v3, v7
	s_delay_alu instid0(VALU_DEP_2) | instskip(NEXT) | instid1(VALU_DEP_2)
	v_xor_b32_e32 v5, v5, v9
	v_sub_co_u32 v14, vcc_lo, v3, v7
	s_delay_alu instid0(VALU_DEP_2)
	v_sub_co_ci_u32_e32 v15, vcc_lo, v5, v9, vcc_lo
.LBB92_38:                              ;   in Loop: Header=BB92_24 Depth=2
	s_and_not1_saveexec_b32 s0, s14
	s_cbranch_execz .LBB92_40
; %bb.39:                               ;   in Loop: Header=BB92_24 Depth=2
	v_cvt_f32_u32_e32 v3, s47
	s_sub_i32 s14, 0, s47
	v_mov_b32_e32 v15, v2
	s_delay_alu instid0(VALU_DEP_2) | instskip(SKIP_2) | instid1(VALU_DEP_1)
	v_rcp_iflag_f32_e32 v3, v3
	s_waitcnt_depctr 0xfff
	v_mul_f32_e32 v3, 0x4f7ffffe, v3
	v_cvt_u32_f32_e32 v3, v3
	s_delay_alu instid0(VALU_DEP_1) | instskip(NEXT) | instid1(VALU_DEP_1)
	v_mul_lo_u32 v5, s14, v3
	v_mul_hi_u32 v5, v3, v5
	s_delay_alu instid0(VALU_DEP_1) | instskip(NEXT) | instid1(VALU_DEP_1)
	v_add_nc_u32_e32 v3, v3, v5
	v_mul_hi_u32 v3, v12, v3
	s_delay_alu instid0(VALU_DEP_1) | instskip(SKIP_1) | instid1(VALU_DEP_2)
	v_mul_lo_u32 v5, v3, s47
	v_add_nc_u32_e32 v7, 1, v3
	v_sub_nc_u32_e32 v5, v12, v5
	s_delay_alu instid0(VALU_DEP_1) | instskip(SKIP_1) | instid1(VALU_DEP_4)
	v_cmp_le_u32_e32 vcc_lo, s47, v5
	v_subrev_nc_u32_e32 v9, s47, v5
	v_cndmask_b32_e32 v3, v3, v7, vcc_lo
	s_delay_alu instid0(VALU_DEP_1) | instskip(NEXT) | instid1(VALU_DEP_3)
	v_add_nc_u32_e32 v7, 1, v3
	v_cndmask_b32_e32 v5, v5, v9, vcc_lo
	s_delay_alu instid0(VALU_DEP_1) | instskip(NEXT) | instid1(VALU_DEP_3)
	v_cmp_le_u32_e32 vcc_lo, s47, v5
	v_cndmask_b32_e32 v14, v3, v7, vcc_lo
.LBB92_40:                              ;   in Loop: Header=BB92_24 Depth=2
	s_or_b32 exec_lo, exec_lo, s0
	s_add_u32 s20, s30, s18
	s_addc_u32 s21, s1, s19
	s_add_i32 s14, s16, 3
                                        ; implicit-def: $vgpr16_vgpr17
	s_delay_alu instid0(SALU_CYCLE_1)
	s_lshl_b64 s[18:19], s[14:15], 2
	s_mov_b32 s14, exec_lo
	s_add_u32 s22, s26, s18
	s_addc_u32 s23, s27, s19
	s_clause 0x1
	s_load_b32 s49, s[22:23], 0x0
	s_load_b32 s48, s[20:21], 0x0
	s_waitcnt lgkmcnt(0)
	s_ashr_i32 s0, s49, 31
	s_delay_alu instid0(SALU_CYCLE_1) | instskip(NEXT) | instid1(VALU_DEP_1)
	v_or_b32_e32 v3, s0, v15
	v_cmpx_ne_u64_e32 0, v[2:3]
	s_xor_b32 s14, exec_lo, s14
	s_cbranch_execz .LBB92_42
; %bb.41:                               ;   in Loop: Header=BB92_24 Depth=2
	s_add_u32 s22, s49, s0
	s_mov_b32 s20, s0
	s_mov_b32 s21, s0
	s_addc_u32 s23, s0, s0
	v_ashrrev_i32_e32 v21, 31, v15
	s_xor_b64 s[22:23], s[22:23], s[20:21]
	s_delay_alu instid0(SALU_CYCLE_1) | instskip(SKIP_3) | instid1(VALU_DEP_1)
	v_cvt_f32_u32_e32 v3, s22
	v_cvt_f32_u32_e32 v5, s23
	s_sub_u32 s0, 0, s22
	s_subb_u32 s17, 0, s23
	v_fmac_f32_e32 v3, 0x4f800000, v5
	s_delay_alu instid0(VALU_DEP_1) | instskip(SKIP_2) | instid1(VALU_DEP_1)
	v_rcp_f32_e32 v3, v3
	s_waitcnt_depctr 0xfff
	v_mul_f32_e32 v3, 0x5f7ffffc, v3
	v_mul_f32_e32 v5, 0x2f800000, v3
	s_delay_alu instid0(VALU_DEP_1) | instskip(NEXT) | instid1(VALU_DEP_1)
	v_trunc_f32_e32 v5, v5
	v_fmac_f32_e32 v3, 0xcf800000, v5
	v_cvt_u32_f32_e32 v5, v5
	s_delay_alu instid0(VALU_DEP_2) | instskip(NEXT) | instid1(VALU_DEP_2)
	v_cvt_u32_f32_e32 v3, v3
	v_mul_lo_u32 v7, s0, v5
	s_delay_alu instid0(VALU_DEP_2) | instskip(SKIP_1) | instid1(VALU_DEP_2)
	v_mul_hi_u32 v9, s0, v3
	v_mul_lo_u32 v11, s17, v3
	v_add_nc_u32_e32 v7, v9, v7
	v_mul_lo_u32 v9, s0, v3
	s_delay_alu instid0(VALU_DEP_2) | instskip(NEXT) | instid1(VALU_DEP_2)
	v_add_nc_u32_e32 v7, v7, v11
	v_mul_hi_u32 v11, v3, v9
	s_delay_alu instid0(VALU_DEP_2)
	v_mul_lo_u32 v13, v3, v7
	v_mul_hi_u32 v16, v3, v7
	v_mul_hi_u32 v17, v5, v9
	v_mul_lo_u32 v9, v5, v9
	v_mul_hi_u32 v18, v5, v7
	v_mul_lo_u32 v7, v5, v7
	v_add_co_u32 v11, vcc_lo, v11, v13
	v_add_co_ci_u32_e32 v13, vcc_lo, 0, v16, vcc_lo
	s_delay_alu instid0(VALU_DEP_2) | instskip(NEXT) | instid1(VALU_DEP_2)
	v_add_co_u32 v9, vcc_lo, v11, v9
	v_add_co_ci_u32_e32 v9, vcc_lo, v13, v17, vcc_lo
	v_add_co_ci_u32_e32 v11, vcc_lo, 0, v18, vcc_lo
	s_delay_alu instid0(VALU_DEP_2) | instskip(NEXT) | instid1(VALU_DEP_2)
	v_add_co_u32 v7, vcc_lo, v9, v7
	v_add_co_ci_u32_e32 v9, vcc_lo, 0, v11, vcc_lo
	s_delay_alu instid0(VALU_DEP_2) | instskip(NEXT) | instid1(VALU_DEP_2)
	v_add_co_u32 v3, vcc_lo, v3, v7
	v_add_co_ci_u32_e32 v5, vcc_lo, v5, v9, vcc_lo
	s_delay_alu instid0(VALU_DEP_2) | instskip(SKIP_1) | instid1(VALU_DEP_3)
	v_mul_hi_u32 v7, s0, v3
	v_mul_lo_u32 v11, s17, v3
	v_mul_lo_u32 v9, s0, v5
	s_delay_alu instid0(VALU_DEP_1) | instskip(SKIP_1) | instid1(VALU_DEP_2)
	v_add_nc_u32_e32 v7, v7, v9
	v_mul_lo_u32 v9, s0, v3
	v_add_nc_u32_e32 v7, v7, v11
	s_delay_alu instid0(VALU_DEP_2) | instskip(NEXT) | instid1(VALU_DEP_2)
	v_mul_hi_u32 v11, v3, v9
	v_mul_lo_u32 v13, v3, v7
	v_mul_hi_u32 v16, v3, v7
	v_mul_hi_u32 v17, v5, v9
	v_mul_lo_u32 v9, v5, v9
	v_mul_hi_u32 v18, v5, v7
	v_mul_lo_u32 v7, v5, v7
	v_add_co_u32 v11, vcc_lo, v11, v13
	v_add_co_ci_u32_e32 v13, vcc_lo, 0, v16, vcc_lo
	s_delay_alu instid0(VALU_DEP_2) | instskip(NEXT) | instid1(VALU_DEP_2)
	v_add_co_u32 v9, vcc_lo, v11, v9
	v_add_co_ci_u32_e32 v9, vcc_lo, v13, v17, vcc_lo
	v_add_co_ci_u32_e32 v11, vcc_lo, 0, v18, vcc_lo
	v_add_co_u32 v13, vcc_lo, v14, v21
	v_add_co_ci_u32_e32 v15, vcc_lo, v15, v21, vcc_lo
	s_delay_alu instid0(VALU_DEP_4) | instskip(NEXT) | instid1(VALU_DEP_4)
	v_add_co_u32 v7, vcc_lo, v9, v7
	v_add_co_ci_u32_e32 v9, vcc_lo, 0, v11, vcc_lo
	s_delay_alu instid0(VALU_DEP_4) | instskip(NEXT) | instid1(VALU_DEP_3)
	v_xor_b32_e32 v11, v13, v21
	v_add_co_u32 v3, vcc_lo, v3, v7
	s_delay_alu instid0(VALU_DEP_3) | instskip(SKIP_1) | instid1(VALU_DEP_3)
	v_add_co_ci_u32_e32 v5, vcc_lo, v5, v9, vcc_lo
	v_xor_b32_e32 v7, v15, v21
	v_mul_hi_u32 v9, v11, v3
	s_delay_alu instid0(VALU_DEP_3) | instskip(NEXT) | instid1(VALU_DEP_3)
	v_mad_u64_u32 v[15:16], null, v11, v5, 0
	v_mad_u64_u32 v[17:18], null, v7, v3, 0
	;; [unrolled: 1-line block ×3, first 2 shown]
	s_delay_alu instid0(VALU_DEP_3) | instskip(NEXT) | instid1(VALU_DEP_4)
	v_add_co_u32 v3, vcc_lo, v9, v15
	v_add_co_ci_u32_e32 v5, vcc_lo, 0, v16, vcc_lo
	s_delay_alu instid0(VALU_DEP_2) | instskip(NEXT) | instid1(VALU_DEP_2)
	v_add_co_u32 v3, vcc_lo, v3, v17
	v_add_co_ci_u32_e32 v3, vcc_lo, v5, v18, vcc_lo
	v_add_co_ci_u32_e32 v5, vcc_lo, 0, v20, vcc_lo
	s_delay_alu instid0(VALU_DEP_2) | instskip(NEXT) | instid1(VALU_DEP_2)
	v_add_co_u32 v3, vcc_lo, v3, v19
	v_add_co_ci_u32_e32 v5, vcc_lo, 0, v5, vcc_lo
	s_delay_alu instid0(VALU_DEP_2) | instskip(SKIP_1) | instid1(VALU_DEP_3)
	v_mul_lo_u32 v9, s23, v3
	v_mad_u64_u32 v[15:16], null, s22, v3, 0
	v_mul_lo_u32 v13, s22, v5
	s_delay_alu instid0(VALU_DEP_2) | instskip(NEXT) | instid1(VALU_DEP_2)
	v_sub_co_u32 v11, vcc_lo, v11, v15
	v_add3_u32 v9, v16, v13, v9
	s_delay_alu instid0(VALU_DEP_1) | instskip(NEXT) | instid1(VALU_DEP_1)
	v_sub_nc_u32_e32 v13, v7, v9
	v_subrev_co_ci_u32_e64 v13, s0, s23, v13, vcc_lo
	v_add_co_u32 v15, s0, v3, 2
	s_delay_alu instid0(VALU_DEP_1) | instskip(SKIP_3) | instid1(VALU_DEP_3)
	v_add_co_ci_u32_e64 v16, s0, 0, v5, s0
	v_sub_co_u32 v17, s0, v11, s22
	v_sub_co_ci_u32_e32 v7, vcc_lo, v7, v9, vcc_lo
	v_subrev_co_ci_u32_e64 v13, s0, 0, v13, s0
	v_cmp_le_u32_e32 vcc_lo, s22, v17
	s_delay_alu instid0(VALU_DEP_3) | instskip(SKIP_1) | instid1(VALU_DEP_4)
	v_cmp_eq_u32_e64 s0, s23, v7
	v_cndmask_b32_e64 v9, 0, -1, vcc_lo
	v_cmp_le_u32_e32 vcc_lo, s23, v13
	v_cndmask_b32_e64 v17, 0, -1, vcc_lo
	v_cmp_le_u32_e32 vcc_lo, s22, v11
	;; [unrolled: 2-line block ×3, first 2 shown]
	v_cndmask_b32_e64 v18, 0, -1, vcc_lo
	v_cmp_eq_u32_e32 vcc_lo, s23, v13
	s_delay_alu instid0(VALU_DEP_2) | instskip(SKIP_3) | instid1(VALU_DEP_3)
	v_cndmask_b32_e64 v7, v18, v11, s0
	v_cndmask_b32_e32 v9, v17, v9, vcc_lo
	v_add_co_u32 v13, vcc_lo, v3, 1
	v_add_co_ci_u32_e32 v17, vcc_lo, 0, v5, vcc_lo
	v_cmp_ne_u32_e32 vcc_lo, 0, v9
	s_delay_alu instid0(VALU_DEP_2) | instskip(NEXT) | instid1(VALU_DEP_4)
	v_cndmask_b32_e32 v9, v17, v16, vcc_lo
	v_cndmask_b32_e32 v11, v13, v15, vcc_lo
	v_cmp_ne_u32_e32 vcc_lo, 0, v7
	v_xor_b32_e32 v7, s20, v21
	s_delay_alu instid0(VALU_DEP_3) | instskip(SKIP_2) | instid1(VALU_DEP_3)
	v_cndmask_b32_e32 v3, v3, v11, vcc_lo
	v_cndmask_b32_e32 v5, v5, v9, vcc_lo
	v_xor_b32_e32 v9, s21, v21
	v_xor_b32_e32 v3, v3, v7
	s_delay_alu instid0(VALU_DEP_2) | instskip(NEXT) | instid1(VALU_DEP_2)
	v_xor_b32_e32 v5, v5, v9
	v_sub_co_u32 v16, vcc_lo, v3, v7
	s_delay_alu instid0(VALU_DEP_2)
	v_sub_co_ci_u32_e32 v17, vcc_lo, v5, v9, vcc_lo
.LBB92_42:                              ;   in Loop: Header=BB92_24 Depth=2
	s_and_not1_saveexec_b32 s0, s14
	s_cbranch_execz .LBB92_44
; %bb.43:                               ;   in Loop: Header=BB92_24 Depth=2
	v_cvt_f32_u32_e32 v3, s49
	s_sub_i32 s14, 0, s49
	v_mov_b32_e32 v17, v2
	s_delay_alu instid0(VALU_DEP_2) | instskip(SKIP_2) | instid1(VALU_DEP_1)
	v_rcp_iflag_f32_e32 v3, v3
	s_waitcnt_depctr 0xfff
	v_mul_f32_e32 v3, 0x4f7ffffe, v3
	v_cvt_u32_f32_e32 v3, v3
	s_delay_alu instid0(VALU_DEP_1) | instskip(NEXT) | instid1(VALU_DEP_1)
	v_mul_lo_u32 v5, s14, v3
	v_mul_hi_u32 v5, v3, v5
	s_delay_alu instid0(VALU_DEP_1) | instskip(NEXT) | instid1(VALU_DEP_1)
	v_add_nc_u32_e32 v3, v3, v5
	v_mul_hi_u32 v3, v14, v3
	s_delay_alu instid0(VALU_DEP_1) | instskip(SKIP_1) | instid1(VALU_DEP_2)
	v_mul_lo_u32 v5, v3, s49
	v_add_nc_u32_e32 v7, 1, v3
	v_sub_nc_u32_e32 v5, v14, v5
	s_delay_alu instid0(VALU_DEP_1) | instskip(SKIP_1) | instid1(VALU_DEP_4)
	v_cmp_le_u32_e32 vcc_lo, s49, v5
	v_subrev_nc_u32_e32 v9, s49, v5
	v_cndmask_b32_e32 v3, v3, v7, vcc_lo
	s_delay_alu instid0(VALU_DEP_1) | instskip(NEXT) | instid1(VALU_DEP_3)
	v_add_nc_u32_e32 v7, 1, v3
	v_cndmask_b32_e32 v5, v5, v9, vcc_lo
	s_delay_alu instid0(VALU_DEP_1) | instskip(NEXT) | instid1(VALU_DEP_3)
	v_cmp_le_u32_e32 vcc_lo, s49, v5
	v_cndmask_b32_e32 v16, v3, v7, vcc_lo
.LBB92_44:                              ;   in Loop: Header=BB92_24 Depth=2
	s_or_b32 exec_lo, exec_lo, s0
	s_add_u32 s20, s30, s18
	s_addc_u32 s21, s1, s19
	s_add_i32 s14, s16, 2
                                        ; implicit-def: $vgpr18_vgpr19
	s_delay_alu instid0(SALU_CYCLE_1)
	s_lshl_b64 s[18:19], s[14:15], 2
	s_mov_b32 s14, exec_lo
	s_add_u32 s22, s26, s18
	s_addc_u32 s23, s27, s19
	s_clause 0x1
	s_load_b32 s51, s[22:23], 0x0
	s_load_b32 s50, s[20:21], 0x0
	s_waitcnt lgkmcnt(0)
	s_ashr_i32 s0, s51, 31
	s_delay_alu instid0(SALU_CYCLE_1) | instskip(NEXT) | instid1(VALU_DEP_1)
	v_or_b32_e32 v3, s0, v17
	v_cmpx_ne_u64_e32 0, v[2:3]
	s_xor_b32 s14, exec_lo, s14
	s_cbranch_execz .LBB92_46
; %bb.45:                               ;   in Loop: Header=BB92_24 Depth=2
	s_add_u32 s22, s51, s0
	s_mov_b32 s20, s0
	s_mov_b32 s21, s0
	s_addc_u32 s23, s0, s0
	v_ashrrev_i32_e32 v23, 31, v17
	s_xor_b64 s[22:23], s[22:23], s[20:21]
	s_delay_alu instid0(SALU_CYCLE_1) | instskip(SKIP_3) | instid1(VALU_DEP_1)
	v_cvt_f32_u32_e32 v3, s22
	v_cvt_f32_u32_e32 v5, s23
	s_sub_u32 s0, 0, s22
	s_subb_u32 s17, 0, s23
	v_fmac_f32_e32 v3, 0x4f800000, v5
	s_delay_alu instid0(VALU_DEP_1) | instskip(SKIP_2) | instid1(VALU_DEP_1)
	v_rcp_f32_e32 v3, v3
	s_waitcnt_depctr 0xfff
	v_mul_f32_e32 v3, 0x5f7ffffc, v3
	v_mul_f32_e32 v5, 0x2f800000, v3
	s_delay_alu instid0(VALU_DEP_1) | instskip(NEXT) | instid1(VALU_DEP_1)
	v_trunc_f32_e32 v5, v5
	v_fmac_f32_e32 v3, 0xcf800000, v5
	v_cvt_u32_f32_e32 v5, v5
	s_delay_alu instid0(VALU_DEP_2) | instskip(NEXT) | instid1(VALU_DEP_2)
	v_cvt_u32_f32_e32 v3, v3
	v_mul_lo_u32 v7, s0, v5
	s_delay_alu instid0(VALU_DEP_2) | instskip(SKIP_1) | instid1(VALU_DEP_2)
	v_mul_hi_u32 v9, s0, v3
	v_mul_lo_u32 v11, s17, v3
	v_add_nc_u32_e32 v7, v9, v7
	v_mul_lo_u32 v9, s0, v3
	s_delay_alu instid0(VALU_DEP_2) | instskip(NEXT) | instid1(VALU_DEP_2)
	v_add_nc_u32_e32 v7, v7, v11
	v_mul_hi_u32 v11, v3, v9
	s_delay_alu instid0(VALU_DEP_2)
	v_mul_lo_u32 v13, v3, v7
	v_mul_hi_u32 v15, v3, v7
	v_mul_hi_u32 v18, v5, v9
	v_mul_lo_u32 v9, v5, v9
	v_mul_hi_u32 v19, v5, v7
	v_mul_lo_u32 v7, v5, v7
	v_add_co_u32 v11, vcc_lo, v11, v13
	v_add_co_ci_u32_e32 v13, vcc_lo, 0, v15, vcc_lo
	s_delay_alu instid0(VALU_DEP_2) | instskip(NEXT) | instid1(VALU_DEP_2)
	v_add_co_u32 v9, vcc_lo, v11, v9
	v_add_co_ci_u32_e32 v9, vcc_lo, v13, v18, vcc_lo
	v_add_co_ci_u32_e32 v11, vcc_lo, 0, v19, vcc_lo
	s_delay_alu instid0(VALU_DEP_2) | instskip(NEXT) | instid1(VALU_DEP_2)
	v_add_co_u32 v7, vcc_lo, v9, v7
	v_add_co_ci_u32_e32 v9, vcc_lo, 0, v11, vcc_lo
	s_delay_alu instid0(VALU_DEP_2) | instskip(NEXT) | instid1(VALU_DEP_2)
	v_add_co_u32 v3, vcc_lo, v3, v7
	v_add_co_ci_u32_e32 v5, vcc_lo, v5, v9, vcc_lo
	s_delay_alu instid0(VALU_DEP_2) | instskip(SKIP_1) | instid1(VALU_DEP_3)
	v_mul_hi_u32 v7, s0, v3
	v_mul_lo_u32 v11, s17, v3
	v_mul_lo_u32 v9, s0, v5
	s_delay_alu instid0(VALU_DEP_1) | instskip(SKIP_1) | instid1(VALU_DEP_2)
	v_add_nc_u32_e32 v7, v7, v9
	v_mul_lo_u32 v9, s0, v3
	v_add_nc_u32_e32 v7, v7, v11
	s_delay_alu instid0(VALU_DEP_2) | instskip(NEXT) | instid1(VALU_DEP_2)
	v_mul_hi_u32 v11, v3, v9
	v_mul_lo_u32 v13, v3, v7
	v_mul_hi_u32 v15, v3, v7
	v_mul_hi_u32 v18, v5, v9
	v_mul_lo_u32 v9, v5, v9
	v_mul_hi_u32 v19, v5, v7
	v_mul_lo_u32 v7, v5, v7
	v_add_co_u32 v11, vcc_lo, v11, v13
	v_add_co_ci_u32_e32 v13, vcc_lo, 0, v15, vcc_lo
	s_delay_alu instid0(VALU_DEP_2) | instskip(NEXT) | instid1(VALU_DEP_2)
	v_add_co_u32 v9, vcc_lo, v11, v9
	v_add_co_ci_u32_e32 v9, vcc_lo, v13, v18, vcc_lo
	v_add_co_ci_u32_e32 v11, vcc_lo, 0, v19, vcc_lo
	v_add_co_u32 v13, vcc_lo, v16, v23
	v_add_co_ci_u32_e32 v15, vcc_lo, v17, v23, vcc_lo
	s_delay_alu instid0(VALU_DEP_4) | instskip(NEXT) | instid1(VALU_DEP_4)
	v_add_co_u32 v7, vcc_lo, v9, v7
	v_add_co_ci_u32_e32 v9, vcc_lo, 0, v11, vcc_lo
	s_delay_alu instid0(VALU_DEP_4) | instskip(NEXT) | instid1(VALU_DEP_3)
	v_xor_b32_e32 v11, v13, v23
	v_add_co_u32 v3, vcc_lo, v3, v7
	s_delay_alu instid0(VALU_DEP_3) | instskip(SKIP_1) | instid1(VALU_DEP_3)
	v_add_co_ci_u32_e32 v5, vcc_lo, v5, v9, vcc_lo
	v_xor_b32_e32 v7, v15, v23
	v_mul_hi_u32 v9, v11, v3
	s_delay_alu instid0(VALU_DEP_3) | instskip(NEXT) | instid1(VALU_DEP_3)
	v_mad_u64_u32 v[17:18], null, v11, v5, 0
	v_mad_u64_u32 v[19:20], null, v7, v3, 0
	;; [unrolled: 1-line block ×3, first 2 shown]
	s_delay_alu instid0(VALU_DEP_3) | instskip(NEXT) | instid1(VALU_DEP_4)
	v_add_co_u32 v3, vcc_lo, v9, v17
	v_add_co_ci_u32_e32 v5, vcc_lo, 0, v18, vcc_lo
	s_delay_alu instid0(VALU_DEP_2) | instskip(NEXT) | instid1(VALU_DEP_2)
	v_add_co_u32 v3, vcc_lo, v3, v19
	v_add_co_ci_u32_e32 v3, vcc_lo, v5, v20, vcc_lo
	v_add_co_ci_u32_e32 v5, vcc_lo, 0, v22, vcc_lo
	s_delay_alu instid0(VALU_DEP_2) | instskip(NEXT) | instid1(VALU_DEP_2)
	v_add_co_u32 v3, vcc_lo, v3, v21
	v_add_co_ci_u32_e32 v5, vcc_lo, 0, v5, vcc_lo
	s_delay_alu instid0(VALU_DEP_2) | instskip(SKIP_1) | instid1(VALU_DEP_3)
	v_mul_lo_u32 v9, s23, v3
	v_mad_u64_u32 v[17:18], null, s22, v3, 0
	v_mul_lo_u32 v13, s22, v5
	s_delay_alu instid0(VALU_DEP_2) | instskip(NEXT) | instid1(VALU_DEP_2)
	v_sub_co_u32 v11, vcc_lo, v11, v17
	v_add3_u32 v9, v18, v13, v9
	s_delay_alu instid0(VALU_DEP_1) | instskip(NEXT) | instid1(VALU_DEP_1)
	v_sub_nc_u32_e32 v13, v7, v9
	v_subrev_co_ci_u32_e64 v13, s0, s23, v13, vcc_lo
	v_add_co_u32 v15, s0, v3, 2
	s_delay_alu instid0(VALU_DEP_1) | instskip(SKIP_3) | instid1(VALU_DEP_3)
	v_add_co_ci_u32_e64 v17, s0, 0, v5, s0
	v_sub_co_u32 v18, s0, v11, s22
	v_sub_co_ci_u32_e32 v7, vcc_lo, v7, v9, vcc_lo
	v_subrev_co_ci_u32_e64 v13, s0, 0, v13, s0
	v_cmp_le_u32_e32 vcc_lo, s22, v18
	s_delay_alu instid0(VALU_DEP_3) | instskip(SKIP_1) | instid1(VALU_DEP_4)
	v_cmp_eq_u32_e64 s0, s23, v7
	v_cndmask_b32_e64 v9, 0, -1, vcc_lo
	v_cmp_le_u32_e32 vcc_lo, s23, v13
	v_cndmask_b32_e64 v18, 0, -1, vcc_lo
	v_cmp_le_u32_e32 vcc_lo, s22, v11
	;; [unrolled: 2-line block ×3, first 2 shown]
	v_cndmask_b32_e64 v19, 0, -1, vcc_lo
	v_cmp_eq_u32_e32 vcc_lo, s23, v13
	s_delay_alu instid0(VALU_DEP_2) | instskip(SKIP_3) | instid1(VALU_DEP_3)
	v_cndmask_b32_e64 v7, v19, v11, s0
	v_cndmask_b32_e32 v9, v18, v9, vcc_lo
	v_add_co_u32 v13, vcc_lo, v3, 1
	v_add_co_ci_u32_e32 v18, vcc_lo, 0, v5, vcc_lo
	v_cmp_ne_u32_e32 vcc_lo, 0, v9
	s_delay_alu instid0(VALU_DEP_2) | instskip(NEXT) | instid1(VALU_DEP_4)
	v_cndmask_b32_e32 v9, v18, v17, vcc_lo
	v_cndmask_b32_e32 v11, v13, v15, vcc_lo
	v_cmp_ne_u32_e32 vcc_lo, 0, v7
	v_xor_b32_e32 v7, s20, v23
	s_delay_alu instid0(VALU_DEP_3) | instskip(SKIP_2) | instid1(VALU_DEP_3)
	v_cndmask_b32_e32 v3, v3, v11, vcc_lo
	v_cndmask_b32_e32 v5, v5, v9, vcc_lo
	v_xor_b32_e32 v9, s21, v23
	v_xor_b32_e32 v3, v3, v7
	s_delay_alu instid0(VALU_DEP_2) | instskip(NEXT) | instid1(VALU_DEP_2)
	v_xor_b32_e32 v5, v5, v9
	v_sub_co_u32 v18, vcc_lo, v3, v7
	s_delay_alu instid0(VALU_DEP_2)
	v_sub_co_ci_u32_e32 v19, vcc_lo, v5, v9, vcc_lo
.LBB92_46:                              ;   in Loop: Header=BB92_24 Depth=2
	s_and_not1_saveexec_b32 s0, s14
	s_cbranch_execz .LBB92_48
; %bb.47:                               ;   in Loop: Header=BB92_24 Depth=2
	v_cvt_f32_u32_e32 v3, s51
	s_sub_i32 s14, 0, s51
	v_mov_b32_e32 v19, v2
	s_delay_alu instid0(VALU_DEP_2) | instskip(SKIP_2) | instid1(VALU_DEP_1)
	v_rcp_iflag_f32_e32 v3, v3
	s_waitcnt_depctr 0xfff
	v_mul_f32_e32 v3, 0x4f7ffffe, v3
	v_cvt_u32_f32_e32 v3, v3
	s_delay_alu instid0(VALU_DEP_1) | instskip(NEXT) | instid1(VALU_DEP_1)
	v_mul_lo_u32 v5, s14, v3
	v_mul_hi_u32 v5, v3, v5
	s_delay_alu instid0(VALU_DEP_1) | instskip(NEXT) | instid1(VALU_DEP_1)
	v_add_nc_u32_e32 v3, v3, v5
	v_mul_hi_u32 v3, v16, v3
	s_delay_alu instid0(VALU_DEP_1) | instskip(SKIP_1) | instid1(VALU_DEP_2)
	v_mul_lo_u32 v5, v3, s51
	v_add_nc_u32_e32 v7, 1, v3
	v_sub_nc_u32_e32 v5, v16, v5
	s_delay_alu instid0(VALU_DEP_1) | instskip(SKIP_1) | instid1(VALU_DEP_4)
	v_cmp_le_u32_e32 vcc_lo, s51, v5
	v_subrev_nc_u32_e32 v9, s51, v5
	v_cndmask_b32_e32 v3, v3, v7, vcc_lo
	s_delay_alu instid0(VALU_DEP_1) | instskip(NEXT) | instid1(VALU_DEP_3)
	v_add_nc_u32_e32 v7, 1, v3
	v_cndmask_b32_e32 v5, v5, v9, vcc_lo
	s_delay_alu instid0(VALU_DEP_1) | instskip(NEXT) | instid1(VALU_DEP_3)
	v_cmp_le_u32_e32 vcc_lo, s51, v5
	v_cndmask_b32_e32 v18, v3, v7, vcc_lo
.LBB92_48:                              ;   in Loop: Header=BB92_24 Depth=2
	s_or_b32 exec_lo, exec_lo, s0
	s_add_u32 s20, s30, s18
	s_addc_u32 s21, s1, s19
	s_add_i32 s14, s16, 1
	s_mov_b32 s17, exec_lo
	s_lshl_b64 s[18:19], s[14:15], 2
                                        ; implicit-def: $vgpr20_vgpr21
	s_delay_alu instid0(SALU_CYCLE_1)
	s_add_u32 s22, s26, s18
	s_addc_u32 s23, s27, s19
	s_clause 0x1
	s_load_b32 s52, s[22:23], 0x0
	s_load_b32 s14, s[20:21], 0x0
	s_waitcnt lgkmcnt(0)
	s_ashr_i32 s0, s52, 31
	s_delay_alu instid0(SALU_CYCLE_1) | instskip(NEXT) | instid1(VALU_DEP_1)
	v_or_b32_e32 v3, s0, v19
	v_cmpx_ne_u64_e32 0, v[2:3]
	s_xor_b32 s17, exec_lo, s17
	s_cbranch_execz .LBB92_50
; %bb.49:                               ;   in Loop: Header=BB92_24 Depth=2
	s_add_u32 s22, s52, s0
	s_mov_b32 s20, s0
	s_mov_b32 s21, s0
	s_addc_u32 s23, s0, s0
	s_delay_alu instid0(SALU_CYCLE_1) | instskip(NEXT) | instid1(SALU_CYCLE_1)
	s_xor_b64 s[22:23], s[22:23], s[20:21]
	v_cvt_f32_u32_e32 v3, s22
	v_cvt_f32_u32_e32 v5, s23
	s_sub_u32 s0, 0, s22
	s_subb_u32 s53, 0, s23
	s_delay_alu instid0(VALU_DEP_1) | instskip(NEXT) | instid1(VALU_DEP_1)
	v_fmac_f32_e32 v3, 0x4f800000, v5
	v_rcp_f32_e32 v3, v3
	s_waitcnt_depctr 0xfff
	v_mul_f32_e32 v3, 0x5f7ffffc, v3
	s_delay_alu instid0(VALU_DEP_1) | instskip(NEXT) | instid1(VALU_DEP_1)
	v_mul_f32_e32 v5, 0x2f800000, v3
	v_trunc_f32_e32 v5, v5
	s_delay_alu instid0(VALU_DEP_1) | instskip(SKIP_1) | instid1(VALU_DEP_2)
	v_fmac_f32_e32 v3, 0xcf800000, v5
	v_cvt_u32_f32_e32 v5, v5
	v_cvt_u32_f32_e32 v3, v3
	s_delay_alu instid0(VALU_DEP_2) | instskip(NEXT) | instid1(VALU_DEP_2)
	v_mul_lo_u32 v7, s0, v5
	v_mul_hi_u32 v9, s0, v3
	v_mul_lo_u32 v11, s53, v3
	s_delay_alu instid0(VALU_DEP_2) | instskip(SKIP_1) | instid1(VALU_DEP_2)
	v_add_nc_u32_e32 v7, v9, v7
	v_mul_lo_u32 v9, s0, v3
	v_add_nc_u32_e32 v7, v7, v11
	s_delay_alu instid0(VALU_DEP_2) | instskip(NEXT) | instid1(VALU_DEP_2)
	v_mul_hi_u32 v11, v3, v9
	v_mul_lo_u32 v13, v3, v7
	v_mul_hi_u32 v15, v3, v7
	v_mul_hi_u32 v17, v5, v9
	v_mul_lo_u32 v9, v5, v9
	v_mul_hi_u32 v20, v5, v7
	v_mul_lo_u32 v7, v5, v7
	v_add_co_u32 v11, vcc_lo, v11, v13
	v_add_co_ci_u32_e32 v13, vcc_lo, 0, v15, vcc_lo
	s_delay_alu instid0(VALU_DEP_2) | instskip(NEXT) | instid1(VALU_DEP_2)
	v_add_co_u32 v9, vcc_lo, v11, v9
	v_add_co_ci_u32_e32 v9, vcc_lo, v13, v17, vcc_lo
	v_add_co_ci_u32_e32 v11, vcc_lo, 0, v20, vcc_lo
	v_ashrrev_i32_e32 v17, 31, v19
	s_delay_alu instid0(VALU_DEP_3) | instskip(NEXT) | instid1(VALU_DEP_3)
	v_add_co_u32 v7, vcc_lo, v9, v7
	v_add_co_ci_u32_e32 v9, vcc_lo, 0, v11, vcc_lo
	s_delay_alu instid0(VALU_DEP_2) | instskip(NEXT) | instid1(VALU_DEP_2)
	v_add_co_u32 v3, vcc_lo, v3, v7
	v_add_co_ci_u32_e32 v5, vcc_lo, v5, v9, vcc_lo
	s_delay_alu instid0(VALU_DEP_2) | instskip(SKIP_1) | instid1(VALU_DEP_3)
	v_mul_hi_u32 v7, s0, v3
	v_mul_lo_u32 v11, s53, v3
	v_mul_lo_u32 v9, s0, v5
	s_delay_alu instid0(VALU_DEP_1) | instskip(SKIP_1) | instid1(VALU_DEP_2)
	v_add_nc_u32_e32 v7, v7, v9
	v_mul_lo_u32 v9, s0, v3
	v_add_nc_u32_e32 v7, v7, v11
	s_delay_alu instid0(VALU_DEP_2) | instskip(NEXT) | instid1(VALU_DEP_2)
	v_mul_hi_u32 v11, v3, v9
	v_mul_lo_u32 v13, v3, v7
	v_mul_hi_u32 v15, v3, v7
	v_mul_hi_u32 v20, v5, v9
	v_mul_lo_u32 v9, v5, v9
	v_mul_hi_u32 v21, v5, v7
	v_mul_lo_u32 v7, v5, v7
	v_add_co_u32 v11, vcc_lo, v11, v13
	v_add_co_ci_u32_e32 v13, vcc_lo, 0, v15, vcc_lo
	s_delay_alu instid0(VALU_DEP_2) | instskip(NEXT) | instid1(VALU_DEP_2)
	v_add_co_u32 v9, vcc_lo, v11, v9
	v_add_co_ci_u32_e32 v9, vcc_lo, v13, v20, vcc_lo
	v_add_co_ci_u32_e32 v11, vcc_lo, 0, v21, vcc_lo
	v_add_co_u32 v13, vcc_lo, v18, v17
	v_add_co_ci_u32_e32 v15, vcc_lo, v19, v17, vcc_lo
	s_delay_alu instid0(VALU_DEP_4) | instskip(NEXT) | instid1(VALU_DEP_4)
	v_add_co_u32 v7, vcc_lo, v9, v7
	v_add_co_ci_u32_e32 v9, vcc_lo, 0, v11, vcc_lo
	s_delay_alu instid0(VALU_DEP_4) | instskip(NEXT) | instid1(VALU_DEP_3)
	v_xor_b32_e32 v11, v13, v17
	v_add_co_u32 v3, vcc_lo, v3, v7
	s_delay_alu instid0(VALU_DEP_3) | instskip(SKIP_1) | instid1(VALU_DEP_3)
	v_add_co_ci_u32_e32 v5, vcc_lo, v5, v9, vcc_lo
	v_xor_b32_e32 v7, v15, v17
	v_mul_hi_u32 v9, v11, v3
	s_delay_alu instid0(VALU_DEP_3) | instskip(NEXT) | instid1(VALU_DEP_3)
	v_mad_u64_u32 v[19:20], null, v11, v5, 0
	v_mad_u64_u32 v[21:22], null, v7, v3, 0
	v_mad_u64_u32 v[27:28], null, v7, v5, 0
	s_delay_alu instid0(VALU_DEP_3) | instskip(NEXT) | instid1(VALU_DEP_4)
	v_add_co_u32 v3, vcc_lo, v9, v19
	v_add_co_ci_u32_e32 v5, vcc_lo, 0, v20, vcc_lo
	s_delay_alu instid0(VALU_DEP_2) | instskip(NEXT) | instid1(VALU_DEP_2)
	v_add_co_u32 v3, vcc_lo, v3, v21
	v_add_co_ci_u32_e32 v3, vcc_lo, v5, v22, vcc_lo
	v_add_co_ci_u32_e32 v5, vcc_lo, 0, v28, vcc_lo
	s_delay_alu instid0(VALU_DEP_2) | instskip(NEXT) | instid1(VALU_DEP_2)
	v_add_co_u32 v3, vcc_lo, v3, v27
	v_add_co_ci_u32_e32 v5, vcc_lo, 0, v5, vcc_lo
	s_delay_alu instid0(VALU_DEP_2) | instskip(SKIP_1) | instid1(VALU_DEP_3)
	v_mul_lo_u32 v9, s23, v3
	v_mad_u64_u32 v[19:20], null, s22, v3, 0
	v_mul_lo_u32 v13, s22, v5
	s_delay_alu instid0(VALU_DEP_2) | instskip(NEXT) | instid1(VALU_DEP_2)
	v_sub_co_u32 v11, vcc_lo, v11, v19
	v_add3_u32 v9, v20, v13, v9
	s_delay_alu instid0(VALU_DEP_1) | instskip(NEXT) | instid1(VALU_DEP_1)
	v_sub_nc_u32_e32 v13, v7, v9
	v_subrev_co_ci_u32_e64 v13, s0, s23, v13, vcc_lo
	v_add_co_u32 v15, s0, v3, 2
	s_delay_alu instid0(VALU_DEP_1) | instskip(SKIP_3) | instid1(VALU_DEP_3)
	v_add_co_ci_u32_e64 v19, s0, 0, v5, s0
	v_sub_co_u32 v20, s0, v11, s22
	v_sub_co_ci_u32_e32 v7, vcc_lo, v7, v9, vcc_lo
	v_subrev_co_ci_u32_e64 v13, s0, 0, v13, s0
	v_cmp_le_u32_e32 vcc_lo, s22, v20
	s_delay_alu instid0(VALU_DEP_3) | instskip(SKIP_1) | instid1(VALU_DEP_4)
	v_cmp_eq_u32_e64 s0, s23, v7
	v_cndmask_b32_e64 v9, 0, -1, vcc_lo
	v_cmp_le_u32_e32 vcc_lo, s23, v13
	v_cndmask_b32_e64 v20, 0, -1, vcc_lo
	v_cmp_le_u32_e32 vcc_lo, s22, v11
	;; [unrolled: 2-line block ×3, first 2 shown]
	v_cndmask_b32_e64 v21, 0, -1, vcc_lo
	v_cmp_eq_u32_e32 vcc_lo, s23, v13
	s_delay_alu instid0(VALU_DEP_2) | instskip(SKIP_3) | instid1(VALU_DEP_3)
	v_cndmask_b32_e64 v7, v21, v11, s0
	v_cndmask_b32_e32 v9, v20, v9, vcc_lo
	v_add_co_u32 v13, vcc_lo, v3, 1
	v_add_co_ci_u32_e32 v20, vcc_lo, 0, v5, vcc_lo
	v_cmp_ne_u32_e32 vcc_lo, 0, v9
	s_delay_alu instid0(VALU_DEP_2) | instskip(NEXT) | instid1(VALU_DEP_4)
	v_cndmask_b32_e32 v9, v20, v19, vcc_lo
	v_cndmask_b32_e32 v11, v13, v15, vcc_lo
	v_cmp_ne_u32_e32 vcc_lo, 0, v7
	v_xor_b32_e32 v7, s20, v17
	s_delay_alu instid0(VALU_DEP_3) | instskip(SKIP_2) | instid1(VALU_DEP_3)
	v_cndmask_b32_e32 v3, v3, v11, vcc_lo
	v_cndmask_b32_e32 v5, v5, v9, vcc_lo
	v_xor_b32_e32 v9, s21, v17
	v_xor_b32_e32 v3, v3, v7
	s_delay_alu instid0(VALU_DEP_2) | instskip(NEXT) | instid1(VALU_DEP_2)
	v_xor_b32_e32 v5, v5, v9
	v_sub_co_u32 v20, vcc_lo, v3, v7
	s_delay_alu instid0(VALU_DEP_2)
	v_sub_co_ci_u32_e32 v21, vcc_lo, v5, v9, vcc_lo
.LBB92_50:                              ;   in Loop: Header=BB92_24 Depth=2
	s_and_not1_saveexec_b32 s0, s17
	s_cbranch_execz .LBB92_52
; %bb.51:                               ;   in Loop: Header=BB92_24 Depth=2
	v_cvt_f32_u32_e32 v3, s52
	s_sub_i32 s17, 0, s52
	v_mov_b32_e32 v21, v2
	s_delay_alu instid0(VALU_DEP_2) | instskip(SKIP_2) | instid1(VALU_DEP_1)
	v_rcp_iflag_f32_e32 v3, v3
	s_waitcnt_depctr 0xfff
	v_mul_f32_e32 v3, 0x4f7ffffe, v3
	v_cvt_u32_f32_e32 v3, v3
	s_delay_alu instid0(VALU_DEP_1) | instskip(NEXT) | instid1(VALU_DEP_1)
	v_mul_lo_u32 v5, s17, v3
	v_mul_hi_u32 v5, v3, v5
	s_delay_alu instid0(VALU_DEP_1) | instskip(NEXT) | instid1(VALU_DEP_1)
	v_add_nc_u32_e32 v3, v3, v5
	v_mul_hi_u32 v3, v18, v3
	s_delay_alu instid0(VALU_DEP_1) | instskip(SKIP_1) | instid1(VALU_DEP_2)
	v_mul_lo_u32 v5, v3, s52
	v_add_nc_u32_e32 v7, 1, v3
	v_sub_nc_u32_e32 v5, v18, v5
	s_delay_alu instid0(VALU_DEP_1) | instskip(SKIP_1) | instid1(VALU_DEP_4)
	v_cmp_le_u32_e32 vcc_lo, s52, v5
	v_subrev_nc_u32_e32 v9, s52, v5
	v_cndmask_b32_e32 v3, v3, v7, vcc_lo
	s_delay_alu instid0(VALU_DEP_1) | instskip(NEXT) | instid1(VALU_DEP_3)
	v_add_nc_u32_e32 v7, 1, v3
	v_cndmask_b32_e32 v5, v5, v9, vcc_lo
	s_delay_alu instid0(VALU_DEP_1) | instskip(NEXT) | instid1(VALU_DEP_3)
	v_cmp_le_u32_e32 vcc_lo, s52, v5
	v_cndmask_b32_e32 v20, v3, v7, vcc_lo
.LBB92_52:                              ;   in Loop: Header=BB92_24 Depth=2
	s_or_b32 exec_lo, exec_lo, s0
	s_mov_b32 s17, s15
	s_add_u32 s20, s30, s18
	s_addc_u32 s21, s1, s19
	s_lshl_b64 s[18:19], s[16:17], 2
                                        ; implicit-def: $vgpr22_vgpr23
	s_delay_alu instid0(SALU_CYCLE_1)
	s_add_u32 s22, s26, s18
	s_addc_u32 s23, s27, s19
	s_clause 0x1
	s_load_b32 s53, s[22:23], 0x0
	s_load_b32 s17, s[20:21], 0x0
	s_mov_b32 s20, exec_lo
	s_waitcnt lgkmcnt(0)
	s_ashr_i32 s0, s53, 31
	s_delay_alu instid0(SALU_CYCLE_1) | instskip(NEXT) | instid1(VALU_DEP_1)
	v_or_b32_e32 v3, s0, v21
	v_cmpx_ne_u64_e32 0, v[2:3]
	s_xor_b32 s54, exec_lo, s20
	s_cbranch_execz .LBB92_54
; %bb.53:                               ;   in Loop: Header=BB92_24 Depth=2
	s_add_u32 s22, s53, s0
	s_mov_b32 s20, s0
	s_mov_b32 s21, s0
	s_addc_u32 s23, s0, s0
	s_delay_alu instid0(SALU_CYCLE_1) | instskip(NEXT) | instid1(SALU_CYCLE_1)
	s_xor_b64 s[22:23], s[22:23], s[20:21]
	v_cvt_f32_u32_e32 v3, s22
	v_cvt_f32_u32_e32 v5, s23
	s_sub_u32 s0, 0, s22
	s_subb_u32 s55, 0, s23
	s_delay_alu instid0(VALU_DEP_1) | instskip(NEXT) | instid1(VALU_DEP_1)
	v_fmac_f32_e32 v3, 0x4f800000, v5
	v_rcp_f32_e32 v3, v3
	s_waitcnt_depctr 0xfff
	v_mul_f32_e32 v3, 0x5f7ffffc, v3
	s_delay_alu instid0(VALU_DEP_1) | instskip(NEXT) | instid1(VALU_DEP_1)
	v_mul_f32_e32 v5, 0x2f800000, v3
	v_trunc_f32_e32 v5, v5
	s_delay_alu instid0(VALU_DEP_1) | instskip(SKIP_1) | instid1(VALU_DEP_2)
	v_fmac_f32_e32 v3, 0xcf800000, v5
	v_cvt_u32_f32_e32 v5, v5
	v_cvt_u32_f32_e32 v3, v3
	s_delay_alu instid0(VALU_DEP_2) | instskip(NEXT) | instid1(VALU_DEP_2)
	v_mul_lo_u32 v7, s0, v5
	v_mul_hi_u32 v9, s0, v3
	v_mul_lo_u32 v11, s55, v3
	s_delay_alu instid0(VALU_DEP_2) | instskip(SKIP_1) | instid1(VALU_DEP_2)
	v_add_nc_u32_e32 v7, v9, v7
	v_mul_lo_u32 v9, s0, v3
	v_add_nc_u32_e32 v7, v7, v11
	s_delay_alu instid0(VALU_DEP_2) | instskip(NEXT) | instid1(VALU_DEP_2)
	v_mul_hi_u32 v11, v3, v9
	v_mul_lo_u32 v13, v3, v7
	v_mul_hi_u32 v15, v3, v7
	v_mul_hi_u32 v17, v5, v9
	v_mul_lo_u32 v9, v5, v9
	v_mul_hi_u32 v19, v5, v7
	v_mul_lo_u32 v7, v5, v7
	v_add_co_u32 v11, vcc_lo, v11, v13
	v_add_co_ci_u32_e32 v13, vcc_lo, 0, v15, vcc_lo
	s_delay_alu instid0(VALU_DEP_2) | instskip(NEXT) | instid1(VALU_DEP_2)
	v_add_co_u32 v9, vcc_lo, v11, v9
	v_add_co_ci_u32_e32 v9, vcc_lo, v13, v17, vcc_lo
	v_add_co_ci_u32_e32 v11, vcc_lo, 0, v19, vcc_lo
	v_ashrrev_i32_e32 v17, 31, v21
	s_delay_alu instid0(VALU_DEP_3) | instskip(NEXT) | instid1(VALU_DEP_3)
	v_add_co_u32 v7, vcc_lo, v9, v7
	v_add_co_ci_u32_e32 v9, vcc_lo, 0, v11, vcc_lo
	s_delay_alu instid0(VALU_DEP_2) | instskip(NEXT) | instid1(VALU_DEP_2)
	v_add_co_u32 v3, vcc_lo, v3, v7
	v_add_co_ci_u32_e32 v5, vcc_lo, v5, v9, vcc_lo
	s_delay_alu instid0(VALU_DEP_2) | instskip(SKIP_1) | instid1(VALU_DEP_3)
	v_mul_hi_u32 v7, s0, v3
	v_mul_lo_u32 v11, s55, v3
	v_mul_lo_u32 v9, s0, v5
	s_delay_alu instid0(VALU_DEP_1) | instskip(SKIP_1) | instid1(VALU_DEP_2)
	v_add_nc_u32_e32 v7, v7, v9
	v_mul_lo_u32 v9, s0, v3
	v_add_nc_u32_e32 v7, v7, v11
	s_delay_alu instid0(VALU_DEP_2) | instskip(NEXT) | instid1(VALU_DEP_2)
	v_mul_hi_u32 v11, v3, v9
	v_mul_lo_u32 v13, v3, v7
	v_mul_hi_u32 v15, v3, v7
	v_mul_hi_u32 v19, v5, v9
	v_mul_lo_u32 v9, v5, v9
	v_mul_hi_u32 v22, v5, v7
	v_mul_lo_u32 v7, v5, v7
	v_add_co_u32 v11, vcc_lo, v11, v13
	v_add_co_ci_u32_e32 v13, vcc_lo, 0, v15, vcc_lo
	s_delay_alu instid0(VALU_DEP_2) | instskip(NEXT) | instid1(VALU_DEP_2)
	v_add_co_u32 v9, vcc_lo, v11, v9
	v_add_co_ci_u32_e32 v9, vcc_lo, v13, v19, vcc_lo
	v_add_co_ci_u32_e32 v11, vcc_lo, 0, v22, vcc_lo
	v_add_co_u32 v13, vcc_lo, v20, v17
	v_add_co_ci_u32_e32 v15, vcc_lo, v21, v17, vcc_lo
	s_delay_alu instid0(VALU_DEP_4) | instskip(NEXT) | instid1(VALU_DEP_4)
	v_add_co_u32 v7, vcc_lo, v9, v7
	v_add_co_ci_u32_e32 v9, vcc_lo, 0, v11, vcc_lo
	s_delay_alu instid0(VALU_DEP_4) | instskip(NEXT) | instid1(VALU_DEP_3)
	v_xor_b32_e32 v11, v13, v17
	v_add_co_u32 v3, vcc_lo, v3, v7
	s_delay_alu instid0(VALU_DEP_3) | instskip(SKIP_1) | instid1(VALU_DEP_3)
	v_add_co_ci_u32_e32 v5, vcc_lo, v5, v9, vcc_lo
	v_xor_b32_e32 v7, v15, v17
	v_mul_hi_u32 v9, v11, v3
	s_delay_alu instid0(VALU_DEP_3) | instskip(NEXT) | instid1(VALU_DEP_3)
	v_mad_u64_u32 v[21:22], null, v11, v5, 0
	v_mad_u64_u32 v[27:28], null, v7, v3, 0
	;; [unrolled: 1-line block ×3, first 2 shown]
	s_delay_alu instid0(VALU_DEP_3) | instskip(NEXT) | instid1(VALU_DEP_4)
	v_add_co_u32 v3, vcc_lo, v9, v21
	v_add_co_ci_u32_e32 v5, vcc_lo, 0, v22, vcc_lo
	s_delay_alu instid0(VALU_DEP_2) | instskip(NEXT) | instid1(VALU_DEP_2)
	v_add_co_u32 v3, vcc_lo, v3, v27
	v_add_co_ci_u32_e32 v3, vcc_lo, v5, v28, vcc_lo
	v_add_co_ci_u32_e32 v5, vcc_lo, 0, v30, vcc_lo
	s_delay_alu instid0(VALU_DEP_2) | instskip(NEXT) | instid1(VALU_DEP_2)
	v_add_co_u32 v3, vcc_lo, v3, v29
	v_add_co_ci_u32_e32 v5, vcc_lo, 0, v5, vcc_lo
	s_delay_alu instid0(VALU_DEP_2) | instskip(SKIP_1) | instid1(VALU_DEP_3)
	v_mul_lo_u32 v9, s23, v3
	v_mad_u64_u32 v[21:22], null, s22, v3, 0
	v_mul_lo_u32 v13, s22, v5
	s_delay_alu instid0(VALU_DEP_2) | instskip(NEXT) | instid1(VALU_DEP_2)
	v_sub_co_u32 v11, vcc_lo, v11, v21
	v_add3_u32 v9, v22, v13, v9
	s_delay_alu instid0(VALU_DEP_1) | instskip(NEXT) | instid1(VALU_DEP_1)
	v_sub_nc_u32_e32 v13, v7, v9
	v_subrev_co_ci_u32_e64 v13, s0, s23, v13, vcc_lo
	v_add_co_u32 v15, s0, v3, 2
	s_delay_alu instid0(VALU_DEP_1) | instskip(SKIP_3) | instid1(VALU_DEP_3)
	v_add_co_ci_u32_e64 v19, s0, 0, v5, s0
	v_sub_co_u32 v21, s0, v11, s22
	v_sub_co_ci_u32_e32 v7, vcc_lo, v7, v9, vcc_lo
	v_subrev_co_ci_u32_e64 v13, s0, 0, v13, s0
	v_cmp_le_u32_e32 vcc_lo, s22, v21
	s_delay_alu instid0(VALU_DEP_3) | instskip(SKIP_1) | instid1(VALU_DEP_4)
	v_cmp_eq_u32_e64 s0, s23, v7
	v_cndmask_b32_e64 v9, 0, -1, vcc_lo
	v_cmp_le_u32_e32 vcc_lo, s23, v13
	v_cndmask_b32_e64 v21, 0, -1, vcc_lo
	v_cmp_le_u32_e32 vcc_lo, s22, v11
	;; [unrolled: 2-line block ×3, first 2 shown]
	v_cndmask_b32_e64 v22, 0, -1, vcc_lo
	v_cmp_eq_u32_e32 vcc_lo, s23, v13
	s_delay_alu instid0(VALU_DEP_2) | instskip(SKIP_3) | instid1(VALU_DEP_3)
	v_cndmask_b32_e64 v7, v22, v11, s0
	v_cndmask_b32_e32 v9, v21, v9, vcc_lo
	v_add_co_u32 v13, vcc_lo, v3, 1
	v_add_co_ci_u32_e32 v21, vcc_lo, 0, v5, vcc_lo
	v_cmp_ne_u32_e32 vcc_lo, 0, v9
	s_delay_alu instid0(VALU_DEP_2) | instskip(NEXT) | instid1(VALU_DEP_4)
	v_cndmask_b32_e32 v9, v21, v19, vcc_lo
	v_cndmask_b32_e32 v11, v13, v15, vcc_lo
	v_cmp_ne_u32_e32 vcc_lo, 0, v7
	v_xor_b32_e32 v7, s20, v17
	s_delay_alu instid0(VALU_DEP_3) | instskip(SKIP_2) | instid1(VALU_DEP_3)
	v_cndmask_b32_e32 v3, v3, v11, vcc_lo
	v_cndmask_b32_e32 v5, v5, v9, vcc_lo
	v_xor_b32_e32 v9, s21, v17
	v_xor_b32_e32 v3, v3, v7
	s_delay_alu instid0(VALU_DEP_2) | instskip(NEXT) | instid1(VALU_DEP_2)
	v_xor_b32_e32 v5, v5, v9
	v_sub_co_u32 v22, vcc_lo, v3, v7
	s_delay_alu instid0(VALU_DEP_2)
	v_sub_co_ci_u32_e32 v23, vcc_lo, v5, v9, vcc_lo
.LBB92_54:                              ;   in Loop: Header=BB92_24 Depth=2
	s_and_not1_saveexec_b32 s0, s54
	s_cbranch_execz .LBB92_56
; %bb.55:                               ;   in Loop: Header=BB92_24 Depth=2
	v_cvt_f32_u32_e32 v3, s53
	s_sub_i32 s20, 0, s53
	v_mov_b32_e32 v23, v2
	s_delay_alu instid0(VALU_DEP_2) | instskip(SKIP_2) | instid1(VALU_DEP_1)
	v_rcp_iflag_f32_e32 v3, v3
	s_waitcnt_depctr 0xfff
	v_mul_f32_e32 v3, 0x4f7ffffe, v3
	v_cvt_u32_f32_e32 v3, v3
	s_delay_alu instid0(VALU_DEP_1) | instskip(NEXT) | instid1(VALU_DEP_1)
	v_mul_lo_u32 v5, s20, v3
	v_mul_hi_u32 v5, v3, v5
	s_delay_alu instid0(VALU_DEP_1) | instskip(NEXT) | instid1(VALU_DEP_1)
	v_add_nc_u32_e32 v3, v3, v5
	v_mul_hi_u32 v3, v20, v3
	s_delay_alu instid0(VALU_DEP_1) | instskip(SKIP_1) | instid1(VALU_DEP_2)
	v_mul_lo_u32 v5, v3, s53
	v_add_nc_u32_e32 v7, 1, v3
	v_sub_nc_u32_e32 v5, v20, v5
	s_delay_alu instid0(VALU_DEP_1) | instskip(SKIP_1) | instid1(VALU_DEP_4)
	v_cmp_le_u32_e32 vcc_lo, s53, v5
	v_subrev_nc_u32_e32 v9, s53, v5
	v_cndmask_b32_e32 v3, v3, v7, vcc_lo
	s_delay_alu instid0(VALU_DEP_1) | instskip(NEXT) | instid1(VALU_DEP_3)
	v_add_nc_u32_e32 v7, 1, v3
	v_cndmask_b32_e32 v5, v5, v9, vcc_lo
	s_delay_alu instid0(VALU_DEP_1) | instskip(NEXT) | instid1(VALU_DEP_3)
	v_cmp_le_u32_e32 vcc_lo, s53, v5
	v_cndmask_b32_e32 v22, v3, v7, vcc_lo
.LBB92_56:                              ;   in Loop: Header=BB92_24 Depth=2
	s_or_b32 exec_lo, exec_lo, s0
	v_mul_lo_u32 v3, v8, s41
	v_mul_lo_u32 v5, v10, s43
	;; [unrolled: 1-line block ×4, first 2 shown]
	s_add_u32 s18, s30, s18
	s_addc_u32 s19, s1, s19
	v_mul_lo_u32 v11, v16, s49
	s_load_b32 s0, s[18:19], 0x0
	v_sub_nc_u32_e32 v3, v6, v3
	v_sub_nc_u32_e32 v5, v8, v5
	v_mul_lo_u32 v6, v18, s51
	v_sub_nc_u32_e32 v7, v10, v7
	v_sub_nc_u32_e32 v9, v12, v9
	v_mul_lo_u32 v3, s42, v3
	v_mul_lo_u32 v5, s44, v5
	;; [unrolled: 1-line block ×4, first 2 shown]
	v_sub_nc_u32_e32 v11, v14, v11
	v_sub_nc_u32_e32 v6, v16, v6
	v_mul_lo_u32 v7, s46, v7
	v_mul_lo_u32 v9, s48, v9
	s_add_i32 s16, s16, -8
	v_add3_u32 v3, v3, v4, v5
	v_mul_lo_u32 v4, s50, v11
	v_sub_nc_u32_e32 v5, v18, v8
	v_sub_nc_u32_e32 v8, v20, v10
	v_mul_lo_u32 v6, s14, v6
	s_cmp_eq_u32 s16, -8
	v_add3_u32 v3, v7, v3, v9
	v_mul_lo_u32 v5, s17, v5
	s_waitcnt lgkmcnt(0)
	v_mul_lo_u32 v7, s0, v8
	s_delay_alu instid0(VALU_DEP_3) | instskip(NEXT) | instid1(VALU_DEP_1)
	v_add3_u32 v3, v4, v3, v6
	v_add3_u32 v4, v5, v3, v7
	s_cbranch_scc1 .LBB92_58
; %bb.57:                               ;   in Loop: Header=BB92_24 Depth=2
	v_dual_mov_b32 v6, v22 :: v_dual_mov_b32 v7, v23
	s_branch .LBB92_24
.LBB92_58:                              ;   in Loop: Header=BB92_3 Depth=1
	s_load_b32 s0, s[12:13], 0x0
	s_waitcnt lgkmcnt(0)
	v_cmp_gt_i32_e32 vcc_lo, s0, v26
	s_and_b32 exec_lo, exec_lo, vcc_lo
	s_cbranch_execz .LBB92_2
; %bb.59:                               ;   in Loop: Header=BB92_3 Depth=1
	s_delay_alu instid0(VALU_DEP_2) | instskip(SKIP_1) | instid1(VALU_DEP_2)
	v_ashrrev_i32_e32 v5, 31, v4
	v_add_nc_u32_e32 v3, 1, v26
	v_lshlrev_b64 v[5:6], 1, v[4:5]
	s_delay_alu instid0(VALU_DEP_1) | instskip(NEXT) | instid1(VALU_DEP_2)
	v_add_co_u32 v5, vcc_lo, s2, v5
	v_add_co_ci_u32_e32 v6, vcc_lo, s3, v6, vcc_lo
	s_delay_alu instid0(VALU_DEP_4)
	v_cmp_gt_i32_e32 vcc_lo, s0, v3
	global_store_b16 v[5:6], v2, off
	s_and_b32 exec_lo, exec_lo, vcc_lo
	s_cbranch_execz .LBB92_2
; %bb.60:                               ;   in Loop: Header=BB92_3 Depth=1
	v_sub_nc_u32_e32 v5, v3, v25
	s_mov_b32 s14, exec_lo
	s_delay_alu instid0(VALU_DEP_1) | instskip(NEXT) | instid1(VALU_DEP_1)
	v_ashrrev_i32_e32 v6, 31, v5
	v_cmpx_gt_i64_e64 s[4:5], v[5:6]
	s_cbranch_execz .LBB92_62
; %bb.61:                               ;   in Loop: Header=BB92_3 Depth=1
	v_add_nc_u32_e32 v5, s40, v4
	s_delay_alu instid0(VALU_DEP_1) | instskip(NEXT) | instid1(VALU_DEP_1)
	v_ashrrev_i32_e32 v6, 31, v5
	v_lshlrev_b64 v[5:6], 1, v[5:6]
	s_delay_alu instid0(VALU_DEP_1) | instskip(NEXT) | instid1(VALU_DEP_2)
	v_add_co_u32 v5, vcc_lo, s2, v5
	v_add_co_ci_u32_e32 v6, vcc_lo, s3, v6, vcc_lo
	global_store_b16 v[5:6], v2, off
.LBB92_62:                              ;   in Loop: Header=BB92_3 Depth=1
	s_or_b32 exec_lo, exec_lo, s14
	v_add_nc_u32_e32 v3, 2, v26
	s_delay_alu instid0(VALU_DEP_1)
	v_cmp_gt_i32_e32 vcc_lo, s0, v3
	s_and_b32 exec_lo, exec_lo, vcc_lo
	s_cbranch_execz .LBB92_2
; %bb.63:                               ;   in Loop: Header=BB92_3 Depth=1
	v_sub_nc_u32_e32 v5, v3, v25
	s_mov_b32 s14, exec_lo
	s_delay_alu instid0(VALU_DEP_1) | instskip(NEXT) | instid1(VALU_DEP_1)
	v_ashrrev_i32_e32 v6, 31, v5
	v_cmpx_gt_i64_e64 s[4:5], v[5:6]
	s_cbranch_execz .LBB92_65
; %bb.64:                               ;   in Loop: Header=BB92_3 Depth=1
	v_lshl_add_u32 v5, s40, 1, v4
	s_delay_alu instid0(VALU_DEP_1) | instskip(NEXT) | instid1(VALU_DEP_1)
	v_ashrrev_i32_e32 v6, 31, v5
	v_lshlrev_b64 v[5:6], 1, v[5:6]
	s_delay_alu instid0(VALU_DEP_1) | instskip(NEXT) | instid1(VALU_DEP_2)
	v_add_co_u32 v5, vcc_lo, s2, v5
	v_add_co_ci_u32_e32 v6, vcc_lo, s3, v6, vcc_lo
	global_store_b16 v[5:6], v2, off
.LBB92_65:                              ;   in Loop: Header=BB92_3 Depth=1
	s_or_b32 exec_lo, exec_lo, s14
	v_add_nc_u32_e32 v3, 3, v26
	s_delay_alu instid0(VALU_DEP_1)
	v_cmp_gt_i32_e32 vcc_lo, s0, v3
	s_and_b32 exec_lo, exec_lo, vcc_lo
	s_cbranch_execz .LBB92_2
; %bb.66:                               ;   in Loop: Header=BB92_3 Depth=1
	v_sub_nc_u32_e32 v5, v3, v25
	s_delay_alu instid0(VALU_DEP_1) | instskip(NEXT) | instid1(VALU_DEP_1)
	v_ashrrev_i32_e32 v6, 31, v5
	v_cmp_gt_i64_e32 vcc_lo, s[4:5], v[5:6]
	s_and_b32 exec_lo, exec_lo, vcc_lo
	s_cbranch_execz .LBB92_2
; %bb.67:                               ;   in Loop: Header=BB92_3 Depth=1
	v_mad_u64_u32 v[5:6], null, s40, 3, v[4:5]
	s_delay_alu instid0(VALU_DEP_1) | instskip(NEXT) | instid1(VALU_DEP_1)
	v_ashrrev_i32_e32 v6, 31, v5
	v_lshlrev_b64 v[3:4], 1, v[5:6]
	s_delay_alu instid0(VALU_DEP_1) | instskip(NEXT) | instid1(VALU_DEP_2)
	v_add_co_u32 v3, vcc_lo, s2, v3
	v_add_co_ci_u32_e32 v4, vcc_lo, s3, v4, vcc_lo
	global_store_b16 v[3:4], v2, off
	s_branch .LBB92_2
.LBB92_68:
	s_nop 0
	s_sendmsg sendmsg(MSG_DEALLOC_VGPRS)
	s_endpgm
	.section	.rodata,"a",@progbits
	.p2align	6, 0x0
	.amdhsa_kernel _ZN2at6native16triu_tril_kernelIN3c104HalfEiLb1ELi4ELb1EEEvNS_4cuda6detail10TensorInfoIT_T0_EENS6_IKS7_S8_EEllS8_
		.amdhsa_group_segment_fixed_size 0
		.amdhsa_private_segment_fixed_size 0
		.amdhsa_kernarg_size 712
		.amdhsa_user_sgpr_count 15
		.amdhsa_user_sgpr_dispatch_ptr 0
		.amdhsa_user_sgpr_queue_ptr 0
		.amdhsa_user_sgpr_kernarg_segment_ptr 1
		.amdhsa_user_sgpr_dispatch_id 0
		.amdhsa_user_sgpr_private_segment_size 0
		.amdhsa_wavefront_size32 1
		.amdhsa_uses_dynamic_stack 0
		.amdhsa_enable_private_segment 0
		.amdhsa_system_sgpr_workgroup_id_x 1
		.amdhsa_system_sgpr_workgroup_id_y 0
		.amdhsa_system_sgpr_workgroup_id_z 0
		.amdhsa_system_sgpr_workgroup_info 0
		.amdhsa_system_vgpr_workitem_id 0
		.amdhsa_next_free_vgpr 31
		.amdhsa_next_free_sgpr 56
		.amdhsa_reserve_vcc 1
		.amdhsa_float_round_mode_32 0
		.amdhsa_float_round_mode_16_64 0
		.amdhsa_float_denorm_mode_32 3
		.amdhsa_float_denorm_mode_16_64 3
		.amdhsa_dx10_clamp 1
		.amdhsa_ieee_mode 1
		.amdhsa_fp16_overflow 0
		.amdhsa_workgroup_processor_mode 1
		.amdhsa_memory_ordered 1
		.amdhsa_forward_progress 0
		.amdhsa_shared_vgpr_count 0
		.amdhsa_exception_fp_ieee_invalid_op 0
		.amdhsa_exception_fp_denorm_src 0
		.amdhsa_exception_fp_ieee_div_zero 0
		.amdhsa_exception_fp_ieee_overflow 0
		.amdhsa_exception_fp_ieee_underflow 0
		.amdhsa_exception_fp_ieee_inexact 0
		.amdhsa_exception_int_div_zero 0
	.end_amdhsa_kernel
	.section	.text._ZN2at6native16triu_tril_kernelIN3c104HalfEiLb1ELi4ELb1EEEvNS_4cuda6detail10TensorInfoIT_T0_EENS6_IKS7_S8_EEllS8_,"axG",@progbits,_ZN2at6native16triu_tril_kernelIN3c104HalfEiLb1ELi4ELb1EEEvNS_4cuda6detail10TensorInfoIT_T0_EENS6_IKS7_S8_EEllS8_,comdat
.Lfunc_end92:
	.size	_ZN2at6native16triu_tril_kernelIN3c104HalfEiLb1ELi4ELb1EEEvNS_4cuda6detail10TensorInfoIT_T0_EENS6_IKS7_S8_EEllS8_, .Lfunc_end92-_ZN2at6native16triu_tril_kernelIN3c104HalfEiLb1ELi4ELb1EEEvNS_4cuda6detail10TensorInfoIT_T0_EENS6_IKS7_S8_EEllS8_
                                        ; -- End function
	.section	.AMDGPU.csdata,"",@progbits
; Kernel info:
; codeLenInByte = 12580
; NumSgprs: 58
; NumVgprs: 31
; ScratchSize: 0
; MemoryBound: 0
; FloatMode: 240
; IeeeMode: 1
; LDSByteSize: 0 bytes/workgroup (compile time only)
; SGPRBlocks: 7
; VGPRBlocks: 3
; NumSGPRsForWavesPerEU: 58
; NumVGPRsForWavesPerEU: 31
; Occupancy: 16
; WaveLimiterHint : 0
; COMPUTE_PGM_RSRC2:SCRATCH_EN: 0
; COMPUTE_PGM_RSRC2:USER_SGPR: 15
; COMPUTE_PGM_RSRC2:TRAP_HANDLER: 0
; COMPUTE_PGM_RSRC2:TGID_X_EN: 1
; COMPUTE_PGM_RSRC2:TGID_Y_EN: 0
; COMPUTE_PGM_RSRC2:TGID_Z_EN: 0
; COMPUTE_PGM_RSRC2:TIDIG_COMP_CNT: 0
	.section	.text._ZN2at6native16triu_tril_kernelIN3c104HalfEiLb1ELi4ELb0EEEvNS_4cuda6detail10TensorInfoIT_T0_EENS6_IKS7_S8_EEllS8_,"axG",@progbits,_ZN2at6native16triu_tril_kernelIN3c104HalfEiLb1ELi4ELb0EEEvNS_4cuda6detail10TensorInfoIT_T0_EENS6_IKS7_S8_EEllS8_,comdat
	.protected	_ZN2at6native16triu_tril_kernelIN3c104HalfEiLb1ELi4ELb0EEEvNS_4cuda6detail10TensorInfoIT_T0_EENS6_IKS7_S8_EEllS8_ ; -- Begin function _ZN2at6native16triu_tril_kernelIN3c104HalfEiLb1ELi4ELb0EEEvNS_4cuda6detail10TensorInfoIT_T0_EENS6_IKS7_S8_EEllS8_
	.globl	_ZN2at6native16triu_tril_kernelIN3c104HalfEiLb1ELi4ELb0EEEvNS_4cuda6detail10TensorInfoIT_T0_EENS6_IKS7_S8_EEllS8_
	.p2align	8
	.type	_ZN2at6native16triu_tril_kernelIN3c104HalfEiLb1ELi4ELb0EEEvNS_4cuda6detail10TensorInfoIT_T0_EENS6_IKS7_S8_EEllS8_,@function
_ZN2at6native16triu_tril_kernelIN3c104HalfEiLb1ELi4ELb0EEEvNS_4cuda6detail10TensorInfoIT_T0_EENS6_IKS7_S8_EEllS8_: ; @_ZN2at6native16triu_tril_kernelIN3c104HalfEiLb1ELi4ELb0EEEvNS_4cuda6detail10TensorInfoIT_T0_EENS6_IKS7_S8_EEllS8_
; %bb.0:
	s_clause 0x1
	s_load_b32 s2, s[0:1], 0x1d4
	s_load_b128 s[4:7], s[0:1], 0x1b0
	v_mov_b32_e32 v2, 0
	s_add_u32 s8, s0, 0x1c8
	s_addc_u32 s9, s1, 0
	s_delay_alu instid0(VALU_DEP_1) | instskip(SKIP_3) | instid1(VALU_DEP_1)
	v_mov_b32_e32 v1, v2
	s_waitcnt lgkmcnt(0)
	s_and_b32 s10, s2, 0xffff
	s_mov_b32 s2, exec_lo
	v_mad_u64_u32 v[3:4], null, s10, s15, v[0:1]
	s_delay_alu instid0(VALU_DEP_1) | instskip(NEXT) | instid1(VALU_DEP_1)
	v_lshlrev_b64 v[0:1], 2, v[3:4]
	v_cmpx_gt_i64_e64 s[6:7], v[0:1]
	s_cbranch_execz .LBB93_55
; %bb.1:
	s_clause 0x1
	s_load_b32 s16, s[0:1], 0x1a8
	s_load_b32 s30, s[0:1], 0x1c0
	s_add_u32 s31, s0, 0xd8
	s_addc_u32 s33, s1, 0
	s_load_b32 s11, s[8:9], 0x0
	s_load_b64 s[2:3], s[0:1], 0xd8
	s_waitcnt lgkmcnt(0)
	s_ashr_i32 s17, s16, 31
	s_ashr_i32 s34, s30, 31
	s_lshl_b64 s[8:9], s[16:17], 2
	v_cvt_f32_u32_e32 v3, s30
	s_add_u32 s14, s8, -8
	s_addc_u32 s15, s9, -1
	s_add_u32 s12, s31, s14
	s_addc_u32 s13, s33, s15
	v_rcp_iflag_f32_e32 v3, v3
	s_load_b64 s[8:9], s[12:13], 0x8
	s_mul_i32 s18, s11, s10
	s_load_b64 s[10:11], s[12:13], 0x6c
	s_waitcnt_depctr 0xfff
	v_mul_f32_e32 v3, 0x4f7ffffe, v3
	s_delay_alu instid0(VALU_DEP_1)
	v_cvt_u32_f32_e32 v3, v3
	s_waitcnt lgkmcnt(0)
	s_ashr_i32 s35, s8, 31
	s_add_u32 s36, s0, 0x6c
	s_addc_u32 s37, s1, 0
	s_add_u32 s12, s36, s14
	s_addc_u32 s13, s37, s15
	s_and_b32 s39, s16, 3
	s_add_i32 s38, s16, -3
	s_lshl_b32 s40, s18, 2
	s_cmp_lg_u32 s39, 2
	s_load_b64 s[12:13], s[12:13], 0x0
	s_cselect_b32 s41, -1, 0
	s_cmp_gt_u32 s38, 2
	s_mov_b32 s18, s11
	s_cselect_b32 s42, -1, 0
	s_sub_i32 s14, 0, s30
	s_ashr_i32 s19, s11, 31
	v_mul_lo_u32 v4, s14, v3
	s_load_b64 s[14:15], s[0:1], 0x0
	v_cmp_gt_i64_e64 s1, s[16:17], 2
	s_mov_b32 s17, 0
	s_mov_b32 s11, 0
	s_delay_alu instid0(VALU_DEP_2) | instskip(SKIP_3) | instid1(VALU_DEP_1)
	v_mul_hi_u32 v4, v3, v4
	s_waitcnt lgkmcnt(0)
	s_ashr_i32 s21, s13, 31
	s_mov_b32 s20, s13
	v_add_nc_u32_e32 v18, v3, v4
	s_branch .LBB93_3
.LBB93_2:                               ;   in Loop: Header=BB93_3 Depth=1
	s_or_b32 exec_lo, exec_lo, s0
	v_add_co_u32 v0, vcc_lo, v0, s40
	v_add_co_ci_u32_e32 v1, vcc_lo, 0, v1, vcc_lo
	s_delay_alu instid0(VALU_DEP_1) | instskip(SKIP_1) | instid1(SALU_CYCLE_1)
	v_cmp_le_i64_e32 vcc_lo, s[6:7], v[0:1]
	s_or_b32 s11, vcc_lo, s11
	s_and_not1_b32 exec_lo, exec_lo, s11
	s_cbranch_execz .LBB93_55
.LBB93_3:                               ; =>This Loop Header: Depth=1
                                        ;     Child Loop BB93_14 Depth 2
                                        ;     Child Loop BB93_22 Depth 2
	v_or_b32_e32 v3, s34, v1
                                        ; implicit-def: $vgpr4_vgpr5
	s_mov_b32 s0, exec_lo
	s_delay_alu instid0(VALU_DEP_1)
	v_cmpx_ne_u64_e32 0, v[2:3]
	s_xor_b32 s13, exec_lo, s0
	s_cbranch_execz .LBB93_5
; %bb.4:                                ;   in Loop: Header=BB93_3 Depth=1
	s_add_u32 s24, s30, s34
	s_mov_b32 s22, s34
	s_mov_b32 s23, s34
	s_addc_u32 s25, s34, s34
	s_delay_alu instid0(SALU_CYCLE_1) | instskip(NEXT) | instid1(SALU_CYCLE_1)
	s_xor_b64 s[24:25], s[24:25], s[22:23]
	v_cvt_f32_u32_e32 v3, s24
	v_cvt_f32_u32_e32 v4, s25
	s_sub_u32 s0, 0, s24
	s_subb_u32 s16, 0, s25
	s_delay_alu instid0(VALU_DEP_1) | instskip(NEXT) | instid1(VALU_DEP_1)
	v_fmac_f32_e32 v3, 0x4f800000, v4
	v_rcp_f32_e32 v3, v3
	s_waitcnt_depctr 0xfff
	v_mul_f32_e32 v3, 0x5f7ffffc, v3
	s_delay_alu instid0(VALU_DEP_1) | instskip(NEXT) | instid1(VALU_DEP_1)
	v_mul_f32_e32 v4, 0x2f800000, v3
	v_trunc_f32_e32 v4, v4
	s_delay_alu instid0(VALU_DEP_1) | instskip(SKIP_1) | instid1(VALU_DEP_2)
	v_fmac_f32_e32 v3, 0xcf800000, v4
	v_cvt_u32_f32_e32 v4, v4
	v_cvt_u32_f32_e32 v3, v3
	s_delay_alu instid0(VALU_DEP_2) | instskip(NEXT) | instid1(VALU_DEP_2)
	v_mul_lo_u32 v5, s0, v4
	v_mul_hi_u32 v6, s0, v3
	v_mul_lo_u32 v7, s16, v3
	s_delay_alu instid0(VALU_DEP_2) | instskip(SKIP_1) | instid1(VALU_DEP_2)
	v_add_nc_u32_e32 v5, v6, v5
	v_mul_lo_u32 v6, s0, v3
	v_add_nc_u32_e32 v5, v5, v7
	s_delay_alu instid0(VALU_DEP_2) | instskip(NEXT) | instid1(VALU_DEP_2)
	v_mul_hi_u32 v7, v3, v6
	v_mul_lo_u32 v8, v3, v5
	v_mul_hi_u32 v9, v3, v5
	v_mul_hi_u32 v10, v4, v6
	v_mul_lo_u32 v6, v4, v6
	v_mul_hi_u32 v11, v4, v5
	v_mul_lo_u32 v5, v4, v5
	v_add_co_u32 v7, vcc_lo, v7, v8
	v_add_co_ci_u32_e32 v8, vcc_lo, 0, v9, vcc_lo
	s_delay_alu instid0(VALU_DEP_2) | instskip(NEXT) | instid1(VALU_DEP_2)
	v_add_co_u32 v6, vcc_lo, v7, v6
	v_add_co_ci_u32_e32 v6, vcc_lo, v8, v10, vcc_lo
	v_add_co_ci_u32_e32 v7, vcc_lo, 0, v11, vcc_lo
	v_ashrrev_i32_e32 v10, 31, v1
	s_delay_alu instid0(VALU_DEP_3) | instskip(NEXT) | instid1(VALU_DEP_3)
	v_add_co_u32 v5, vcc_lo, v6, v5
	v_add_co_ci_u32_e32 v6, vcc_lo, 0, v7, vcc_lo
	s_delay_alu instid0(VALU_DEP_2) | instskip(NEXT) | instid1(VALU_DEP_2)
	v_add_co_u32 v3, vcc_lo, v3, v5
	v_add_co_ci_u32_e32 v4, vcc_lo, v4, v6, vcc_lo
	s_delay_alu instid0(VALU_DEP_2) | instskip(SKIP_1) | instid1(VALU_DEP_3)
	v_mul_hi_u32 v5, s0, v3
	v_mul_lo_u32 v7, s16, v3
	v_mul_lo_u32 v6, s0, v4
	s_delay_alu instid0(VALU_DEP_1) | instskip(SKIP_1) | instid1(VALU_DEP_2)
	v_add_nc_u32_e32 v5, v5, v6
	v_mul_lo_u32 v6, s0, v3
	v_add_nc_u32_e32 v5, v5, v7
	s_delay_alu instid0(VALU_DEP_2) | instskip(NEXT) | instid1(VALU_DEP_2)
	v_mul_hi_u32 v7, v3, v6
	v_mul_lo_u32 v8, v3, v5
	v_mul_hi_u32 v9, v3, v5
	v_mul_hi_u32 v11, v4, v6
	v_mul_lo_u32 v6, v4, v6
	v_mul_hi_u32 v12, v4, v5
	v_mul_lo_u32 v5, v4, v5
	v_add_co_u32 v7, vcc_lo, v7, v8
	v_add_co_ci_u32_e32 v8, vcc_lo, 0, v9, vcc_lo
	s_delay_alu instid0(VALU_DEP_2) | instskip(NEXT) | instid1(VALU_DEP_2)
	v_add_co_u32 v6, vcc_lo, v7, v6
	v_add_co_ci_u32_e32 v6, vcc_lo, v8, v11, vcc_lo
	v_add_co_ci_u32_e32 v7, vcc_lo, 0, v12, vcc_lo
	v_add_co_u32 v8, vcc_lo, v0, v10
	v_add_co_ci_u32_e32 v9, vcc_lo, v1, v10, vcc_lo
	s_delay_alu instid0(VALU_DEP_4) | instskip(NEXT) | instid1(VALU_DEP_4)
	v_add_co_u32 v5, vcc_lo, v6, v5
	v_add_co_ci_u32_e32 v6, vcc_lo, 0, v7, vcc_lo
	s_delay_alu instid0(VALU_DEP_4) | instskip(NEXT) | instid1(VALU_DEP_3)
	v_xor_b32_e32 v11, v8, v10
	v_add_co_u32 v7, vcc_lo, v3, v5
	s_delay_alu instid0(VALU_DEP_3) | instskip(SKIP_1) | instid1(VALU_DEP_3)
	v_add_co_ci_u32_e32 v12, vcc_lo, v4, v6, vcc_lo
	v_xor_b32_e32 v9, v9, v10
	v_mul_hi_u32 v13, v11, v7
	s_delay_alu instid0(VALU_DEP_3) | instskip(NEXT) | instid1(VALU_DEP_3)
	v_mad_u64_u32 v[3:4], null, v11, v12, 0
	v_mad_u64_u32 v[5:6], null, v9, v7, 0
	;; [unrolled: 1-line block ×3, first 2 shown]
	s_delay_alu instid0(VALU_DEP_3) | instskip(NEXT) | instid1(VALU_DEP_4)
	v_add_co_u32 v3, vcc_lo, v13, v3
	v_add_co_ci_u32_e32 v4, vcc_lo, 0, v4, vcc_lo
	s_delay_alu instid0(VALU_DEP_2) | instskip(NEXT) | instid1(VALU_DEP_2)
	v_add_co_u32 v3, vcc_lo, v3, v5
	v_add_co_ci_u32_e32 v3, vcc_lo, v4, v6, vcc_lo
	v_add_co_ci_u32_e32 v4, vcc_lo, 0, v8, vcc_lo
	s_delay_alu instid0(VALU_DEP_2) | instskip(NEXT) | instid1(VALU_DEP_2)
	v_add_co_u32 v5, vcc_lo, v3, v7
	v_add_co_ci_u32_e32 v6, vcc_lo, 0, v4, vcc_lo
	s_delay_alu instid0(VALU_DEP_2) | instskip(SKIP_1) | instid1(VALU_DEP_3)
	v_mul_lo_u32 v7, s25, v5
	v_mad_u64_u32 v[3:4], null, s24, v5, 0
	v_mul_lo_u32 v8, s24, v6
	s_delay_alu instid0(VALU_DEP_2) | instskip(NEXT) | instid1(VALU_DEP_2)
	v_sub_co_u32 v3, vcc_lo, v11, v3
	v_add3_u32 v4, v4, v8, v7
	s_delay_alu instid0(VALU_DEP_1) | instskip(NEXT) | instid1(VALU_DEP_1)
	v_sub_nc_u32_e32 v7, v9, v4
	v_subrev_co_ci_u32_e64 v7, s0, s25, v7, vcc_lo
	v_add_co_u32 v8, s0, v5, 2
	s_delay_alu instid0(VALU_DEP_1) | instskip(SKIP_3) | instid1(VALU_DEP_3)
	v_add_co_ci_u32_e64 v11, s0, 0, v6, s0
	v_sub_co_u32 v12, s0, v3, s24
	v_sub_co_ci_u32_e32 v4, vcc_lo, v9, v4, vcc_lo
	v_subrev_co_ci_u32_e64 v7, s0, 0, v7, s0
	v_cmp_le_u32_e32 vcc_lo, s24, v12
	s_delay_alu instid0(VALU_DEP_3) | instskip(SKIP_1) | instid1(VALU_DEP_4)
	v_cmp_eq_u32_e64 s0, s25, v4
	v_cndmask_b32_e64 v9, 0, -1, vcc_lo
	v_cmp_le_u32_e32 vcc_lo, s25, v7
	v_cndmask_b32_e64 v12, 0, -1, vcc_lo
	v_cmp_le_u32_e32 vcc_lo, s24, v3
	;; [unrolled: 2-line block ×3, first 2 shown]
	v_cndmask_b32_e64 v13, 0, -1, vcc_lo
	v_cmp_eq_u32_e32 vcc_lo, s25, v7
	s_delay_alu instid0(VALU_DEP_2) | instskip(SKIP_3) | instid1(VALU_DEP_3)
	v_cndmask_b32_e64 v3, v13, v3, s0
	v_cndmask_b32_e32 v7, v12, v9, vcc_lo
	v_add_co_u32 v9, vcc_lo, v5, 1
	v_add_co_ci_u32_e32 v12, vcc_lo, 0, v6, vcc_lo
	v_cmp_ne_u32_e32 vcc_lo, 0, v7
	s_delay_alu instid0(VALU_DEP_2) | instskip(SKIP_2) | instid1(VALU_DEP_3)
	v_dual_cndmask_b32 v4, v12, v11 :: v_dual_cndmask_b32 v7, v9, v8
	v_cmp_ne_u32_e32 vcc_lo, 0, v3
	v_xor_b32_e32 v3, s22, v10
	v_dual_cndmask_b32 v5, v5, v7 :: v_dual_cndmask_b32 v4, v6, v4
	v_xor_b32_e32 v6, s23, v10
	s_delay_alu instid0(VALU_DEP_2) | instskip(NEXT) | instid1(VALU_DEP_2)
	v_xor_b32_e32 v5, v5, v3
	v_xor_b32_e32 v7, v4, v6
	s_delay_alu instid0(VALU_DEP_2) | instskip(NEXT) | instid1(VALU_DEP_2)
	v_sub_co_u32 v4, vcc_lo, v5, v3
	v_sub_co_ci_u32_e32 v5, vcc_lo, v7, v6, vcc_lo
.LBB93_5:                               ;   in Loop: Header=BB93_3 Depth=1
	s_and_not1_saveexec_b32 s0, s13
; %bb.6:                                ;   in Loop: Header=BB93_3 Depth=1
	v_mul_hi_u32 v3, v0, v18
	s_delay_alu instid0(VALU_DEP_1) | instskip(NEXT) | instid1(VALU_DEP_1)
	v_mul_lo_u32 v4, v3, s30
	v_sub_nc_u32_e32 v4, v0, v4
	s_delay_alu instid0(VALU_DEP_1) | instskip(SKIP_1) | instid1(VALU_DEP_2)
	v_subrev_nc_u32_e32 v6, s30, v4
	v_cmp_le_u32_e32 vcc_lo, s30, v4
	v_dual_cndmask_b32 v4, v4, v6 :: v_dual_add_nc_u32 v5, 1, v3
	s_delay_alu instid0(VALU_DEP_1) | instskip(NEXT) | instid1(VALU_DEP_2)
	v_cndmask_b32_e32 v3, v3, v5, vcc_lo
	v_cmp_le_u32_e32 vcc_lo, s30, v4
	s_delay_alu instid0(VALU_DEP_2) | instskip(NEXT) | instid1(VALU_DEP_1)
	v_add_nc_u32_e32 v5, 1, v3
	v_dual_cndmask_b32 v4, v3, v5 :: v_dual_mov_b32 v5, v2
; %bb.7:                                ;   in Loop: Header=BB93_3 Depth=1
	s_or_b32 exec_lo, exec_lo, s0
	s_delay_alu instid0(VALU_DEP_1) | instskip(SKIP_1) | instid1(VALU_DEP_1)
	v_or_b32_e32 v3, s35, v5
                                        ; implicit-def: $vgpr8_vgpr9
	s_mov_b32 s0, exec_lo
	v_cmpx_ne_u64_e32 0, v[2:3]
	s_xor_b32 s13, exec_lo, s0
	s_cbranch_execz .LBB93_9
; %bb.8:                                ;   in Loop: Header=BB93_3 Depth=1
	s_add_u32 s24, s8, s35
	s_mov_b32 s22, s35
	s_mov_b32 s23, s35
	s_addc_u32 s25, s35, s35
	s_delay_alu instid0(SALU_CYCLE_1) | instskip(NEXT) | instid1(SALU_CYCLE_1)
	s_xor_b64 s[24:25], s[24:25], s[22:23]
	v_cvt_f32_u32_e32 v3, s24
	v_cvt_f32_u32_e32 v6, s25
	s_sub_u32 s0, 0, s24
	s_subb_u32 s16, 0, s25
	s_delay_alu instid0(VALU_DEP_1) | instskip(NEXT) | instid1(VALU_DEP_1)
	v_fmac_f32_e32 v3, 0x4f800000, v6
	v_rcp_f32_e32 v3, v3
	s_waitcnt_depctr 0xfff
	v_mul_f32_e32 v3, 0x5f7ffffc, v3
	s_delay_alu instid0(VALU_DEP_1) | instskip(NEXT) | instid1(VALU_DEP_1)
	v_mul_f32_e32 v6, 0x2f800000, v3
	v_trunc_f32_e32 v6, v6
	s_delay_alu instid0(VALU_DEP_1) | instskip(SKIP_1) | instid1(VALU_DEP_2)
	v_fmac_f32_e32 v3, 0xcf800000, v6
	v_cvt_u32_f32_e32 v6, v6
	v_cvt_u32_f32_e32 v3, v3
	s_delay_alu instid0(VALU_DEP_2) | instskip(NEXT) | instid1(VALU_DEP_2)
	v_mul_lo_u32 v7, s0, v6
	v_mul_hi_u32 v8, s0, v3
	v_mul_lo_u32 v9, s16, v3
	s_delay_alu instid0(VALU_DEP_2) | instskip(SKIP_1) | instid1(VALU_DEP_2)
	v_add_nc_u32_e32 v7, v8, v7
	v_mul_lo_u32 v8, s0, v3
	v_add_nc_u32_e32 v7, v7, v9
	s_delay_alu instid0(VALU_DEP_2) | instskip(NEXT) | instid1(VALU_DEP_2)
	v_mul_hi_u32 v9, v3, v8
	v_mul_lo_u32 v10, v3, v7
	v_mul_hi_u32 v11, v3, v7
	v_mul_hi_u32 v12, v6, v8
	v_mul_lo_u32 v8, v6, v8
	v_mul_hi_u32 v13, v6, v7
	v_mul_lo_u32 v7, v6, v7
	v_add_co_u32 v9, vcc_lo, v9, v10
	v_add_co_ci_u32_e32 v10, vcc_lo, 0, v11, vcc_lo
	s_delay_alu instid0(VALU_DEP_2) | instskip(NEXT) | instid1(VALU_DEP_2)
	v_add_co_u32 v8, vcc_lo, v9, v8
	v_add_co_ci_u32_e32 v8, vcc_lo, v10, v12, vcc_lo
	v_add_co_ci_u32_e32 v9, vcc_lo, 0, v13, vcc_lo
	v_ashrrev_i32_e32 v12, 31, v5
	s_delay_alu instid0(VALU_DEP_3) | instskip(NEXT) | instid1(VALU_DEP_3)
	v_add_co_u32 v7, vcc_lo, v8, v7
	v_add_co_ci_u32_e32 v8, vcc_lo, 0, v9, vcc_lo
	s_delay_alu instid0(VALU_DEP_2) | instskip(NEXT) | instid1(VALU_DEP_2)
	v_add_co_u32 v3, vcc_lo, v3, v7
	v_add_co_ci_u32_e32 v6, vcc_lo, v6, v8, vcc_lo
	s_delay_alu instid0(VALU_DEP_2) | instskip(SKIP_1) | instid1(VALU_DEP_3)
	v_mul_hi_u32 v7, s0, v3
	v_mul_lo_u32 v9, s16, v3
	v_mul_lo_u32 v8, s0, v6
	s_delay_alu instid0(VALU_DEP_1) | instskip(SKIP_1) | instid1(VALU_DEP_2)
	v_add_nc_u32_e32 v7, v7, v8
	v_mul_lo_u32 v8, s0, v3
	v_add_nc_u32_e32 v7, v7, v9
	s_delay_alu instid0(VALU_DEP_2) | instskip(NEXT) | instid1(VALU_DEP_2)
	v_mul_hi_u32 v9, v3, v8
	v_mul_lo_u32 v10, v3, v7
	v_mul_hi_u32 v11, v3, v7
	v_mul_hi_u32 v13, v6, v8
	v_mul_lo_u32 v8, v6, v8
	v_mul_hi_u32 v14, v6, v7
	v_mul_lo_u32 v7, v6, v7
	v_add_co_u32 v9, vcc_lo, v9, v10
	v_add_co_ci_u32_e32 v10, vcc_lo, 0, v11, vcc_lo
	s_delay_alu instid0(VALU_DEP_2) | instskip(NEXT) | instid1(VALU_DEP_2)
	v_add_co_u32 v8, vcc_lo, v9, v8
	v_add_co_ci_u32_e32 v8, vcc_lo, v10, v13, vcc_lo
	v_add_co_ci_u32_e32 v9, vcc_lo, 0, v14, vcc_lo
	v_add_co_u32 v10, vcc_lo, v4, v12
	v_add_co_ci_u32_e32 v5, vcc_lo, v5, v12, vcc_lo
	s_delay_alu instid0(VALU_DEP_4) | instskip(NEXT) | instid1(VALU_DEP_4)
	v_add_co_u32 v7, vcc_lo, v8, v7
	v_add_co_ci_u32_e32 v8, vcc_lo, 0, v9, vcc_lo
	s_delay_alu instid0(VALU_DEP_4) | instskip(NEXT) | instid1(VALU_DEP_3)
	v_xor_b32_e32 v11, v10, v12
	v_add_co_u32 v3, vcc_lo, v3, v7
	s_delay_alu instid0(VALU_DEP_3) | instskip(SKIP_1) | instid1(VALU_DEP_3)
	v_add_co_ci_u32_e32 v13, vcc_lo, v6, v8, vcc_lo
	v_xor_b32_e32 v14, v5, v12
	v_mul_hi_u32 v15, v11, v3
	s_delay_alu instid0(VALU_DEP_3) | instskip(NEXT) | instid1(VALU_DEP_3)
	v_mad_u64_u32 v[5:6], null, v11, v13, 0
	v_mad_u64_u32 v[7:8], null, v14, v3, 0
	;; [unrolled: 1-line block ×3, first 2 shown]
	s_delay_alu instid0(VALU_DEP_3) | instskip(NEXT) | instid1(VALU_DEP_4)
	v_add_co_u32 v3, vcc_lo, v15, v5
	v_add_co_ci_u32_e32 v5, vcc_lo, 0, v6, vcc_lo
	s_delay_alu instid0(VALU_DEP_2) | instskip(NEXT) | instid1(VALU_DEP_2)
	v_add_co_u32 v3, vcc_lo, v3, v7
	v_add_co_ci_u32_e32 v3, vcc_lo, v5, v8, vcc_lo
	v_add_co_ci_u32_e32 v5, vcc_lo, 0, v10, vcc_lo
	s_delay_alu instid0(VALU_DEP_2) | instskip(NEXT) | instid1(VALU_DEP_2)
	v_add_co_u32 v3, vcc_lo, v3, v9
	v_add_co_ci_u32_e32 v7, vcc_lo, 0, v5, vcc_lo
	s_delay_alu instid0(VALU_DEP_2) | instskip(SKIP_1) | instid1(VALU_DEP_3)
	v_mul_lo_u32 v8, s25, v3
	v_mad_u64_u32 v[5:6], null, s24, v3, 0
	v_mul_lo_u32 v9, s24, v7
	s_delay_alu instid0(VALU_DEP_2) | instskip(NEXT) | instid1(VALU_DEP_2)
	v_sub_co_u32 v5, vcc_lo, v11, v5
	v_add3_u32 v6, v6, v9, v8
	s_delay_alu instid0(VALU_DEP_1) | instskip(NEXT) | instid1(VALU_DEP_1)
	v_sub_nc_u32_e32 v8, v14, v6
	v_subrev_co_ci_u32_e64 v8, s0, s25, v8, vcc_lo
	v_add_co_u32 v9, s0, v3, 2
	s_delay_alu instid0(VALU_DEP_1) | instskip(SKIP_3) | instid1(VALU_DEP_3)
	v_add_co_ci_u32_e64 v10, s0, 0, v7, s0
	v_sub_co_u32 v11, s0, v5, s24
	v_sub_co_ci_u32_e32 v6, vcc_lo, v14, v6, vcc_lo
	v_subrev_co_ci_u32_e64 v8, s0, 0, v8, s0
	v_cmp_le_u32_e32 vcc_lo, s24, v11
	s_delay_alu instid0(VALU_DEP_3) | instskip(SKIP_1) | instid1(VALU_DEP_4)
	v_cmp_eq_u32_e64 s0, s25, v6
	v_cndmask_b32_e64 v11, 0, -1, vcc_lo
	v_cmp_le_u32_e32 vcc_lo, s25, v8
	v_cndmask_b32_e64 v13, 0, -1, vcc_lo
	v_cmp_le_u32_e32 vcc_lo, s24, v5
	;; [unrolled: 2-line block ×3, first 2 shown]
	v_cndmask_b32_e64 v14, 0, -1, vcc_lo
	v_cmp_eq_u32_e32 vcc_lo, s25, v8
	s_delay_alu instid0(VALU_DEP_2) | instskip(SKIP_3) | instid1(VALU_DEP_3)
	v_cndmask_b32_e64 v5, v14, v5, s0
	v_cndmask_b32_e32 v8, v13, v11, vcc_lo
	v_add_co_u32 v11, vcc_lo, v3, 1
	v_add_co_ci_u32_e32 v13, vcc_lo, 0, v7, vcc_lo
	v_cmp_ne_u32_e32 vcc_lo, 0, v8
	s_delay_alu instid0(VALU_DEP_3) | instskip(NEXT) | instid1(VALU_DEP_3)
	v_cndmask_b32_e32 v8, v11, v9, vcc_lo
	v_cndmask_b32_e32 v6, v13, v10, vcc_lo
	v_cmp_ne_u32_e32 vcc_lo, 0, v5
	v_xor_b32_e32 v5, s22, v12
	s_delay_alu instid0(VALU_DEP_4) | instskip(NEXT) | instid1(VALU_DEP_4)
	v_cndmask_b32_e32 v3, v3, v8, vcc_lo
	v_cndmask_b32_e32 v6, v7, v6, vcc_lo
	v_xor_b32_e32 v7, s23, v12
	s_delay_alu instid0(VALU_DEP_3) | instskip(NEXT) | instid1(VALU_DEP_2)
	v_xor_b32_e32 v3, v3, v5
	v_xor_b32_e32 v6, v6, v7
	s_delay_alu instid0(VALU_DEP_2) | instskip(NEXT) | instid1(VALU_DEP_2)
	v_sub_co_u32 v8, vcc_lo, v3, v5
	v_sub_co_ci_u32_e32 v9, vcc_lo, v6, v7, vcc_lo
.LBB93_9:                               ;   in Loop: Header=BB93_3 Depth=1
	s_and_not1_saveexec_b32 s0, s13
	s_cbranch_execz .LBB93_11
; %bb.10:                               ;   in Loop: Header=BB93_3 Depth=1
	v_cvt_f32_u32_e32 v3, s8
	s_sub_i32 s13, 0, s8
	v_mov_b32_e32 v9, v2
	s_delay_alu instid0(VALU_DEP_2) | instskip(SKIP_2) | instid1(VALU_DEP_1)
	v_rcp_iflag_f32_e32 v3, v3
	s_waitcnt_depctr 0xfff
	v_mul_f32_e32 v3, 0x4f7ffffe, v3
	v_cvt_u32_f32_e32 v3, v3
	s_delay_alu instid0(VALU_DEP_1) | instskip(NEXT) | instid1(VALU_DEP_1)
	v_mul_lo_u32 v5, s13, v3
	v_mul_hi_u32 v5, v3, v5
	s_delay_alu instid0(VALU_DEP_1) | instskip(NEXT) | instid1(VALU_DEP_1)
	v_add_nc_u32_e32 v3, v3, v5
	v_mul_hi_u32 v3, v4, v3
	s_delay_alu instid0(VALU_DEP_1) | instskip(SKIP_1) | instid1(VALU_DEP_2)
	v_mul_lo_u32 v5, v3, s8
	v_add_nc_u32_e32 v6, 1, v3
	v_sub_nc_u32_e32 v5, v4, v5
	s_delay_alu instid0(VALU_DEP_1) | instskip(SKIP_1) | instid1(VALU_DEP_4)
	v_cmp_le_u32_e32 vcc_lo, s8, v5
	v_subrev_nc_u32_e32 v7, s8, v5
	v_cndmask_b32_e32 v3, v3, v6, vcc_lo
	s_delay_alu instid0(VALU_DEP_1) | instskip(NEXT) | instid1(VALU_DEP_3)
	v_add_nc_u32_e32 v6, 1, v3
	v_cndmask_b32_e32 v5, v5, v7, vcc_lo
	s_delay_alu instid0(VALU_DEP_1) | instskip(NEXT) | instid1(VALU_DEP_3)
	v_cmp_le_u32_e32 vcc_lo, s8, v5
	v_cndmask_b32_e32 v8, v3, v6, vcc_lo
.LBB93_11:                              ;   in Loop: Header=BB93_3 Depth=1
	s_or_b32 exec_lo, exec_lo, s0
	v_mad_u64_u32 v[5:6], null, v4, s30, 0
	s_delay_alu instid0(VALU_DEP_2) | instskip(SKIP_1) | instid1(VALU_DEP_2)
	v_mad_u64_u32 v[6:7], null, v8, s8, 0
	s_and_not1_b32 vcc_lo, exec_lo, s1
	v_sub_co_u32 v19, null, v0, v5
	s_delay_alu instid0(VALU_DEP_2) | instskip(NEXT) | instid1(VALU_DEP_2)
	v_sub_co_u32 v20, null, v4, v6
	v_mul_lo_u32 v3, s18, v19
	v_mul_lo_u32 v10, s20, v19
	s_delay_alu instid0(VALU_DEP_2) | instskip(NEXT) | instid1(VALU_DEP_2)
	v_mad_u64_u32 v[6:7], null, s10, v20, v[3:4]
	v_mad_u64_u32 v[4:5], null, s12, v20, v[10:11]
	s_cbranch_vccnz .LBB93_40
; %bb.12:                               ;   in Loop: Header=BB93_3 Depth=1
	s_and_not1_b32 vcc_lo, exec_lo, s41
	s_mov_b32 s13, 1
	s_cbranch_vccnz .LBB93_20
; %bb.13:                               ;   in Loop: Header=BB93_3 Depth=1
	v_dual_mov_b32 v11, v9 :: v_dual_mov_b32 v10, v8
	s_mov_b32 s16, s38
.LBB93_14:                              ;   Parent Loop BB93_3 Depth=1
                                        ; =>  This Inner Loop Header: Depth=2
	s_delay_alu instid0(SALU_CYCLE_1)
	s_lshl_b64 s[24:25], s[16:17], 2
                                        ; implicit-def: $vgpr8_vgpr9
	s_mov_b32 s26, exec_lo
	s_add_u32 s22, s31, s24
	s_addc_u32 s23, s33, s25
	s_load_b32 s43, s[22:23], 0x8
	s_waitcnt lgkmcnt(0)
	s_ashr_i32 s0, s43, 31
	s_delay_alu instid0(SALU_CYCLE_1) | instskip(NEXT) | instid1(VALU_DEP_1)
	v_or_b32_e32 v3, s0, v11
	v_cmpx_ne_u64_e32 0, v[2:3]
	s_xor_b32 s44, exec_lo, s26
	s_cbranch_execz .LBB93_16
; %bb.15:                               ;   in Loop: Header=BB93_14 Depth=2
	s_add_u32 s28, s43, s0
	s_mov_b32 s26, s0
	s_mov_b32 s27, s0
	s_addc_u32 s29, s0, s0
	s_delay_alu instid0(SALU_CYCLE_1) | instskip(NEXT) | instid1(SALU_CYCLE_1)
	s_xor_b64 s[28:29], s[28:29], s[26:27]
	v_cvt_f32_u32_e32 v3, s28
	v_cvt_f32_u32_e32 v5, s29
	s_sub_u32 s0, 0, s28
	s_subb_u32 s45, 0, s29
	s_delay_alu instid0(VALU_DEP_1) | instskip(NEXT) | instid1(VALU_DEP_1)
	v_fmac_f32_e32 v3, 0x4f800000, v5
	v_rcp_f32_e32 v3, v3
	s_waitcnt_depctr 0xfff
	v_mul_f32_e32 v3, 0x5f7ffffc, v3
	s_delay_alu instid0(VALU_DEP_1) | instskip(NEXT) | instid1(VALU_DEP_1)
	v_mul_f32_e32 v5, 0x2f800000, v3
	v_trunc_f32_e32 v5, v5
	s_delay_alu instid0(VALU_DEP_1) | instskip(SKIP_1) | instid1(VALU_DEP_2)
	v_fmac_f32_e32 v3, 0xcf800000, v5
	v_cvt_u32_f32_e32 v5, v5
	v_cvt_u32_f32_e32 v3, v3
	s_delay_alu instid0(VALU_DEP_2) | instskip(NEXT) | instid1(VALU_DEP_2)
	v_mul_lo_u32 v7, s0, v5
	v_mul_hi_u32 v8, s0, v3
	v_mul_lo_u32 v9, s45, v3
	s_delay_alu instid0(VALU_DEP_2) | instskip(SKIP_1) | instid1(VALU_DEP_2)
	v_add_nc_u32_e32 v7, v8, v7
	v_mul_lo_u32 v8, s0, v3
	v_add_nc_u32_e32 v7, v7, v9
	s_delay_alu instid0(VALU_DEP_2) | instskip(NEXT) | instid1(VALU_DEP_2)
	v_mul_hi_u32 v9, v3, v8
	v_mul_lo_u32 v12, v3, v7
	v_mul_hi_u32 v13, v3, v7
	v_mul_hi_u32 v14, v5, v8
	v_mul_lo_u32 v8, v5, v8
	v_mul_hi_u32 v15, v5, v7
	v_mul_lo_u32 v7, v5, v7
	v_add_co_u32 v9, vcc_lo, v9, v12
	v_add_co_ci_u32_e32 v12, vcc_lo, 0, v13, vcc_lo
	s_delay_alu instid0(VALU_DEP_2) | instskip(NEXT) | instid1(VALU_DEP_2)
	v_add_co_u32 v8, vcc_lo, v9, v8
	v_add_co_ci_u32_e32 v8, vcc_lo, v12, v14, vcc_lo
	v_add_co_ci_u32_e32 v9, vcc_lo, 0, v15, vcc_lo
	v_ashrrev_i32_e32 v15, 31, v11
	s_delay_alu instid0(VALU_DEP_3) | instskip(NEXT) | instid1(VALU_DEP_3)
	v_add_co_u32 v7, vcc_lo, v8, v7
	v_add_co_ci_u32_e32 v8, vcc_lo, 0, v9, vcc_lo
	s_delay_alu instid0(VALU_DEP_2) | instskip(NEXT) | instid1(VALU_DEP_2)
	v_add_co_u32 v3, vcc_lo, v3, v7
	v_add_co_ci_u32_e32 v5, vcc_lo, v5, v8, vcc_lo
	s_delay_alu instid0(VALU_DEP_2) | instskip(SKIP_1) | instid1(VALU_DEP_3)
	v_mul_hi_u32 v7, s0, v3
	v_mul_lo_u32 v9, s45, v3
	v_mul_lo_u32 v8, s0, v5
	s_delay_alu instid0(VALU_DEP_1) | instskip(SKIP_1) | instid1(VALU_DEP_2)
	v_add_nc_u32_e32 v7, v7, v8
	v_mul_lo_u32 v8, s0, v3
	v_add_nc_u32_e32 v7, v7, v9
	s_delay_alu instid0(VALU_DEP_2) | instskip(NEXT) | instid1(VALU_DEP_2)
	v_mul_hi_u32 v9, v3, v8
	v_mul_lo_u32 v12, v3, v7
	v_mul_hi_u32 v13, v3, v7
	v_mul_hi_u32 v14, v5, v8
	v_mul_lo_u32 v8, v5, v8
	v_mul_hi_u32 v16, v5, v7
	v_mul_lo_u32 v7, v5, v7
	v_add_co_u32 v9, vcc_lo, v9, v12
	v_add_co_ci_u32_e32 v12, vcc_lo, 0, v13, vcc_lo
	s_delay_alu instid0(VALU_DEP_2) | instskip(NEXT) | instid1(VALU_DEP_2)
	v_add_co_u32 v8, vcc_lo, v9, v8
	v_add_co_ci_u32_e32 v8, vcc_lo, v12, v14, vcc_lo
	v_add_co_ci_u32_e32 v9, vcc_lo, 0, v16, vcc_lo
	v_add_co_u32 v12, vcc_lo, v10, v15
	v_add_co_ci_u32_e32 v11, vcc_lo, v11, v15, vcc_lo
	s_delay_alu instid0(VALU_DEP_4) | instskip(NEXT) | instid1(VALU_DEP_4)
	v_add_co_u32 v7, vcc_lo, v8, v7
	v_add_co_ci_u32_e32 v8, vcc_lo, 0, v9, vcc_lo
	s_delay_alu instid0(VALU_DEP_4) | instskip(NEXT) | instid1(VALU_DEP_3)
	v_xor_b32_e32 v9, v12, v15
	v_add_co_u32 v3, vcc_lo, v3, v7
	s_delay_alu instid0(VALU_DEP_3) | instskip(SKIP_1) | instid1(VALU_DEP_3)
	v_add_co_ci_u32_e32 v5, vcc_lo, v5, v8, vcc_lo
	v_xor_b32_e32 v16, v11, v15
	v_mul_hi_u32 v17, v9, v3
	s_delay_alu instid0(VALU_DEP_3) | instskip(NEXT) | instid1(VALU_DEP_3)
	v_mad_u64_u32 v[7:8], null, v9, v5, 0
	v_mad_u64_u32 v[11:12], null, v16, v3, 0
	v_mad_u64_u32 v[13:14], null, v16, v5, 0
	s_delay_alu instid0(VALU_DEP_3) | instskip(NEXT) | instid1(VALU_DEP_4)
	v_add_co_u32 v3, vcc_lo, v17, v7
	v_add_co_ci_u32_e32 v5, vcc_lo, 0, v8, vcc_lo
	s_delay_alu instid0(VALU_DEP_2) | instskip(NEXT) | instid1(VALU_DEP_2)
	v_add_co_u32 v3, vcc_lo, v3, v11
	v_add_co_ci_u32_e32 v3, vcc_lo, v5, v12, vcc_lo
	v_add_co_ci_u32_e32 v5, vcc_lo, 0, v14, vcc_lo
	s_delay_alu instid0(VALU_DEP_2) | instskip(NEXT) | instid1(VALU_DEP_2)
	v_add_co_u32 v3, vcc_lo, v3, v13
	v_add_co_ci_u32_e32 v5, vcc_lo, 0, v5, vcc_lo
	s_delay_alu instid0(VALU_DEP_2) | instskip(SKIP_1) | instid1(VALU_DEP_3)
	v_mul_lo_u32 v11, s29, v3
	v_mad_u64_u32 v[7:8], null, s28, v3, 0
	v_mul_lo_u32 v12, s28, v5
	s_delay_alu instid0(VALU_DEP_2) | instskip(NEXT) | instid1(VALU_DEP_2)
	v_sub_co_u32 v7, vcc_lo, v9, v7
	v_add3_u32 v8, v8, v12, v11
	s_delay_alu instid0(VALU_DEP_1) | instskip(NEXT) | instid1(VALU_DEP_1)
	v_sub_nc_u32_e32 v11, v16, v8
	v_subrev_co_ci_u32_e64 v9, s0, s29, v11, vcc_lo
	v_add_co_u32 v11, s0, v3, 2
	s_delay_alu instid0(VALU_DEP_1) | instskip(SKIP_3) | instid1(VALU_DEP_3)
	v_add_co_ci_u32_e64 v12, s0, 0, v5, s0
	v_sub_co_u32 v13, s0, v7, s28
	v_sub_co_ci_u32_e32 v8, vcc_lo, v16, v8, vcc_lo
	v_subrev_co_ci_u32_e64 v9, s0, 0, v9, s0
	v_cmp_le_u32_e32 vcc_lo, s28, v13
	s_delay_alu instid0(VALU_DEP_3) | instskip(SKIP_1) | instid1(VALU_DEP_4)
	v_cmp_eq_u32_e64 s0, s29, v8
	v_cndmask_b32_e64 v13, 0, -1, vcc_lo
	v_cmp_le_u32_e32 vcc_lo, s29, v9
	v_cndmask_b32_e64 v14, 0, -1, vcc_lo
	v_cmp_le_u32_e32 vcc_lo, s28, v7
	;; [unrolled: 2-line block ×3, first 2 shown]
	v_cndmask_b32_e64 v16, 0, -1, vcc_lo
	v_cmp_eq_u32_e32 vcc_lo, s29, v9
	s_delay_alu instid0(VALU_DEP_2) | instskip(SKIP_3) | instid1(VALU_DEP_3)
	v_cndmask_b32_e64 v7, v16, v7, s0
	v_cndmask_b32_e32 v9, v14, v13, vcc_lo
	v_add_co_u32 v13, vcc_lo, v3, 1
	v_add_co_ci_u32_e32 v14, vcc_lo, 0, v5, vcc_lo
	v_cmp_ne_u32_e32 vcc_lo, 0, v9
	s_delay_alu instid0(VALU_DEP_2) | instskip(SKIP_2) | instid1(VALU_DEP_3)
	v_dual_cndmask_b32 v8, v14, v12 :: v_dual_cndmask_b32 v9, v13, v11
	v_cmp_ne_u32_e32 vcc_lo, 0, v7
	v_xor_b32_e32 v7, s26, v15
	v_cndmask_b32_e32 v3, v3, v9, vcc_lo
	s_delay_alu instid0(VALU_DEP_4) | instskip(SKIP_1) | instid1(VALU_DEP_3)
	v_cndmask_b32_e32 v5, v5, v8, vcc_lo
	v_xor_b32_e32 v9, s27, v15
	v_xor_b32_e32 v3, v3, v7
	s_delay_alu instid0(VALU_DEP_2) | instskip(NEXT) | instid1(VALU_DEP_2)
	v_xor_b32_e32 v5, v5, v9
	v_sub_co_u32 v8, vcc_lo, v3, v7
	s_delay_alu instid0(VALU_DEP_2)
	v_sub_co_ci_u32_e32 v9, vcc_lo, v5, v9, vcc_lo
.LBB93_16:                              ;   in Loop: Header=BB93_14 Depth=2
	s_and_not1_saveexec_b32 s0, s44
	s_cbranch_execz .LBB93_18
; %bb.17:                               ;   in Loop: Header=BB93_14 Depth=2
	v_cvt_f32_u32_e32 v3, s43
	s_sub_i32 s26, 0, s43
	v_mov_b32_e32 v9, v2
	s_delay_alu instid0(VALU_DEP_2) | instskip(SKIP_2) | instid1(VALU_DEP_1)
	v_rcp_iflag_f32_e32 v3, v3
	s_waitcnt_depctr 0xfff
	v_mul_f32_e32 v3, 0x4f7ffffe, v3
	v_cvt_u32_f32_e32 v3, v3
	s_delay_alu instid0(VALU_DEP_1) | instskip(NEXT) | instid1(VALU_DEP_1)
	v_mul_lo_u32 v5, s26, v3
	v_mul_hi_u32 v5, v3, v5
	s_delay_alu instid0(VALU_DEP_1) | instskip(NEXT) | instid1(VALU_DEP_1)
	v_add_nc_u32_e32 v3, v3, v5
	v_mul_hi_u32 v3, v10, v3
	s_delay_alu instid0(VALU_DEP_1) | instskip(SKIP_1) | instid1(VALU_DEP_2)
	v_mul_lo_u32 v5, v3, s43
	v_add_nc_u32_e32 v7, 1, v3
	v_sub_nc_u32_e32 v5, v10, v5
	s_delay_alu instid0(VALU_DEP_1) | instskip(SKIP_1) | instid1(VALU_DEP_4)
	v_cmp_le_u32_e32 vcc_lo, s43, v5
	v_subrev_nc_u32_e32 v8, s43, v5
	v_cndmask_b32_e32 v3, v3, v7, vcc_lo
	s_delay_alu instid0(VALU_DEP_1) | instskip(NEXT) | instid1(VALU_DEP_3)
	v_add_nc_u32_e32 v7, 1, v3
	v_cndmask_b32_e32 v5, v5, v8, vcc_lo
	s_delay_alu instid0(VALU_DEP_1) | instskip(NEXT) | instid1(VALU_DEP_3)
	v_cmp_le_u32_e32 vcc_lo, s43, v5
	v_cndmask_b32_e32 v8, v3, v7, vcc_lo
.LBB93_18:                              ;   in Loop: Header=BB93_14 Depth=2
	s_or_b32 exec_lo, exec_lo, s0
	s_add_u32 s24, s36, s24
	s_addc_u32 s25, s37, s25
	s_clause 0x1
	s_load_b32 s0, s[22:23], 0x6c
	s_load_b32 s22, s[24:25], 0x0
	v_mul_lo_u32 v3, v8, s43
	s_add_i32 s16, s16, -1
	s_delay_alu instid0(VALU_DEP_1) | instskip(SKIP_1) | instid1(VALU_DEP_1)
	v_sub_nc_u32_e32 v3, v10, v3
	s_waitcnt lgkmcnt(0)
	v_mad_u64_u32 v[10:11], null, s0, v3, v[6:7]
	v_mad_u64_u32 v[5:6], null, s22, v3, v[4:5]
	s_xor_b32 s0, s39, s13
	s_add_i32 s13, s13, 1
	s_cmp_lg_u32 s0, 2
	s_delay_alu instid0(VALU_DEP_2) | instskip(NEXT) | instid1(VALU_DEP_2)
	v_mov_b32_e32 v6, v10
	v_mov_b32_e32 v4, v5
	s_cbranch_scc0 .LBB93_21
; %bb.19:                               ;   in Loop: Header=BB93_14 Depth=2
	v_dual_mov_b32 v11, v9 :: v_dual_mov_b32 v10, v8
	s_branch .LBB93_14
.LBB93_20:                              ;   in Loop: Header=BB93_3 Depth=1
	s_mov_b32 s16, s38
.LBB93_21:                              ;   in Loop: Header=BB93_3 Depth=1
	s_and_b32 vcc_lo, exec_lo, s42
	s_cbranch_vccz .LBB93_40
.LBB93_22:                              ;   Parent Loop BB93_3 Depth=1
                                        ; =>  This Inner Loop Header: Depth=2
	s_lshl_b64 s[22:23], s[16:17], 2
                                        ; implicit-def: $vgpr10_vgpr11
	s_mov_b32 s26, exec_lo
	s_add_u32 s24, s31, s22
	s_addc_u32 s25, s33, s23
	s_load_b32 s13, s[24:25], 0x8
	s_waitcnt lgkmcnt(0)
	s_ashr_i32 s0, s13, 31
	s_delay_alu instid0(SALU_CYCLE_1) | instskip(NEXT) | instid1(VALU_DEP_1)
	v_or_b32_e32 v3, s0, v9
	v_cmpx_ne_u64_e32 0, v[2:3]
	s_xor_b32 s43, exec_lo, s26
	s_cbranch_execz .LBB93_24
; %bb.23:                               ;   in Loop: Header=BB93_22 Depth=2
	s_add_u32 s28, s13, s0
	s_mov_b32 s26, s0
	s_mov_b32 s27, s0
	s_addc_u32 s29, s0, s0
	s_delay_alu instid0(SALU_CYCLE_1) | instskip(NEXT) | instid1(SALU_CYCLE_1)
	s_xor_b64 s[28:29], s[28:29], s[26:27]
	v_cvt_f32_u32_e32 v3, s28
	v_cvt_f32_u32_e32 v5, s29
	s_sub_u32 s0, 0, s28
	s_subb_u32 s44, 0, s29
	s_delay_alu instid0(VALU_DEP_1) | instskip(NEXT) | instid1(VALU_DEP_1)
	v_fmac_f32_e32 v3, 0x4f800000, v5
	v_rcp_f32_e32 v3, v3
	s_waitcnt_depctr 0xfff
	v_mul_f32_e32 v3, 0x5f7ffffc, v3
	s_delay_alu instid0(VALU_DEP_1) | instskip(NEXT) | instid1(VALU_DEP_1)
	v_mul_f32_e32 v5, 0x2f800000, v3
	v_trunc_f32_e32 v5, v5
	s_delay_alu instid0(VALU_DEP_1) | instskip(SKIP_1) | instid1(VALU_DEP_2)
	v_fmac_f32_e32 v3, 0xcf800000, v5
	v_cvt_u32_f32_e32 v5, v5
	v_cvt_u32_f32_e32 v3, v3
	s_delay_alu instid0(VALU_DEP_2) | instskip(NEXT) | instid1(VALU_DEP_2)
	v_mul_lo_u32 v7, s0, v5
	v_mul_hi_u32 v10, s0, v3
	v_mul_lo_u32 v11, s44, v3
	s_delay_alu instid0(VALU_DEP_2) | instskip(SKIP_1) | instid1(VALU_DEP_2)
	v_add_nc_u32_e32 v7, v10, v7
	v_mul_lo_u32 v10, s0, v3
	v_add_nc_u32_e32 v7, v7, v11
	s_delay_alu instid0(VALU_DEP_2) | instskip(NEXT) | instid1(VALU_DEP_2)
	v_mul_hi_u32 v11, v3, v10
	v_mul_lo_u32 v12, v3, v7
	v_mul_hi_u32 v13, v3, v7
	v_mul_hi_u32 v14, v5, v10
	v_mul_lo_u32 v10, v5, v10
	v_mul_hi_u32 v15, v5, v7
	v_mul_lo_u32 v7, v5, v7
	v_add_co_u32 v11, vcc_lo, v11, v12
	v_add_co_ci_u32_e32 v12, vcc_lo, 0, v13, vcc_lo
	s_delay_alu instid0(VALU_DEP_2) | instskip(NEXT) | instid1(VALU_DEP_2)
	v_add_co_u32 v10, vcc_lo, v11, v10
	v_add_co_ci_u32_e32 v10, vcc_lo, v12, v14, vcc_lo
	v_add_co_ci_u32_e32 v11, vcc_lo, 0, v15, vcc_lo
	v_ashrrev_i32_e32 v15, 31, v9
	s_delay_alu instid0(VALU_DEP_3) | instskip(NEXT) | instid1(VALU_DEP_3)
	v_add_co_u32 v7, vcc_lo, v10, v7
	v_add_co_ci_u32_e32 v10, vcc_lo, 0, v11, vcc_lo
	s_delay_alu instid0(VALU_DEP_2) | instskip(NEXT) | instid1(VALU_DEP_2)
	v_add_co_u32 v3, vcc_lo, v3, v7
	v_add_co_ci_u32_e32 v5, vcc_lo, v5, v10, vcc_lo
	s_delay_alu instid0(VALU_DEP_2) | instskip(SKIP_1) | instid1(VALU_DEP_3)
	v_mul_hi_u32 v7, s0, v3
	v_mul_lo_u32 v11, s44, v3
	v_mul_lo_u32 v10, s0, v5
	s_delay_alu instid0(VALU_DEP_1) | instskip(SKIP_1) | instid1(VALU_DEP_2)
	v_add_nc_u32_e32 v7, v7, v10
	v_mul_lo_u32 v10, s0, v3
	v_add_nc_u32_e32 v7, v7, v11
	s_delay_alu instid0(VALU_DEP_2) | instskip(NEXT) | instid1(VALU_DEP_2)
	v_mul_hi_u32 v11, v3, v10
	v_mul_lo_u32 v12, v3, v7
	v_mul_hi_u32 v13, v3, v7
	v_mul_hi_u32 v14, v5, v10
	v_mul_lo_u32 v10, v5, v10
	v_mul_hi_u32 v16, v5, v7
	v_mul_lo_u32 v7, v5, v7
	v_add_co_u32 v11, vcc_lo, v11, v12
	v_add_co_ci_u32_e32 v12, vcc_lo, 0, v13, vcc_lo
	s_delay_alu instid0(VALU_DEP_2) | instskip(NEXT) | instid1(VALU_DEP_2)
	v_add_co_u32 v10, vcc_lo, v11, v10
	v_add_co_ci_u32_e32 v10, vcc_lo, v12, v14, vcc_lo
	v_add_co_ci_u32_e32 v11, vcc_lo, 0, v16, vcc_lo
	v_add_co_u32 v12, vcc_lo, v8, v15
	v_add_co_ci_u32_e32 v9, vcc_lo, v9, v15, vcc_lo
	s_delay_alu instid0(VALU_DEP_4) | instskip(NEXT) | instid1(VALU_DEP_4)
	v_add_co_u32 v7, vcc_lo, v10, v7
	v_add_co_ci_u32_e32 v10, vcc_lo, 0, v11, vcc_lo
	s_delay_alu instid0(VALU_DEP_4) | instskip(NEXT) | instid1(VALU_DEP_3)
	v_xor_b32_e32 v16, v12, v15
	v_add_co_u32 v3, vcc_lo, v3, v7
	s_delay_alu instid0(VALU_DEP_3) | instskip(SKIP_1) | instid1(VALU_DEP_3)
	v_add_co_ci_u32_e32 v5, vcc_lo, v5, v10, vcc_lo
	v_xor_b32_e32 v7, v9, v15
	v_mul_hi_u32 v17, v16, v3
	s_delay_alu instid0(VALU_DEP_3) | instskip(NEXT) | instid1(VALU_DEP_3)
	v_mad_u64_u32 v[9:10], null, v16, v5, 0
	v_mad_u64_u32 v[11:12], null, v7, v3, 0
	;; [unrolled: 1-line block ×3, first 2 shown]
	s_delay_alu instid0(VALU_DEP_3) | instskip(NEXT) | instid1(VALU_DEP_4)
	v_add_co_u32 v3, vcc_lo, v17, v9
	v_add_co_ci_u32_e32 v5, vcc_lo, 0, v10, vcc_lo
	s_delay_alu instid0(VALU_DEP_2) | instskip(NEXT) | instid1(VALU_DEP_2)
	v_add_co_u32 v3, vcc_lo, v3, v11
	v_add_co_ci_u32_e32 v3, vcc_lo, v5, v12, vcc_lo
	v_add_co_ci_u32_e32 v5, vcc_lo, 0, v14, vcc_lo
	s_delay_alu instid0(VALU_DEP_2) | instskip(NEXT) | instid1(VALU_DEP_2)
	v_add_co_u32 v3, vcc_lo, v3, v13
	v_add_co_ci_u32_e32 v5, vcc_lo, 0, v5, vcc_lo
	s_delay_alu instid0(VALU_DEP_2) | instskip(SKIP_1) | instid1(VALU_DEP_3)
	v_mul_lo_u32 v11, s29, v3
	v_mad_u64_u32 v[9:10], null, s28, v3, 0
	v_mul_lo_u32 v12, s28, v5
	s_delay_alu instid0(VALU_DEP_2) | instskip(NEXT) | instid1(VALU_DEP_2)
	v_sub_co_u32 v9, vcc_lo, v16, v9
	v_add3_u32 v10, v10, v12, v11
	s_delay_alu instid0(VALU_DEP_1) | instskip(NEXT) | instid1(VALU_DEP_1)
	v_sub_nc_u32_e32 v11, v7, v10
	v_subrev_co_ci_u32_e64 v11, s0, s29, v11, vcc_lo
	v_add_co_u32 v12, s0, v3, 2
	s_delay_alu instid0(VALU_DEP_1) | instskip(SKIP_3) | instid1(VALU_DEP_3)
	v_add_co_ci_u32_e64 v13, s0, 0, v5, s0
	v_sub_co_u32 v14, s0, v9, s28
	v_sub_co_ci_u32_e32 v7, vcc_lo, v7, v10, vcc_lo
	v_subrev_co_ci_u32_e64 v11, s0, 0, v11, s0
	v_cmp_le_u32_e32 vcc_lo, s28, v14
	s_delay_alu instid0(VALU_DEP_3) | instskip(SKIP_1) | instid1(VALU_DEP_4)
	v_cmp_eq_u32_e64 s0, s29, v7
	v_cndmask_b32_e64 v10, 0, -1, vcc_lo
	v_cmp_le_u32_e32 vcc_lo, s29, v11
	v_cndmask_b32_e64 v14, 0, -1, vcc_lo
	v_cmp_le_u32_e32 vcc_lo, s28, v9
	;; [unrolled: 2-line block ×3, first 2 shown]
	v_cndmask_b32_e64 v16, 0, -1, vcc_lo
	v_cmp_eq_u32_e32 vcc_lo, s29, v11
	s_delay_alu instid0(VALU_DEP_2) | instskip(SKIP_3) | instid1(VALU_DEP_3)
	v_cndmask_b32_e64 v7, v16, v9, s0
	v_cndmask_b32_e32 v10, v14, v10, vcc_lo
	v_add_co_u32 v11, vcc_lo, v3, 1
	v_add_co_ci_u32_e32 v14, vcc_lo, 0, v5, vcc_lo
	v_cmp_ne_u32_e32 vcc_lo, 0, v10
	s_delay_alu instid0(VALU_DEP_2) | instskip(SKIP_2) | instid1(VALU_DEP_3)
	v_dual_cndmask_b32 v10, v11, v12 :: v_dual_cndmask_b32 v9, v14, v13
	v_cmp_ne_u32_e32 vcc_lo, 0, v7
	v_xor_b32_e32 v7, s26, v15
	v_cndmask_b32_e32 v3, v3, v10, vcc_lo
	s_delay_alu instid0(VALU_DEP_4) | instskip(SKIP_1) | instid1(VALU_DEP_3)
	v_cndmask_b32_e32 v5, v5, v9, vcc_lo
	v_xor_b32_e32 v9, s27, v15
	v_xor_b32_e32 v3, v3, v7
	s_delay_alu instid0(VALU_DEP_2) | instskip(NEXT) | instid1(VALU_DEP_2)
	v_xor_b32_e32 v5, v5, v9
	v_sub_co_u32 v10, vcc_lo, v3, v7
	s_delay_alu instid0(VALU_DEP_2)
	v_sub_co_ci_u32_e32 v11, vcc_lo, v5, v9, vcc_lo
.LBB93_24:                              ;   in Loop: Header=BB93_22 Depth=2
	s_and_not1_saveexec_b32 s0, s43
	s_cbranch_execz .LBB93_26
; %bb.25:                               ;   in Loop: Header=BB93_22 Depth=2
	v_cvt_f32_u32_e32 v3, s13
	s_sub_i32 s26, 0, s13
	v_mov_b32_e32 v11, v2
	s_delay_alu instid0(VALU_DEP_2) | instskip(SKIP_2) | instid1(VALU_DEP_1)
	v_rcp_iflag_f32_e32 v3, v3
	s_waitcnt_depctr 0xfff
	v_mul_f32_e32 v3, 0x4f7ffffe, v3
	v_cvt_u32_f32_e32 v3, v3
	s_delay_alu instid0(VALU_DEP_1) | instskip(NEXT) | instid1(VALU_DEP_1)
	v_mul_lo_u32 v5, s26, v3
	v_mul_hi_u32 v5, v3, v5
	s_delay_alu instid0(VALU_DEP_1) | instskip(NEXT) | instid1(VALU_DEP_1)
	v_add_nc_u32_e32 v3, v3, v5
	v_mul_hi_u32 v3, v8, v3
	s_delay_alu instid0(VALU_DEP_1) | instskip(SKIP_1) | instid1(VALU_DEP_2)
	v_mul_lo_u32 v5, v3, s13
	v_add_nc_u32_e32 v7, 1, v3
	v_sub_nc_u32_e32 v5, v8, v5
	s_delay_alu instid0(VALU_DEP_1) | instskip(SKIP_1) | instid1(VALU_DEP_4)
	v_cmp_le_u32_e32 vcc_lo, s13, v5
	v_subrev_nc_u32_e32 v9, s13, v5
	v_cndmask_b32_e32 v3, v3, v7, vcc_lo
	s_delay_alu instid0(VALU_DEP_1) | instskip(NEXT) | instid1(VALU_DEP_3)
	v_add_nc_u32_e32 v7, 1, v3
	v_cndmask_b32_e32 v5, v5, v9, vcc_lo
	s_delay_alu instid0(VALU_DEP_1) | instskip(NEXT) | instid1(VALU_DEP_3)
	v_cmp_le_u32_e32 vcc_lo, s13, v5
	v_cndmask_b32_e32 v10, v3, v7, vcc_lo
.LBB93_26:                              ;   in Loop: Header=BB93_22 Depth=2
	s_or_b32 exec_lo, exec_lo, s0
	s_add_u32 s28, s36, s22
	s_addc_u32 s29, s37, s23
	s_add_i32 s22, s16, -1
	s_mov_b32 s23, s17
                                        ; implicit-def: $vgpr12_vgpr13
	s_delay_alu instid0(SALU_CYCLE_1) | instskip(NEXT) | instid1(SALU_CYCLE_1)
	s_lshl_b64 s[26:27], s[22:23], 2
	s_add_u32 s22, s31, s26
	s_addc_u32 s23, s33, s27
	s_clause 0x2
	s_load_b32 s45, s[22:23], 0x8
	s_load_b32 s43, s[24:25], 0x6c
	;; [unrolled: 1-line block ×3, first 2 shown]
	s_mov_b32 s24, exec_lo
	s_waitcnt lgkmcnt(0)
	s_ashr_i32 s0, s45, 31
	s_delay_alu instid0(SALU_CYCLE_1) | instskip(NEXT) | instid1(VALU_DEP_1)
	v_or_b32_e32 v3, s0, v11
	v_cmpx_ne_u64_e32 0, v[2:3]
	s_xor_b32 s46, exec_lo, s24
	s_cbranch_execz .LBB93_28
; %bb.27:                               ;   in Loop: Header=BB93_22 Depth=2
	s_add_u32 s28, s45, s0
	s_mov_b32 s24, s0
	s_mov_b32 s25, s0
	s_addc_u32 s29, s0, s0
	v_ashrrev_i32_e32 v17, 31, v11
	s_xor_b64 s[28:29], s[28:29], s[24:25]
	s_delay_alu instid0(SALU_CYCLE_1) | instskip(SKIP_3) | instid1(VALU_DEP_1)
	v_cvt_f32_u32_e32 v3, s28
	v_cvt_f32_u32_e32 v5, s29
	s_sub_u32 s0, 0, s28
	s_subb_u32 s47, 0, s29
	v_fmac_f32_e32 v3, 0x4f800000, v5
	s_delay_alu instid0(VALU_DEP_1) | instskip(SKIP_2) | instid1(VALU_DEP_1)
	v_rcp_f32_e32 v3, v3
	s_waitcnt_depctr 0xfff
	v_mul_f32_e32 v3, 0x5f7ffffc, v3
	v_mul_f32_e32 v5, 0x2f800000, v3
	s_delay_alu instid0(VALU_DEP_1) | instskip(NEXT) | instid1(VALU_DEP_1)
	v_trunc_f32_e32 v5, v5
	v_fmac_f32_e32 v3, 0xcf800000, v5
	v_cvt_u32_f32_e32 v5, v5
	s_delay_alu instid0(VALU_DEP_2) | instskip(NEXT) | instid1(VALU_DEP_2)
	v_cvt_u32_f32_e32 v3, v3
	v_mul_lo_u32 v7, s0, v5
	s_delay_alu instid0(VALU_DEP_2) | instskip(SKIP_1) | instid1(VALU_DEP_2)
	v_mul_hi_u32 v9, s0, v3
	v_mul_lo_u32 v12, s47, v3
	v_add_nc_u32_e32 v7, v9, v7
	v_mul_lo_u32 v9, s0, v3
	s_delay_alu instid0(VALU_DEP_2) | instskip(NEXT) | instid1(VALU_DEP_2)
	v_add_nc_u32_e32 v7, v7, v12
	v_mul_hi_u32 v12, v3, v9
	s_delay_alu instid0(VALU_DEP_2)
	v_mul_lo_u32 v13, v3, v7
	v_mul_hi_u32 v14, v3, v7
	v_mul_hi_u32 v15, v5, v9
	v_mul_lo_u32 v9, v5, v9
	v_mul_hi_u32 v16, v5, v7
	v_mul_lo_u32 v7, v5, v7
	v_add_co_u32 v12, vcc_lo, v12, v13
	v_add_co_ci_u32_e32 v13, vcc_lo, 0, v14, vcc_lo
	s_delay_alu instid0(VALU_DEP_2) | instskip(NEXT) | instid1(VALU_DEP_2)
	v_add_co_u32 v9, vcc_lo, v12, v9
	v_add_co_ci_u32_e32 v9, vcc_lo, v13, v15, vcc_lo
	v_add_co_ci_u32_e32 v12, vcc_lo, 0, v16, vcc_lo
	s_delay_alu instid0(VALU_DEP_2) | instskip(NEXT) | instid1(VALU_DEP_2)
	v_add_co_u32 v7, vcc_lo, v9, v7
	v_add_co_ci_u32_e32 v9, vcc_lo, 0, v12, vcc_lo
	s_delay_alu instid0(VALU_DEP_2) | instskip(NEXT) | instid1(VALU_DEP_2)
	v_add_co_u32 v3, vcc_lo, v3, v7
	v_add_co_ci_u32_e32 v5, vcc_lo, v5, v9, vcc_lo
	s_delay_alu instid0(VALU_DEP_2) | instskip(SKIP_1) | instid1(VALU_DEP_3)
	v_mul_hi_u32 v7, s0, v3
	v_mul_lo_u32 v12, s47, v3
	v_mul_lo_u32 v9, s0, v5
	s_delay_alu instid0(VALU_DEP_1) | instskip(SKIP_1) | instid1(VALU_DEP_2)
	v_add_nc_u32_e32 v7, v7, v9
	v_mul_lo_u32 v9, s0, v3
	v_add_nc_u32_e32 v7, v7, v12
	s_delay_alu instid0(VALU_DEP_2) | instskip(NEXT) | instid1(VALU_DEP_2)
	v_mul_hi_u32 v12, v3, v9
	v_mul_lo_u32 v13, v3, v7
	v_mul_hi_u32 v14, v3, v7
	v_mul_hi_u32 v15, v5, v9
	v_mul_lo_u32 v9, v5, v9
	v_mul_hi_u32 v16, v5, v7
	v_mul_lo_u32 v7, v5, v7
	v_add_co_u32 v12, vcc_lo, v12, v13
	v_add_co_ci_u32_e32 v13, vcc_lo, 0, v14, vcc_lo
	s_delay_alu instid0(VALU_DEP_2) | instskip(NEXT) | instid1(VALU_DEP_2)
	v_add_co_u32 v9, vcc_lo, v12, v9
	v_add_co_ci_u32_e32 v9, vcc_lo, v13, v15, vcc_lo
	v_add_co_ci_u32_e32 v12, vcc_lo, 0, v16, vcc_lo
	v_add_co_u32 v13, vcc_lo, v10, v17
	v_add_co_ci_u32_e32 v11, vcc_lo, v11, v17, vcc_lo
	s_delay_alu instid0(VALU_DEP_4) | instskip(NEXT) | instid1(VALU_DEP_4)
	v_add_co_u32 v7, vcc_lo, v9, v7
	v_add_co_ci_u32_e32 v9, vcc_lo, 0, v12, vcc_lo
	s_delay_alu instid0(VALU_DEP_4) | instskip(NEXT) | instid1(VALU_DEP_3)
	v_xor_b32_e32 v21, v13, v17
	v_add_co_u32 v3, vcc_lo, v3, v7
	s_delay_alu instid0(VALU_DEP_3) | instskip(SKIP_1) | instid1(VALU_DEP_3)
	v_add_co_ci_u32_e32 v5, vcc_lo, v5, v9, vcc_lo
	v_xor_b32_e32 v7, v11, v17
	v_mul_hi_u32 v9, v21, v3
	s_delay_alu instid0(VALU_DEP_3) | instskip(NEXT) | instid1(VALU_DEP_3)
	v_mad_u64_u32 v[11:12], null, v21, v5, 0
	v_mad_u64_u32 v[13:14], null, v7, v3, 0
	;; [unrolled: 1-line block ×3, first 2 shown]
	s_delay_alu instid0(VALU_DEP_3) | instskip(NEXT) | instid1(VALU_DEP_4)
	v_add_co_u32 v3, vcc_lo, v9, v11
	v_add_co_ci_u32_e32 v5, vcc_lo, 0, v12, vcc_lo
	s_delay_alu instid0(VALU_DEP_2) | instskip(NEXT) | instid1(VALU_DEP_2)
	v_add_co_u32 v3, vcc_lo, v3, v13
	v_add_co_ci_u32_e32 v3, vcc_lo, v5, v14, vcc_lo
	v_add_co_ci_u32_e32 v5, vcc_lo, 0, v16, vcc_lo
	s_delay_alu instid0(VALU_DEP_2) | instskip(NEXT) | instid1(VALU_DEP_2)
	v_add_co_u32 v3, vcc_lo, v3, v15
	v_add_co_ci_u32_e32 v5, vcc_lo, 0, v5, vcc_lo
	s_delay_alu instid0(VALU_DEP_2) | instskip(SKIP_1) | instid1(VALU_DEP_3)
	v_mul_lo_u32 v9, s29, v3
	v_mad_u64_u32 v[11:12], null, s28, v3, 0
	v_mul_lo_u32 v13, s28, v5
	s_delay_alu instid0(VALU_DEP_2) | instskip(NEXT) | instid1(VALU_DEP_2)
	v_sub_co_u32 v11, vcc_lo, v21, v11
	v_add3_u32 v9, v12, v13, v9
	s_delay_alu instid0(VALU_DEP_1) | instskip(NEXT) | instid1(VALU_DEP_1)
	v_sub_nc_u32_e32 v12, v7, v9
	v_subrev_co_ci_u32_e64 v12, s0, s29, v12, vcc_lo
	v_add_co_u32 v13, s0, v3, 2
	s_delay_alu instid0(VALU_DEP_1) | instskip(SKIP_3) | instid1(VALU_DEP_3)
	v_add_co_ci_u32_e64 v14, s0, 0, v5, s0
	v_sub_co_u32 v15, s0, v11, s28
	v_sub_co_ci_u32_e32 v7, vcc_lo, v7, v9, vcc_lo
	v_subrev_co_ci_u32_e64 v12, s0, 0, v12, s0
	v_cmp_le_u32_e32 vcc_lo, s28, v15
	s_delay_alu instid0(VALU_DEP_3) | instskip(SKIP_1) | instid1(VALU_DEP_4)
	v_cmp_eq_u32_e64 s0, s29, v7
	v_cndmask_b32_e64 v9, 0, -1, vcc_lo
	v_cmp_le_u32_e32 vcc_lo, s29, v12
	v_cndmask_b32_e64 v15, 0, -1, vcc_lo
	v_cmp_le_u32_e32 vcc_lo, s28, v11
	;; [unrolled: 2-line block ×3, first 2 shown]
	v_cndmask_b32_e64 v16, 0, -1, vcc_lo
	v_cmp_eq_u32_e32 vcc_lo, s29, v12
	s_delay_alu instid0(VALU_DEP_2) | instskip(SKIP_3) | instid1(VALU_DEP_3)
	v_cndmask_b32_e64 v7, v16, v11, s0
	v_cndmask_b32_e32 v9, v15, v9, vcc_lo
	v_add_co_u32 v12, vcc_lo, v3, 1
	v_add_co_ci_u32_e32 v15, vcc_lo, 0, v5, vcc_lo
	v_cmp_ne_u32_e32 vcc_lo, 0, v9
	s_delay_alu instid0(VALU_DEP_2) | instskip(NEXT) | instid1(VALU_DEP_4)
	v_cndmask_b32_e32 v9, v15, v14, vcc_lo
	v_cndmask_b32_e32 v11, v12, v13, vcc_lo
	v_cmp_ne_u32_e32 vcc_lo, 0, v7
	v_xor_b32_e32 v7, s24, v17
	s_delay_alu instid0(VALU_DEP_3) | instskip(SKIP_2) | instid1(VALU_DEP_3)
	v_cndmask_b32_e32 v3, v3, v11, vcc_lo
	v_cndmask_b32_e32 v5, v5, v9, vcc_lo
	v_xor_b32_e32 v9, s25, v17
	v_xor_b32_e32 v3, v3, v7
	s_delay_alu instid0(VALU_DEP_2) | instskip(NEXT) | instid1(VALU_DEP_2)
	v_xor_b32_e32 v5, v5, v9
	v_sub_co_u32 v12, vcc_lo, v3, v7
	s_delay_alu instid0(VALU_DEP_2)
	v_sub_co_ci_u32_e32 v13, vcc_lo, v5, v9, vcc_lo
.LBB93_28:                              ;   in Loop: Header=BB93_22 Depth=2
	s_and_not1_saveexec_b32 s0, s46
	s_cbranch_execz .LBB93_30
; %bb.29:                               ;   in Loop: Header=BB93_22 Depth=2
	v_cvt_f32_u32_e32 v3, s45
	s_sub_i32 s24, 0, s45
	v_mov_b32_e32 v13, v2
	s_delay_alu instid0(VALU_DEP_2) | instskip(SKIP_2) | instid1(VALU_DEP_1)
	v_rcp_iflag_f32_e32 v3, v3
	s_waitcnt_depctr 0xfff
	v_mul_f32_e32 v3, 0x4f7ffffe, v3
	v_cvt_u32_f32_e32 v3, v3
	s_delay_alu instid0(VALU_DEP_1) | instskip(NEXT) | instid1(VALU_DEP_1)
	v_mul_lo_u32 v5, s24, v3
	v_mul_hi_u32 v5, v3, v5
	s_delay_alu instid0(VALU_DEP_1) | instskip(NEXT) | instid1(VALU_DEP_1)
	v_add_nc_u32_e32 v3, v3, v5
	v_mul_hi_u32 v3, v10, v3
	s_delay_alu instid0(VALU_DEP_1) | instskip(SKIP_1) | instid1(VALU_DEP_2)
	v_mul_lo_u32 v5, v3, s45
	v_add_nc_u32_e32 v7, 1, v3
	v_sub_nc_u32_e32 v5, v10, v5
	s_delay_alu instid0(VALU_DEP_1) | instskip(SKIP_1) | instid1(VALU_DEP_4)
	v_cmp_le_u32_e32 vcc_lo, s45, v5
	v_subrev_nc_u32_e32 v9, s45, v5
	v_cndmask_b32_e32 v3, v3, v7, vcc_lo
	s_delay_alu instid0(VALU_DEP_1) | instskip(NEXT) | instid1(VALU_DEP_3)
	v_add_nc_u32_e32 v7, 1, v3
	v_cndmask_b32_e32 v5, v5, v9, vcc_lo
	s_delay_alu instid0(VALU_DEP_1) | instskip(NEXT) | instid1(VALU_DEP_3)
	v_cmp_le_u32_e32 vcc_lo, s45, v5
	v_cndmask_b32_e32 v12, v3, v7, vcc_lo
.LBB93_30:                              ;   in Loop: Header=BB93_22 Depth=2
	s_or_b32 exec_lo, exec_lo, s0
	s_add_u32 s28, s36, s26
	s_addc_u32 s29, s37, s27
	s_add_i32 s24, s16, -2
	s_mov_b32 s25, s17
                                        ; implicit-def: $vgpr14_vgpr15
	s_delay_alu instid0(SALU_CYCLE_1) | instskip(NEXT) | instid1(SALU_CYCLE_1)
	s_lshl_b64 s[24:25], s[24:25], 2
	s_add_u32 s26, s31, s24
	s_addc_u32 s27, s33, s25
	s_clause 0x2
	s_load_b32 s48, s[26:27], 0x8
	s_load_b32 s46, s[22:23], 0x6c
	;; [unrolled: 1-line block ×3, first 2 shown]
	s_mov_b32 s22, exec_lo
	s_waitcnt lgkmcnt(0)
	s_ashr_i32 s0, s48, 31
	s_delay_alu instid0(SALU_CYCLE_1) | instskip(NEXT) | instid1(VALU_DEP_1)
	v_or_b32_e32 v3, s0, v13
	v_cmpx_ne_u64_e32 0, v[2:3]
	s_xor_b32 s49, exec_lo, s22
	s_cbranch_execz .LBB93_32
; %bb.31:                               ;   in Loop: Header=BB93_22 Depth=2
	s_add_u32 s28, s48, s0
	s_mov_b32 s22, s0
	s_mov_b32 s23, s0
	s_addc_u32 s29, s0, s0
	s_delay_alu instid0(SALU_CYCLE_1) | instskip(NEXT) | instid1(SALU_CYCLE_1)
	s_xor_b64 s[28:29], s[28:29], s[22:23]
	v_cvt_f32_u32_e32 v3, s28
	v_cvt_f32_u32_e32 v5, s29
	s_sub_u32 s0, 0, s28
	s_subb_u32 s50, 0, s29
	s_delay_alu instid0(VALU_DEP_1) | instskip(NEXT) | instid1(VALU_DEP_1)
	v_fmac_f32_e32 v3, 0x4f800000, v5
	v_rcp_f32_e32 v3, v3
	s_waitcnt_depctr 0xfff
	v_mul_f32_e32 v3, 0x5f7ffffc, v3
	s_delay_alu instid0(VALU_DEP_1) | instskip(NEXT) | instid1(VALU_DEP_1)
	v_mul_f32_e32 v5, 0x2f800000, v3
	v_trunc_f32_e32 v5, v5
	s_delay_alu instid0(VALU_DEP_1) | instskip(SKIP_1) | instid1(VALU_DEP_2)
	v_fmac_f32_e32 v3, 0xcf800000, v5
	v_cvt_u32_f32_e32 v5, v5
	v_cvt_u32_f32_e32 v3, v3
	s_delay_alu instid0(VALU_DEP_2) | instskip(NEXT) | instid1(VALU_DEP_2)
	v_mul_lo_u32 v7, s0, v5
	v_mul_hi_u32 v9, s0, v3
	v_mul_lo_u32 v11, s50, v3
	s_delay_alu instid0(VALU_DEP_2) | instskip(SKIP_1) | instid1(VALU_DEP_2)
	v_add_nc_u32_e32 v7, v9, v7
	v_mul_lo_u32 v9, s0, v3
	v_add_nc_u32_e32 v7, v7, v11
	s_delay_alu instid0(VALU_DEP_2) | instskip(NEXT) | instid1(VALU_DEP_2)
	v_mul_hi_u32 v11, v3, v9
	v_mul_lo_u32 v14, v3, v7
	v_mul_hi_u32 v15, v3, v7
	v_mul_hi_u32 v16, v5, v9
	v_mul_lo_u32 v9, v5, v9
	v_mul_hi_u32 v17, v5, v7
	v_mul_lo_u32 v7, v5, v7
	v_add_co_u32 v11, vcc_lo, v11, v14
	v_add_co_ci_u32_e32 v14, vcc_lo, 0, v15, vcc_lo
	s_delay_alu instid0(VALU_DEP_2) | instskip(NEXT) | instid1(VALU_DEP_2)
	v_add_co_u32 v9, vcc_lo, v11, v9
	v_add_co_ci_u32_e32 v9, vcc_lo, v14, v16, vcc_lo
	v_add_co_ci_u32_e32 v11, vcc_lo, 0, v17, vcc_lo
	v_ashrrev_i32_e32 v17, 31, v13
	s_delay_alu instid0(VALU_DEP_3) | instskip(NEXT) | instid1(VALU_DEP_3)
	v_add_co_u32 v7, vcc_lo, v9, v7
	v_add_co_ci_u32_e32 v9, vcc_lo, 0, v11, vcc_lo
	s_delay_alu instid0(VALU_DEP_2) | instskip(NEXT) | instid1(VALU_DEP_2)
	v_add_co_u32 v3, vcc_lo, v3, v7
	v_add_co_ci_u32_e32 v5, vcc_lo, v5, v9, vcc_lo
	s_delay_alu instid0(VALU_DEP_2) | instskip(SKIP_1) | instid1(VALU_DEP_3)
	v_mul_hi_u32 v7, s0, v3
	v_mul_lo_u32 v11, s50, v3
	v_mul_lo_u32 v9, s0, v5
	s_delay_alu instid0(VALU_DEP_1) | instskip(SKIP_1) | instid1(VALU_DEP_2)
	v_add_nc_u32_e32 v7, v7, v9
	v_mul_lo_u32 v9, s0, v3
	v_add_nc_u32_e32 v7, v7, v11
	s_delay_alu instid0(VALU_DEP_2) | instskip(NEXT) | instid1(VALU_DEP_2)
	v_mul_hi_u32 v11, v3, v9
	v_mul_lo_u32 v14, v3, v7
	v_mul_hi_u32 v15, v3, v7
	v_mul_hi_u32 v16, v5, v9
	v_mul_lo_u32 v9, v5, v9
	v_mul_hi_u32 v21, v5, v7
	v_mul_lo_u32 v7, v5, v7
	v_add_co_u32 v11, vcc_lo, v11, v14
	v_add_co_ci_u32_e32 v14, vcc_lo, 0, v15, vcc_lo
	s_delay_alu instid0(VALU_DEP_2) | instskip(NEXT) | instid1(VALU_DEP_2)
	v_add_co_u32 v9, vcc_lo, v11, v9
	v_add_co_ci_u32_e32 v9, vcc_lo, v14, v16, vcc_lo
	v_add_co_ci_u32_e32 v11, vcc_lo, 0, v21, vcc_lo
	v_add_co_u32 v14, vcc_lo, v12, v17
	v_add_co_ci_u32_e32 v13, vcc_lo, v13, v17, vcc_lo
	s_delay_alu instid0(VALU_DEP_4) | instskip(NEXT) | instid1(VALU_DEP_4)
	v_add_co_u32 v7, vcc_lo, v9, v7
	v_add_co_ci_u32_e32 v9, vcc_lo, 0, v11, vcc_lo
	s_delay_alu instid0(VALU_DEP_4) | instskip(NEXT) | instid1(VALU_DEP_3)
	v_xor_b32_e32 v11, v14, v17
	v_add_co_u32 v3, vcc_lo, v3, v7
	s_delay_alu instid0(VALU_DEP_3) | instskip(SKIP_1) | instid1(VALU_DEP_3)
	v_add_co_ci_u32_e32 v5, vcc_lo, v5, v9, vcc_lo
	v_xor_b32_e32 v7, v13, v17
	v_mul_hi_u32 v9, v11, v3
	s_delay_alu instid0(VALU_DEP_3) | instskip(NEXT) | instid1(VALU_DEP_3)
	v_mad_u64_u32 v[13:14], null, v11, v5, 0
	v_mad_u64_u32 v[15:16], null, v7, v3, 0
	;; [unrolled: 1-line block ×3, first 2 shown]
	s_delay_alu instid0(VALU_DEP_3) | instskip(NEXT) | instid1(VALU_DEP_4)
	v_add_co_u32 v3, vcc_lo, v9, v13
	v_add_co_ci_u32_e32 v5, vcc_lo, 0, v14, vcc_lo
	s_delay_alu instid0(VALU_DEP_2) | instskip(NEXT) | instid1(VALU_DEP_2)
	v_add_co_u32 v3, vcc_lo, v3, v15
	v_add_co_ci_u32_e32 v3, vcc_lo, v5, v16, vcc_lo
	v_add_co_ci_u32_e32 v5, vcc_lo, 0, v22, vcc_lo
	s_delay_alu instid0(VALU_DEP_2) | instskip(NEXT) | instid1(VALU_DEP_2)
	v_add_co_u32 v3, vcc_lo, v3, v21
	v_add_co_ci_u32_e32 v5, vcc_lo, 0, v5, vcc_lo
	s_delay_alu instid0(VALU_DEP_2) | instskip(SKIP_1) | instid1(VALU_DEP_3)
	v_mul_lo_u32 v9, s29, v3
	v_mad_u64_u32 v[13:14], null, s28, v3, 0
	v_mul_lo_u32 v15, s28, v5
	s_delay_alu instid0(VALU_DEP_2) | instskip(NEXT) | instid1(VALU_DEP_2)
	v_sub_co_u32 v11, vcc_lo, v11, v13
	v_add3_u32 v9, v14, v15, v9
	s_delay_alu instid0(VALU_DEP_1) | instskip(NEXT) | instid1(VALU_DEP_1)
	v_sub_nc_u32_e32 v14, v7, v9
	v_subrev_co_ci_u32_e64 v13, s0, s29, v14, vcc_lo
	v_add_co_u32 v14, s0, v3, 2
	s_delay_alu instid0(VALU_DEP_1) | instskip(SKIP_3) | instid1(VALU_DEP_3)
	v_add_co_ci_u32_e64 v15, s0, 0, v5, s0
	v_sub_co_u32 v16, s0, v11, s28
	v_sub_co_ci_u32_e32 v7, vcc_lo, v7, v9, vcc_lo
	v_subrev_co_ci_u32_e64 v13, s0, 0, v13, s0
	v_cmp_le_u32_e32 vcc_lo, s28, v16
	s_delay_alu instid0(VALU_DEP_3) | instskip(SKIP_1) | instid1(VALU_DEP_4)
	v_cmp_eq_u32_e64 s0, s29, v7
	v_cndmask_b32_e64 v9, 0, -1, vcc_lo
	v_cmp_le_u32_e32 vcc_lo, s29, v13
	v_cndmask_b32_e64 v16, 0, -1, vcc_lo
	v_cmp_le_u32_e32 vcc_lo, s28, v11
	;; [unrolled: 2-line block ×3, first 2 shown]
	v_cndmask_b32_e64 v21, 0, -1, vcc_lo
	v_cmp_eq_u32_e32 vcc_lo, s29, v13
	s_delay_alu instid0(VALU_DEP_2) | instskip(SKIP_3) | instid1(VALU_DEP_3)
	v_cndmask_b32_e64 v7, v21, v11, s0
	v_cndmask_b32_e32 v9, v16, v9, vcc_lo
	v_add_co_u32 v13, vcc_lo, v3, 1
	v_add_co_ci_u32_e32 v16, vcc_lo, 0, v5, vcc_lo
	v_cmp_ne_u32_e32 vcc_lo, 0, v9
	s_delay_alu instid0(VALU_DEP_2) | instskip(NEXT) | instid1(VALU_DEP_4)
	v_cndmask_b32_e32 v9, v16, v15, vcc_lo
	v_cndmask_b32_e32 v11, v13, v14, vcc_lo
	v_cmp_ne_u32_e32 vcc_lo, 0, v7
	v_xor_b32_e32 v7, s22, v17
	s_delay_alu instid0(VALU_DEP_3) | instskip(SKIP_2) | instid1(VALU_DEP_3)
	v_cndmask_b32_e32 v3, v3, v11, vcc_lo
	v_cndmask_b32_e32 v5, v5, v9, vcc_lo
	v_xor_b32_e32 v9, s23, v17
	v_xor_b32_e32 v3, v3, v7
	s_delay_alu instid0(VALU_DEP_2) | instskip(NEXT) | instid1(VALU_DEP_2)
	v_xor_b32_e32 v5, v5, v9
	v_sub_co_u32 v14, vcc_lo, v3, v7
	s_delay_alu instid0(VALU_DEP_2)
	v_sub_co_ci_u32_e32 v15, vcc_lo, v5, v9, vcc_lo
.LBB93_32:                              ;   in Loop: Header=BB93_22 Depth=2
	s_and_not1_saveexec_b32 s0, s49
	s_cbranch_execz .LBB93_34
; %bb.33:                               ;   in Loop: Header=BB93_22 Depth=2
	v_cvt_f32_u32_e32 v3, s48
	s_sub_i32 s22, 0, s48
	v_mov_b32_e32 v15, v2
	s_delay_alu instid0(VALU_DEP_2) | instskip(SKIP_2) | instid1(VALU_DEP_1)
	v_rcp_iflag_f32_e32 v3, v3
	s_waitcnt_depctr 0xfff
	v_mul_f32_e32 v3, 0x4f7ffffe, v3
	v_cvt_u32_f32_e32 v3, v3
	s_delay_alu instid0(VALU_DEP_1) | instskip(NEXT) | instid1(VALU_DEP_1)
	v_mul_lo_u32 v5, s22, v3
	v_mul_hi_u32 v5, v3, v5
	s_delay_alu instid0(VALU_DEP_1) | instskip(NEXT) | instid1(VALU_DEP_1)
	v_add_nc_u32_e32 v3, v3, v5
	v_mul_hi_u32 v3, v12, v3
	s_delay_alu instid0(VALU_DEP_1) | instskip(SKIP_1) | instid1(VALU_DEP_2)
	v_mul_lo_u32 v5, v3, s48
	v_add_nc_u32_e32 v7, 1, v3
	v_sub_nc_u32_e32 v5, v12, v5
	s_delay_alu instid0(VALU_DEP_1) | instskip(SKIP_1) | instid1(VALU_DEP_4)
	v_cmp_le_u32_e32 vcc_lo, s48, v5
	v_subrev_nc_u32_e32 v9, s48, v5
	v_cndmask_b32_e32 v3, v3, v7, vcc_lo
	s_delay_alu instid0(VALU_DEP_1) | instskip(NEXT) | instid1(VALU_DEP_3)
	v_add_nc_u32_e32 v7, 1, v3
	v_cndmask_b32_e32 v5, v5, v9, vcc_lo
	s_delay_alu instid0(VALU_DEP_1) | instskip(NEXT) | instid1(VALU_DEP_3)
	v_cmp_le_u32_e32 vcc_lo, s48, v5
	v_cndmask_b32_e32 v14, v3, v7, vcc_lo
.LBB93_34:                              ;   in Loop: Header=BB93_22 Depth=2
	s_or_b32 exec_lo, exec_lo, s0
	s_add_u32 s28, s36, s24
	s_addc_u32 s29, s37, s25
	s_add_i32 s22, s16, -3
	s_mov_b32 s23, s17
                                        ; implicit-def: $vgpr16_vgpr17
	s_delay_alu instid0(SALU_CYCLE_1) | instskip(NEXT) | instid1(SALU_CYCLE_1)
	s_lshl_b64 s[24:25], s[22:23], 2
	s_add_u32 s22, s31, s24
	s_addc_u32 s23, s33, s25
	s_clause 0x2
	s_load_b32 s51, s[22:23], 0x8
	s_load_b32 s49, s[26:27], 0x6c
	;; [unrolled: 1-line block ×3, first 2 shown]
	s_mov_b32 s26, exec_lo
	s_waitcnt lgkmcnt(0)
	s_ashr_i32 s0, s51, 31
	s_delay_alu instid0(SALU_CYCLE_1) | instskip(NEXT) | instid1(VALU_DEP_1)
	v_or_b32_e32 v3, s0, v15
	v_cmpx_ne_u64_e32 0, v[2:3]
	s_xor_b32 s52, exec_lo, s26
	s_cbranch_execz .LBB93_36
; %bb.35:                               ;   in Loop: Header=BB93_22 Depth=2
	s_add_u32 s28, s51, s0
	s_mov_b32 s26, s0
	s_mov_b32 s27, s0
	s_addc_u32 s29, s0, s0
	s_delay_alu instid0(SALU_CYCLE_1) | instskip(NEXT) | instid1(SALU_CYCLE_1)
	s_xor_b64 s[28:29], s[28:29], s[26:27]
	v_cvt_f32_u32_e32 v3, s28
	v_cvt_f32_u32_e32 v5, s29
	s_sub_u32 s0, 0, s28
	s_subb_u32 s53, 0, s29
	s_delay_alu instid0(VALU_DEP_1) | instskip(NEXT) | instid1(VALU_DEP_1)
	v_fmac_f32_e32 v3, 0x4f800000, v5
	v_rcp_f32_e32 v3, v3
	s_waitcnt_depctr 0xfff
	v_mul_f32_e32 v3, 0x5f7ffffc, v3
	s_delay_alu instid0(VALU_DEP_1) | instskip(NEXT) | instid1(VALU_DEP_1)
	v_mul_f32_e32 v5, 0x2f800000, v3
	v_trunc_f32_e32 v5, v5
	s_delay_alu instid0(VALU_DEP_1) | instskip(SKIP_1) | instid1(VALU_DEP_2)
	v_fmac_f32_e32 v3, 0xcf800000, v5
	v_cvt_u32_f32_e32 v5, v5
	v_cvt_u32_f32_e32 v3, v3
	s_delay_alu instid0(VALU_DEP_2) | instskip(NEXT) | instid1(VALU_DEP_2)
	v_mul_lo_u32 v7, s0, v5
	v_mul_hi_u32 v9, s0, v3
	v_mul_lo_u32 v11, s53, v3
	s_delay_alu instid0(VALU_DEP_2) | instskip(SKIP_1) | instid1(VALU_DEP_2)
	v_add_nc_u32_e32 v7, v9, v7
	v_mul_lo_u32 v9, s0, v3
	v_add_nc_u32_e32 v7, v7, v11
	s_delay_alu instid0(VALU_DEP_2) | instskip(NEXT) | instid1(VALU_DEP_2)
	v_mul_hi_u32 v11, v3, v9
	v_mul_lo_u32 v13, v3, v7
	v_mul_hi_u32 v16, v3, v7
	v_mul_hi_u32 v17, v5, v9
	v_mul_lo_u32 v9, v5, v9
	v_mul_hi_u32 v21, v5, v7
	v_mul_lo_u32 v7, v5, v7
	v_add_co_u32 v11, vcc_lo, v11, v13
	v_add_co_ci_u32_e32 v13, vcc_lo, 0, v16, vcc_lo
	s_delay_alu instid0(VALU_DEP_2) | instskip(NEXT) | instid1(VALU_DEP_2)
	v_add_co_u32 v9, vcc_lo, v11, v9
	v_add_co_ci_u32_e32 v9, vcc_lo, v13, v17, vcc_lo
	v_add_co_ci_u32_e32 v11, vcc_lo, 0, v21, vcc_lo
	v_ashrrev_i32_e32 v17, 31, v15
	s_delay_alu instid0(VALU_DEP_3) | instskip(NEXT) | instid1(VALU_DEP_3)
	v_add_co_u32 v7, vcc_lo, v9, v7
	v_add_co_ci_u32_e32 v9, vcc_lo, 0, v11, vcc_lo
	s_delay_alu instid0(VALU_DEP_2) | instskip(NEXT) | instid1(VALU_DEP_2)
	v_add_co_u32 v3, vcc_lo, v3, v7
	v_add_co_ci_u32_e32 v5, vcc_lo, v5, v9, vcc_lo
	s_delay_alu instid0(VALU_DEP_2) | instskip(SKIP_1) | instid1(VALU_DEP_3)
	v_mul_hi_u32 v7, s0, v3
	v_mul_lo_u32 v11, s53, v3
	v_mul_lo_u32 v9, s0, v5
	s_delay_alu instid0(VALU_DEP_1) | instskip(SKIP_1) | instid1(VALU_DEP_2)
	v_add_nc_u32_e32 v7, v7, v9
	v_mul_lo_u32 v9, s0, v3
	v_add_nc_u32_e32 v7, v7, v11
	s_delay_alu instid0(VALU_DEP_2) | instskip(NEXT) | instid1(VALU_DEP_2)
	v_mul_hi_u32 v11, v3, v9
	v_mul_lo_u32 v13, v3, v7
	v_mul_hi_u32 v16, v3, v7
	v_mul_hi_u32 v21, v5, v9
	v_mul_lo_u32 v9, v5, v9
	v_mul_hi_u32 v22, v5, v7
	v_mul_lo_u32 v7, v5, v7
	v_add_co_u32 v11, vcc_lo, v11, v13
	v_add_co_ci_u32_e32 v13, vcc_lo, 0, v16, vcc_lo
	s_delay_alu instid0(VALU_DEP_2) | instskip(NEXT) | instid1(VALU_DEP_2)
	v_add_co_u32 v9, vcc_lo, v11, v9
	v_add_co_ci_u32_e32 v9, vcc_lo, v13, v21, vcc_lo
	v_add_co_ci_u32_e32 v11, vcc_lo, 0, v22, vcc_lo
	v_add_co_u32 v13, vcc_lo, v14, v17
	v_add_co_ci_u32_e32 v15, vcc_lo, v15, v17, vcc_lo
	s_delay_alu instid0(VALU_DEP_4) | instskip(NEXT) | instid1(VALU_DEP_4)
	v_add_co_u32 v7, vcc_lo, v9, v7
	v_add_co_ci_u32_e32 v9, vcc_lo, 0, v11, vcc_lo
	s_delay_alu instid0(VALU_DEP_4) | instskip(NEXT) | instid1(VALU_DEP_3)
	v_xor_b32_e32 v11, v13, v17
	v_add_co_u32 v3, vcc_lo, v3, v7
	s_delay_alu instid0(VALU_DEP_3) | instskip(SKIP_1) | instid1(VALU_DEP_3)
	v_add_co_ci_u32_e32 v5, vcc_lo, v5, v9, vcc_lo
	v_xor_b32_e32 v7, v15, v17
	v_mul_hi_u32 v9, v11, v3
	s_delay_alu instid0(VALU_DEP_3) | instskip(NEXT) | instid1(VALU_DEP_3)
	v_mad_u64_u32 v[15:16], null, v11, v5, 0
	v_mad_u64_u32 v[21:22], null, v7, v3, 0
	;; [unrolled: 1-line block ×3, first 2 shown]
	s_delay_alu instid0(VALU_DEP_3) | instskip(NEXT) | instid1(VALU_DEP_4)
	v_add_co_u32 v3, vcc_lo, v9, v15
	v_add_co_ci_u32_e32 v5, vcc_lo, 0, v16, vcc_lo
	s_delay_alu instid0(VALU_DEP_2) | instskip(NEXT) | instid1(VALU_DEP_2)
	v_add_co_u32 v3, vcc_lo, v3, v21
	v_add_co_ci_u32_e32 v3, vcc_lo, v5, v22, vcc_lo
	v_add_co_ci_u32_e32 v5, vcc_lo, 0, v24, vcc_lo
	s_delay_alu instid0(VALU_DEP_2) | instskip(NEXT) | instid1(VALU_DEP_2)
	v_add_co_u32 v3, vcc_lo, v3, v23
	v_add_co_ci_u32_e32 v5, vcc_lo, 0, v5, vcc_lo
	s_delay_alu instid0(VALU_DEP_2) | instskip(SKIP_1) | instid1(VALU_DEP_3)
	v_mul_lo_u32 v9, s29, v3
	v_mad_u64_u32 v[15:16], null, s28, v3, 0
	v_mul_lo_u32 v13, s28, v5
	s_delay_alu instid0(VALU_DEP_2) | instskip(NEXT) | instid1(VALU_DEP_2)
	v_sub_co_u32 v11, vcc_lo, v11, v15
	v_add3_u32 v9, v16, v13, v9
	s_delay_alu instid0(VALU_DEP_1) | instskip(NEXT) | instid1(VALU_DEP_1)
	v_sub_nc_u32_e32 v13, v7, v9
	v_subrev_co_ci_u32_e64 v13, s0, s29, v13, vcc_lo
	v_add_co_u32 v15, s0, v3, 2
	s_delay_alu instid0(VALU_DEP_1) | instskip(SKIP_3) | instid1(VALU_DEP_3)
	v_add_co_ci_u32_e64 v16, s0, 0, v5, s0
	v_sub_co_u32 v21, s0, v11, s28
	v_sub_co_ci_u32_e32 v7, vcc_lo, v7, v9, vcc_lo
	v_subrev_co_ci_u32_e64 v13, s0, 0, v13, s0
	v_cmp_le_u32_e32 vcc_lo, s28, v21
	s_delay_alu instid0(VALU_DEP_3) | instskip(SKIP_1) | instid1(VALU_DEP_4)
	v_cmp_eq_u32_e64 s0, s29, v7
	v_cndmask_b32_e64 v9, 0, -1, vcc_lo
	v_cmp_le_u32_e32 vcc_lo, s29, v13
	v_cndmask_b32_e64 v21, 0, -1, vcc_lo
	v_cmp_le_u32_e32 vcc_lo, s28, v11
	;; [unrolled: 2-line block ×3, first 2 shown]
	v_cndmask_b32_e64 v22, 0, -1, vcc_lo
	v_cmp_eq_u32_e32 vcc_lo, s29, v13
	s_delay_alu instid0(VALU_DEP_2) | instskip(SKIP_3) | instid1(VALU_DEP_3)
	v_cndmask_b32_e64 v7, v22, v11, s0
	v_cndmask_b32_e32 v9, v21, v9, vcc_lo
	v_add_co_u32 v13, vcc_lo, v3, 1
	v_add_co_ci_u32_e32 v21, vcc_lo, 0, v5, vcc_lo
	v_cmp_ne_u32_e32 vcc_lo, 0, v9
	s_delay_alu instid0(VALU_DEP_2) | instskip(NEXT) | instid1(VALU_DEP_4)
	v_cndmask_b32_e32 v9, v21, v16, vcc_lo
	v_cndmask_b32_e32 v11, v13, v15, vcc_lo
	v_cmp_ne_u32_e32 vcc_lo, 0, v7
	v_xor_b32_e32 v7, s26, v17
	s_delay_alu instid0(VALU_DEP_3) | instskip(SKIP_2) | instid1(VALU_DEP_3)
	v_cndmask_b32_e32 v3, v3, v11, vcc_lo
	v_cndmask_b32_e32 v5, v5, v9, vcc_lo
	v_xor_b32_e32 v9, s27, v17
	v_xor_b32_e32 v3, v3, v7
	s_delay_alu instid0(VALU_DEP_2) | instskip(NEXT) | instid1(VALU_DEP_2)
	v_xor_b32_e32 v5, v5, v9
	v_sub_co_u32 v16, vcc_lo, v3, v7
	s_delay_alu instid0(VALU_DEP_2)
	v_sub_co_ci_u32_e32 v17, vcc_lo, v5, v9, vcc_lo
.LBB93_36:                              ;   in Loop: Header=BB93_22 Depth=2
	s_and_not1_saveexec_b32 s0, s52
	s_cbranch_execz .LBB93_38
; %bb.37:                               ;   in Loop: Header=BB93_22 Depth=2
	v_cvt_f32_u32_e32 v3, s51
	s_sub_i32 s26, 0, s51
	v_mov_b32_e32 v17, v2
	s_delay_alu instid0(VALU_DEP_2) | instskip(SKIP_2) | instid1(VALU_DEP_1)
	v_rcp_iflag_f32_e32 v3, v3
	s_waitcnt_depctr 0xfff
	v_mul_f32_e32 v3, 0x4f7ffffe, v3
	v_cvt_u32_f32_e32 v3, v3
	s_delay_alu instid0(VALU_DEP_1) | instskip(NEXT) | instid1(VALU_DEP_1)
	v_mul_lo_u32 v5, s26, v3
	v_mul_hi_u32 v5, v3, v5
	s_delay_alu instid0(VALU_DEP_1) | instskip(NEXT) | instid1(VALU_DEP_1)
	v_add_nc_u32_e32 v3, v3, v5
	v_mul_hi_u32 v3, v14, v3
	s_delay_alu instid0(VALU_DEP_1) | instskip(SKIP_1) | instid1(VALU_DEP_2)
	v_mul_lo_u32 v5, v3, s51
	v_add_nc_u32_e32 v7, 1, v3
	v_sub_nc_u32_e32 v5, v14, v5
	s_delay_alu instid0(VALU_DEP_1) | instskip(SKIP_1) | instid1(VALU_DEP_4)
	v_cmp_le_u32_e32 vcc_lo, s51, v5
	v_subrev_nc_u32_e32 v9, s51, v5
	v_cndmask_b32_e32 v3, v3, v7, vcc_lo
	s_delay_alu instid0(VALU_DEP_1) | instskip(NEXT) | instid1(VALU_DEP_3)
	v_add_nc_u32_e32 v7, 1, v3
	v_cndmask_b32_e32 v5, v5, v9, vcc_lo
	s_delay_alu instid0(VALU_DEP_1) | instskip(NEXT) | instid1(VALU_DEP_3)
	v_cmp_le_u32_e32 vcc_lo, s51, v5
	v_cndmask_b32_e32 v16, v3, v7, vcc_lo
.LBB93_38:                              ;   in Loop: Header=BB93_22 Depth=2
	s_or_b32 exec_lo, exec_lo, s0
	s_add_u32 s24, s36, s24
	s_addc_u32 s25, s37, s25
	v_mul_lo_u32 v3, v10, s13
	s_clause 0x1
	s_load_b32 s0, s[22:23], 0x6c
	s_load_b32 s13, s[24:25], 0x0
	v_mul_lo_u32 v5, v12, s45
	v_mul_lo_u32 v7, v14, s48
	;; [unrolled: 1-line block ×3, first 2 shown]
	s_add_i32 s16, s16, -4
	s_delay_alu instid0(SALU_CYCLE_1) | instskip(SKIP_1) | instid1(VALU_DEP_4)
	s_cmp_eq_u32 s16, -1
	v_sub_nc_u32_e32 v3, v8, v3
	v_sub_nc_u32_e32 v5, v10, v5
	s_delay_alu instid0(VALU_DEP_4) | instskip(NEXT) | instid1(VALU_DEP_4)
	v_sub_nc_u32_e32 v7, v12, v7
	v_sub_nc_u32_e32 v8, v14, v9
	s_delay_alu instid0(VALU_DEP_4)
	v_mul_lo_u32 v9, s43, v3
	v_mul_lo_u32 v3, s44, v3
	;; [unrolled: 1-line block ×6, first 2 shown]
	s_waitcnt lgkmcnt(0)
	v_mul_lo_u32 v12, s0, v8
	v_mul_lo_u32 v8, s13, v8
	v_add3_u32 v6, v9, v6, v10
	v_add3_u32 v3, v3, v4, v5
	s_delay_alu instid0(VALU_DEP_2) | instskip(NEXT) | instid1(VALU_DEP_2)
	v_add3_u32 v6, v11, v6, v12
	v_add3_u32 v4, v7, v3, v8
	s_cbranch_scc1 .LBB93_40
; %bb.39:                               ;   in Loop: Header=BB93_22 Depth=2
	v_dual_mov_b32 v8, v16 :: v_dual_mov_b32 v9, v17
	s_branch .LBB93_22
.LBB93_40:                              ;   in Loop: Header=BB93_3 Depth=1
	v_sub_nc_u32_e32 v5, v19, v20
	v_dual_mov_b32 v3, 0 :: v_dual_mov_b32 v12, 0
	s_delay_alu instid0(VALU_DEP_2) | instskip(NEXT) | instid1(VALU_DEP_1)
	v_add_nc_u32_e32 v7, 4, v5
	v_ashrrev_i32_e32 v8, 31, v7
	s_delay_alu instid0(VALU_DEP_1)
	v_cmp_le_i64_e32 vcc_lo, s[4:5], v[7:8]
	v_dual_mov_b32 v8, 0 :: v_dual_mov_b32 v7, 0
	s_and_saveexec_b32 s0, vcc_lo
	s_cbranch_execz .LBB93_50
; %bb.41:                               ;   in Loop: Header=BB93_3 Depth=1
	v_dual_mov_b32 v11, 0 :: v_dual_mov_b32 v10, 0
	v_mov_b32_e32 v9, 0
	v_mov_b32_e32 v3, 0
	s_mov_b32 s13, exec_lo
	v_cmpx_gt_i32_e64 s9, v19
	s_cbranch_execz .LBB93_49
; %bb.42:                               ;   in Loop: Header=BB93_3 Depth=1
	v_ashrrev_i32_e32 v7, 31, v6
	v_dual_mov_b32 v10, 0 :: v_dual_add_nc_u32 v9, 1, v19
	v_mov_b32_e32 v11, 0
	s_delay_alu instid0(VALU_DEP_3) | instskip(NEXT) | instid1(VALU_DEP_1)
	v_lshlrev_b64 v[7:8], 1, v[6:7]
	v_add_co_u32 v7, vcc_lo, s2, v7
	s_delay_alu instid0(VALU_DEP_2) | instskip(SKIP_4) | instid1(SALU_CYCLE_1)
	v_add_co_ci_u32_e32 v8, vcc_lo, s3, v8, vcc_lo
	v_cmp_gt_i32_e32 vcc_lo, s9, v9
	v_mov_b32_e32 v9, 0
	global_load_u16 v3, v[7:8], off
	s_and_saveexec_b32 s16, vcc_lo
	s_xor_b32 s16, exec_lo, s16
	s_cbranch_execz .LBB93_48
; %bb.43:                               ;   in Loop: Header=BB93_3 Depth=1
	s_lshl_b64 s[22:23], s[18:19], 1
	v_mov_b32_e32 v11, 0
	v_add_co_u32 v7, vcc_lo, v7, s22
	v_add_co_ci_u32_e32 v8, vcc_lo, s23, v8, vcc_lo
	s_mov_b32 s22, exec_lo
	v_mov_b32_e32 v10, 0
	global_load_u16 v9, v[7:8], off
	v_add_nc_u32_e32 v7, 2, v19
	s_delay_alu instid0(VALU_DEP_1)
	v_cmpx_gt_i32_e64 s9, v7
	s_xor_b32 s22, exec_lo, s22
	s_cbranch_execz .LBB93_47
; %bb.44:                               ;   in Loop: Header=BB93_3 Depth=1
	v_add3_u32 v6, s18, s18, v6
	v_mov_b32_e32 v11, 0
	s_mov_b32 s23, exec_lo
	s_delay_alu instid0(VALU_DEP_2) | instskip(NEXT) | instid1(VALU_DEP_1)
	v_ashrrev_i32_e32 v7, 31, v6
	v_lshlrev_b64 v[7:8], 1, v[6:7]
	s_delay_alu instid0(VALU_DEP_1) | instskip(NEXT) | instid1(VALU_DEP_2)
	v_add_co_u32 v7, vcc_lo, s2, v7
	v_add_co_ci_u32_e32 v8, vcc_lo, s3, v8, vcc_lo
	global_load_u16 v10, v[7:8], off
	v_add_nc_u32_e32 v7, 3, v19
	s_delay_alu instid0(VALU_DEP_1)
	v_cmpx_gt_i32_e64 s9, v7
	s_xor_b32 s23, exec_lo, s23
	s_cbranch_execz .LBB93_46
; %bb.45:                               ;   in Loop: Header=BB93_3 Depth=1
	v_add_nc_u32_e32 v6, s18, v6
	s_delay_alu instid0(VALU_DEP_1) | instskip(NEXT) | instid1(VALU_DEP_1)
	v_ashrrev_i32_e32 v7, 31, v6
	v_lshlrev_b64 v[6:7], 1, v[6:7]
	s_delay_alu instid0(VALU_DEP_1) | instskip(NEXT) | instid1(VALU_DEP_2)
	v_add_co_u32 v6, vcc_lo, s2, v6
	v_add_co_ci_u32_e32 v7, vcc_lo, s3, v7, vcc_lo
	global_load_u16 v11, v[6:7], off
.LBB93_46:                              ;   in Loop: Header=BB93_3 Depth=1
	s_or_b32 exec_lo, exec_lo, s23
.LBB93_47:                              ;   in Loop: Header=BB93_3 Depth=1
	s_delay_alu instid0(SALU_CYCLE_1)
	s_or_b32 exec_lo, exec_lo, s22
.LBB93_48:                              ;   in Loop: Header=BB93_3 Depth=1
	s_delay_alu instid0(SALU_CYCLE_1)
	s_or_b32 exec_lo, exec_lo, s16
.LBB93_49:                              ;   in Loop: Header=BB93_3 Depth=1
	s_delay_alu instid0(SALU_CYCLE_1) | instskip(SKIP_3) | instid1(VALU_DEP_3)
	s_or_b32 exec_lo, exec_lo, s13
	v_ashrrev_i32_e32 v6, 31, v5
	v_add_nc_u32_e32 v13, 2, v5
	v_add_nc_u32_e32 v15, 3, v5
	v_cmp_le_i64_e32 vcc_lo, s[4:5], v[5:6]
	v_add_nc_u32_e32 v7, 1, v5
	s_delay_alu instid0(VALU_DEP_4) | instskip(NEXT) | instid1(VALU_DEP_4)
	v_ashrrev_i32_e32 v14, 31, v13
	v_ashrrev_i32_e32 v16, 31, v15
	s_waitcnt vmcnt(0)
	v_cndmask_b32_e32 v12, 0, v3, vcc_lo
	v_ashrrev_i32_e32 v8, 31, v7
	s_delay_alu instid0(VALU_DEP_1)
	v_cmp_le_i64_e32 vcc_lo, s[4:5], v[7:8]
	v_cndmask_b32_e32 v3, 0, v9, vcc_lo
	v_cmp_le_i64_e32 vcc_lo, s[4:5], v[13:14]
	v_cndmask_b32_e32 v8, 0, v10, vcc_lo
	;; [unrolled: 2-line block ×3, first 2 shown]
.LBB93_50:                              ;   in Loop: Header=BB93_3 Depth=1
	s_or_b32 exec_lo, exec_lo, s0
	s_delay_alu instid0(SALU_CYCLE_1)
	s_mov_b32 s0, exec_lo
	v_cmpx_gt_i32_e64 s9, v19
	s_cbranch_execz .LBB93_2
; %bb.51:                               ;   in Loop: Header=BB93_3 Depth=1
	v_ashrrev_i32_e32 v5, 31, v4
	v_add_nc_u32_e32 v9, 1, v19
	s_mov_b32 s13, exec_lo
	s_delay_alu instid0(VALU_DEP_2) | instskip(NEXT) | instid1(VALU_DEP_1)
	v_lshlrev_b64 v[5:6], 1, v[4:5]
	v_add_co_u32 v5, vcc_lo, s14, v5
	s_delay_alu instid0(VALU_DEP_2)
	v_add_co_ci_u32_e32 v6, vcc_lo, s15, v6, vcc_lo
	global_store_b16 v[5:6], v12, off
	v_cmpx_gt_i32_e64 s9, v9
	s_xor_b32 s13, exec_lo, s13
	s_cbranch_execz .LBB93_2
; %bb.52:                               ;   in Loop: Header=BB93_3 Depth=1
	s_lshl_b64 s[22:23], s[20:21], 1
	v_add_nc_u32_e32 v9, 2, v19
	v_add_co_u32 v5, vcc_lo, v5, s22
	v_add_co_ci_u32_e32 v6, vcc_lo, s23, v6, vcc_lo
	s_mov_b32 s13, exec_lo
	global_store_b16 v[5:6], v3, off
	v_cmpx_gt_i32_e64 s9, v9
	s_xor_b32 s13, exec_lo, s13
	s_cbranch_execz .LBB93_2
; %bb.53:                               ;   in Loop: Header=BB93_3 Depth=1
	v_add3_u32 v3, s20, s20, v4
	v_add_nc_u32_e32 v6, 3, v19
	s_mov_b32 s13, exec_lo
	s_delay_alu instid0(VALU_DEP_2) | instskip(NEXT) | instid1(VALU_DEP_1)
	v_ashrrev_i32_e32 v4, 31, v3
	v_lshlrev_b64 v[4:5], 1, v[3:4]
	s_delay_alu instid0(VALU_DEP_1) | instskip(NEXT) | instid1(VALU_DEP_2)
	v_add_co_u32 v4, vcc_lo, s14, v4
	v_add_co_ci_u32_e32 v5, vcc_lo, s15, v5, vcc_lo
	global_store_b16 v[4:5], v8, off
	v_cmpx_gt_i32_e64 s9, v6
	s_xor_b32 s13, exec_lo, s13
	s_cbranch_execz .LBB93_2
; %bb.54:                               ;   in Loop: Header=BB93_3 Depth=1
	v_add_nc_u32_e32 v3, s20, v3
	s_delay_alu instid0(VALU_DEP_1) | instskip(NEXT) | instid1(VALU_DEP_1)
	v_ashrrev_i32_e32 v4, 31, v3
	v_lshlrev_b64 v[3:4], 1, v[3:4]
	s_delay_alu instid0(VALU_DEP_1) | instskip(NEXT) | instid1(VALU_DEP_2)
	v_add_co_u32 v3, vcc_lo, s14, v3
	v_add_co_ci_u32_e32 v4, vcc_lo, s15, v4, vcc_lo
	global_store_b16 v[3:4], v7, off
	s_branch .LBB93_2
.LBB93_55:
	s_nop 0
	s_sendmsg sendmsg(MSG_DEALLOC_VGPRS)
	s_endpgm
	.section	.rodata,"a",@progbits
	.p2align	6, 0x0
	.amdhsa_kernel _ZN2at6native16triu_tril_kernelIN3c104HalfEiLb1ELi4ELb0EEEvNS_4cuda6detail10TensorInfoIT_T0_EENS6_IKS7_S8_EEllS8_
		.amdhsa_group_segment_fixed_size 0
		.amdhsa_private_segment_fixed_size 0
		.amdhsa_kernarg_size 712
		.amdhsa_user_sgpr_count 15
		.amdhsa_user_sgpr_dispatch_ptr 0
		.amdhsa_user_sgpr_queue_ptr 0
		.amdhsa_user_sgpr_kernarg_segment_ptr 1
		.amdhsa_user_sgpr_dispatch_id 0
		.amdhsa_user_sgpr_private_segment_size 0
		.amdhsa_wavefront_size32 1
		.amdhsa_uses_dynamic_stack 0
		.amdhsa_enable_private_segment 0
		.amdhsa_system_sgpr_workgroup_id_x 1
		.amdhsa_system_sgpr_workgroup_id_y 0
		.amdhsa_system_sgpr_workgroup_id_z 0
		.amdhsa_system_sgpr_workgroup_info 0
		.amdhsa_system_vgpr_workitem_id 0
		.amdhsa_next_free_vgpr 25
		.amdhsa_next_free_sgpr 54
		.amdhsa_reserve_vcc 1
		.amdhsa_float_round_mode_32 0
		.amdhsa_float_round_mode_16_64 0
		.amdhsa_float_denorm_mode_32 3
		.amdhsa_float_denorm_mode_16_64 3
		.amdhsa_dx10_clamp 1
		.amdhsa_ieee_mode 1
		.amdhsa_fp16_overflow 0
		.amdhsa_workgroup_processor_mode 1
		.amdhsa_memory_ordered 1
		.amdhsa_forward_progress 0
		.amdhsa_shared_vgpr_count 0
		.amdhsa_exception_fp_ieee_invalid_op 0
		.amdhsa_exception_fp_denorm_src 0
		.amdhsa_exception_fp_ieee_div_zero 0
		.amdhsa_exception_fp_ieee_overflow 0
		.amdhsa_exception_fp_ieee_underflow 0
		.amdhsa_exception_fp_ieee_inexact 0
		.amdhsa_exception_int_div_zero 0
	.end_amdhsa_kernel
	.section	.text._ZN2at6native16triu_tril_kernelIN3c104HalfEiLb1ELi4ELb0EEEvNS_4cuda6detail10TensorInfoIT_T0_EENS6_IKS7_S8_EEllS8_,"axG",@progbits,_ZN2at6native16triu_tril_kernelIN3c104HalfEiLb1ELi4ELb0EEEvNS_4cuda6detail10TensorInfoIT_T0_EENS6_IKS7_S8_EEllS8_,comdat
.Lfunc_end93:
	.size	_ZN2at6native16triu_tril_kernelIN3c104HalfEiLb1ELi4ELb0EEEvNS_4cuda6detail10TensorInfoIT_T0_EENS6_IKS7_S8_EEllS8_, .Lfunc_end93-_ZN2at6native16triu_tril_kernelIN3c104HalfEiLb1ELi4ELb0EEEvNS_4cuda6detail10TensorInfoIT_T0_EENS6_IKS7_S8_EEllS8_
                                        ; -- End function
	.section	.AMDGPU.csdata,"",@progbits
; Kernel info:
; codeLenInByte = 8712
; NumSgprs: 56
; NumVgprs: 25
; ScratchSize: 0
; MemoryBound: 0
; FloatMode: 240
; IeeeMode: 1
; LDSByteSize: 0 bytes/workgroup (compile time only)
; SGPRBlocks: 6
; VGPRBlocks: 3
; NumSGPRsForWavesPerEU: 56
; NumVGPRsForWavesPerEU: 25
; Occupancy: 16
; WaveLimiterHint : 0
; COMPUTE_PGM_RSRC2:SCRATCH_EN: 0
; COMPUTE_PGM_RSRC2:USER_SGPR: 15
; COMPUTE_PGM_RSRC2:TRAP_HANDLER: 0
; COMPUTE_PGM_RSRC2:TGID_X_EN: 1
; COMPUTE_PGM_RSRC2:TGID_Y_EN: 0
; COMPUTE_PGM_RSRC2:TGID_Z_EN: 0
; COMPUTE_PGM_RSRC2:TIDIG_COMP_CNT: 0
	.section	.text._ZN2at6native16triu_tril_kernelIN3c104HalfElLb1ELi4ELb1EEEvNS_4cuda6detail10TensorInfoIT_T0_EENS6_IKS7_S8_EEllS8_,"axG",@progbits,_ZN2at6native16triu_tril_kernelIN3c104HalfElLb1ELi4ELb1EEEvNS_4cuda6detail10TensorInfoIT_T0_EENS6_IKS7_S8_EEllS8_,comdat
	.protected	_ZN2at6native16triu_tril_kernelIN3c104HalfElLb1ELi4ELb1EEEvNS_4cuda6detail10TensorInfoIT_T0_EENS6_IKS7_S8_EEllS8_ ; -- Begin function _ZN2at6native16triu_tril_kernelIN3c104HalfElLb1ELi4ELb1EEEvNS_4cuda6detail10TensorInfoIT_T0_EENS6_IKS7_S8_EEllS8_
	.globl	_ZN2at6native16triu_tril_kernelIN3c104HalfElLb1ELi4ELb1EEEvNS_4cuda6detail10TensorInfoIT_T0_EENS6_IKS7_S8_EEllS8_
	.p2align	8
	.type	_ZN2at6native16triu_tril_kernelIN3c104HalfElLb1ELi4ELb1EEEvNS_4cuda6detail10TensorInfoIT_T0_EENS6_IKS7_S8_EEllS8_,@function
_ZN2at6native16triu_tril_kernelIN3c104HalfElLb1ELi4ELb1EEEvNS_4cuda6detail10TensorInfoIT_T0_EENS6_IKS7_S8_EEllS8_: ; @_ZN2at6native16triu_tril_kernelIN3c104HalfElLb1ELi4ELb1EEEvNS_4cuda6detail10TensorInfoIT_T0_EENS6_IKS7_S8_EEllS8_
; %bb.0:
	s_clause 0x1
	s_load_b32 s2, s[0:1], 0x364
	s_load_b128 s[4:7], s[0:1], 0x340
	v_mov_b32_e32 v2, 0
	s_add_u32 s8, s0, 0x358
	s_addc_u32 s9, s1, 0
	s_delay_alu instid0(VALU_DEP_1) | instskip(SKIP_3) | instid1(VALU_DEP_1)
	v_mov_b32_e32 v1, v2
	s_waitcnt lgkmcnt(0)
	s_and_b32 s10, s2, 0xffff
	s_mov_b32 s2, exec_lo
	v_mad_u64_u32 v[3:4], null, s10, s15, v[0:1]
	s_delay_alu instid0(VALU_DEP_1) | instskip(NEXT) | instid1(VALU_DEP_1)
	v_lshlrev_b64 v[0:1], 2, v[3:4]
	v_cmpx_gt_i64_e64 s[6:7], v[0:1]
	s_cbranch_execz .LBB94_27
; %bb.1:
	s_clause 0x1
	s_load_b32 s24, s[0:1], 0x338
	s_load_b64 s[2:3], s[0:1], 0x350
	s_load_b32 s11, s[8:9], 0x0
	s_load_b64 s[8:9], s[0:1], 0x0
	s_mov_b32 s45, 0
	s_waitcnt lgkmcnt(0)
	s_ashr_i32 s25, s24, 31
	s_add_u32 s20, s0, 0x1a8
	s_addc_u32 s21, s1, 0
	s_lshl_b64 s[12:13], s[24:25], 3
	v_cvt_f32_u32_e32 v3, s2
	s_add_u32 s14, s12, -16
	s_addc_u32 s15, s13, -1
	s_add_u32 s22, s20, s14
	s_addc_u32 s23, s21, s15
	v_rcp_iflag_f32_e32 v3, v3
	s_add_u32 s17, s12, -8
	s_addc_u32 s18, s13, -1
	s_add_u32 s26, s0, 0xd0
	s_addc_u32 s27, s1, 0
	s_mul_i32 s16, s11, s10
	s_add_u32 s10, s26, s17
	s_addc_u32 s11, s27, s18
	s_add_u32 s12, s26, s14
	s_addc_u32 s13, s27, s15
	s_add_i32 s0, s24, -3
	s_waitcnt_depctr 0xfff
	v_mul_f32_e32 v3, 0x4f7ffffe, v3
	s_ashr_i32 s1, s0, 31
	s_add_u32 s14, s20, s17
	s_addc_u32 s15, s21, s18
	s_lshl_b64 s[18:19], s[0:1], 3
	s_lshl_b32 s33, s16, 2
	s_add_u32 s16, s26, s18
	s_addc_u32 s17, s27, s19
	v_cvt_u32_f32_e32 v3, v3
	s_add_u32 s18, s20, s18
	s_addc_u32 s19, s21, s19
	s_add_u32 s20, s0, 1
	s_addc_u32 s21, s1, 0
	s_sub_i32 s0, 0, s2
	s_load_b64 s[22:23], s[22:23], 0x0
	v_mul_lo_u32 v4, s0, v3
	v_cmp_gt_i64_e64 s44, s[24:25], 2
	s_ashr_i32 s24, s3, 31
	s_delay_alu instid0(VALU_DEP_2) | instskip(NEXT) | instid1(VALU_DEP_1)
	v_mul_hi_u32 v4, v3, v4
	v_add_nc_u32_e32 v14, v3, v4
	s_waitcnt lgkmcnt(0)
	s_ashr_i32 s26, s23, 31
	s_branch .LBB94_3
.LBB94_2:                               ;   in Loop: Header=BB94_3 Depth=1
	s_or_b32 exec_lo, exec_lo, s25
	v_add_co_u32 v0, vcc_lo, v0, s33
	v_add_co_ci_u32_e32 v1, vcc_lo, 0, v1, vcc_lo
	s_delay_alu instid0(VALU_DEP_1) | instskip(SKIP_1) | instid1(SALU_CYCLE_1)
	v_cmp_le_i64_e32 vcc_lo, s[6:7], v[0:1]
	s_or_b32 s45, vcc_lo, s45
	s_and_not1_b32 exec_lo, exec_lo, s45
	s_cbranch_execz .LBB94_27
.LBB94_3:                               ; =>This Loop Header: Depth=1
                                        ;     Child Loop BB94_23 Depth 2
	v_or_b32_e32 v3, s3, v1
                                        ; implicit-def: $vgpr8_vgpr9
	s_mov_b32 s0, exec_lo
	s_delay_alu instid0(VALU_DEP_1)
	v_cmpx_ne_u64_e32 0, v[2:3]
	s_xor_b32 s1, exec_lo, s0
	s_cbranch_execz .LBB94_5
; %bb.4:                                ;   in Loop: Header=BB94_3 Depth=1
	s_add_u32 s28, s2, s24
	s_mov_b32 s25, s24
	s_addc_u32 s29, s3, s24
	s_delay_alu instid0(SALU_CYCLE_1) | instskip(NEXT) | instid1(SALU_CYCLE_1)
	s_xor_b64 s[28:29], s[28:29], s[24:25]
	v_cvt_f32_u32_e32 v3, s28
	v_cvt_f32_u32_e32 v4, s29
	s_sub_u32 s0, 0, s28
	s_subb_u32 s25, 0, s29
	s_delay_alu instid0(VALU_DEP_1) | instskip(NEXT) | instid1(VALU_DEP_1)
	v_fmac_f32_e32 v3, 0x4f800000, v4
	v_rcp_f32_e32 v3, v3
	s_waitcnt_depctr 0xfff
	v_mul_f32_e32 v3, 0x5f7ffffc, v3
	s_delay_alu instid0(VALU_DEP_1) | instskip(NEXT) | instid1(VALU_DEP_1)
	v_mul_f32_e32 v4, 0x2f800000, v3
	v_trunc_f32_e32 v4, v4
	s_delay_alu instid0(VALU_DEP_1) | instskip(SKIP_1) | instid1(VALU_DEP_2)
	v_fmac_f32_e32 v3, 0xcf800000, v4
	v_cvt_u32_f32_e32 v4, v4
	v_cvt_u32_f32_e32 v3, v3
	s_delay_alu instid0(VALU_DEP_2) | instskip(NEXT) | instid1(VALU_DEP_2)
	v_mul_lo_u32 v5, s0, v4
	v_mul_hi_u32 v6, s0, v3
	v_mul_lo_u32 v7, s25, v3
	s_delay_alu instid0(VALU_DEP_2) | instskip(SKIP_1) | instid1(VALU_DEP_2)
	v_add_nc_u32_e32 v5, v6, v5
	v_mul_lo_u32 v6, s0, v3
	v_add_nc_u32_e32 v5, v5, v7
	s_delay_alu instid0(VALU_DEP_2) | instskip(NEXT) | instid1(VALU_DEP_2)
	v_mul_hi_u32 v7, v3, v6
	v_mul_lo_u32 v8, v3, v5
	v_mul_hi_u32 v9, v3, v5
	v_mul_hi_u32 v10, v4, v6
	v_mul_lo_u32 v6, v4, v6
	v_mul_hi_u32 v11, v4, v5
	v_mul_lo_u32 v5, v4, v5
	v_add_co_u32 v7, vcc_lo, v7, v8
	v_add_co_ci_u32_e32 v8, vcc_lo, 0, v9, vcc_lo
	s_delay_alu instid0(VALU_DEP_2) | instskip(NEXT) | instid1(VALU_DEP_2)
	v_add_co_u32 v6, vcc_lo, v7, v6
	v_add_co_ci_u32_e32 v6, vcc_lo, v8, v10, vcc_lo
	v_add_co_ci_u32_e32 v7, vcc_lo, 0, v11, vcc_lo
	v_ashrrev_i32_e32 v10, 31, v1
	s_delay_alu instid0(VALU_DEP_3) | instskip(NEXT) | instid1(VALU_DEP_3)
	v_add_co_u32 v5, vcc_lo, v6, v5
	v_add_co_ci_u32_e32 v6, vcc_lo, 0, v7, vcc_lo
	s_delay_alu instid0(VALU_DEP_2) | instskip(NEXT) | instid1(VALU_DEP_2)
	v_add_co_u32 v3, vcc_lo, v3, v5
	v_add_co_ci_u32_e32 v4, vcc_lo, v4, v6, vcc_lo
	s_delay_alu instid0(VALU_DEP_2) | instskip(SKIP_1) | instid1(VALU_DEP_3)
	v_mul_hi_u32 v5, s0, v3
	v_mul_lo_u32 v7, s25, v3
	v_mul_lo_u32 v6, s0, v4
	s_delay_alu instid0(VALU_DEP_1) | instskip(SKIP_1) | instid1(VALU_DEP_2)
	v_add_nc_u32_e32 v5, v5, v6
	v_mul_lo_u32 v6, s0, v3
	v_add_nc_u32_e32 v5, v5, v7
	s_delay_alu instid0(VALU_DEP_2) | instskip(NEXT) | instid1(VALU_DEP_2)
	v_mul_hi_u32 v7, v3, v6
	v_mul_lo_u32 v8, v3, v5
	v_mul_hi_u32 v9, v3, v5
	v_mul_hi_u32 v11, v4, v6
	v_mul_lo_u32 v6, v4, v6
	v_mul_hi_u32 v12, v4, v5
	v_mul_lo_u32 v5, v4, v5
	v_add_co_u32 v7, vcc_lo, v7, v8
	v_add_co_ci_u32_e32 v8, vcc_lo, 0, v9, vcc_lo
	s_delay_alu instid0(VALU_DEP_2) | instskip(NEXT) | instid1(VALU_DEP_2)
	v_add_co_u32 v6, vcc_lo, v7, v6
	v_add_co_ci_u32_e32 v6, vcc_lo, v8, v11, vcc_lo
	v_add_co_ci_u32_e32 v7, vcc_lo, 0, v12, vcc_lo
	v_add_co_u32 v8, vcc_lo, v0, v10
	v_add_co_ci_u32_e32 v9, vcc_lo, v1, v10, vcc_lo
	s_delay_alu instid0(VALU_DEP_4) | instskip(NEXT) | instid1(VALU_DEP_4)
	v_add_co_u32 v5, vcc_lo, v6, v5
	v_add_co_ci_u32_e32 v6, vcc_lo, 0, v7, vcc_lo
	s_delay_alu instid0(VALU_DEP_4) | instskip(NEXT) | instid1(VALU_DEP_3)
	v_xor_b32_e32 v11, v8, v10
	v_add_co_u32 v7, vcc_lo, v3, v5
	s_delay_alu instid0(VALU_DEP_3) | instskip(SKIP_1) | instid1(VALU_DEP_3)
	v_add_co_ci_u32_e32 v12, vcc_lo, v4, v6, vcc_lo
	v_xor_b32_e32 v9, v9, v10
	v_mul_hi_u32 v13, v11, v7
	s_delay_alu instid0(VALU_DEP_3) | instskip(NEXT) | instid1(VALU_DEP_3)
	v_mad_u64_u32 v[3:4], null, v11, v12, 0
	v_mad_u64_u32 v[5:6], null, v9, v7, 0
	;; [unrolled: 1-line block ×3, first 2 shown]
	s_delay_alu instid0(VALU_DEP_3) | instskip(NEXT) | instid1(VALU_DEP_4)
	v_add_co_u32 v3, vcc_lo, v13, v3
	v_add_co_ci_u32_e32 v4, vcc_lo, 0, v4, vcc_lo
	s_delay_alu instid0(VALU_DEP_2) | instskip(NEXT) | instid1(VALU_DEP_2)
	v_add_co_u32 v3, vcc_lo, v3, v5
	v_add_co_ci_u32_e32 v3, vcc_lo, v4, v6, vcc_lo
	v_add_co_ci_u32_e32 v4, vcc_lo, 0, v8, vcc_lo
	s_delay_alu instid0(VALU_DEP_2) | instskip(NEXT) | instid1(VALU_DEP_2)
	v_add_co_u32 v5, vcc_lo, v3, v7
	v_add_co_ci_u32_e32 v6, vcc_lo, 0, v4, vcc_lo
	s_delay_alu instid0(VALU_DEP_2) | instskip(SKIP_1) | instid1(VALU_DEP_3)
	v_mul_lo_u32 v7, s29, v5
	v_mad_u64_u32 v[3:4], null, s28, v5, 0
	v_mul_lo_u32 v8, s28, v6
	s_delay_alu instid0(VALU_DEP_2) | instskip(NEXT) | instid1(VALU_DEP_2)
	v_sub_co_u32 v3, vcc_lo, v11, v3
	v_add3_u32 v4, v4, v8, v7
	s_delay_alu instid0(VALU_DEP_1) | instskip(NEXT) | instid1(VALU_DEP_1)
	v_sub_nc_u32_e32 v7, v9, v4
	v_subrev_co_ci_u32_e64 v7, s0, s29, v7, vcc_lo
	v_add_co_u32 v8, s0, v5, 2
	s_delay_alu instid0(VALU_DEP_1) | instskip(SKIP_3) | instid1(VALU_DEP_3)
	v_add_co_ci_u32_e64 v11, s0, 0, v6, s0
	v_sub_co_u32 v12, s0, v3, s28
	v_sub_co_ci_u32_e32 v4, vcc_lo, v9, v4, vcc_lo
	v_subrev_co_ci_u32_e64 v7, s0, 0, v7, s0
	v_cmp_le_u32_e32 vcc_lo, s28, v12
	s_delay_alu instid0(VALU_DEP_3) | instskip(SKIP_1) | instid1(VALU_DEP_4)
	v_cmp_eq_u32_e64 s0, s29, v4
	v_cndmask_b32_e64 v9, 0, -1, vcc_lo
	v_cmp_le_u32_e32 vcc_lo, s29, v7
	v_cndmask_b32_e64 v12, 0, -1, vcc_lo
	v_cmp_le_u32_e32 vcc_lo, s28, v3
	;; [unrolled: 2-line block ×3, first 2 shown]
	v_cndmask_b32_e64 v13, 0, -1, vcc_lo
	v_cmp_eq_u32_e32 vcc_lo, s29, v7
	s_delay_alu instid0(VALU_DEP_2) | instskip(SKIP_3) | instid1(VALU_DEP_3)
	v_cndmask_b32_e64 v3, v13, v3, s0
	v_cndmask_b32_e32 v7, v12, v9, vcc_lo
	v_add_co_u32 v9, vcc_lo, v5, 1
	v_add_co_ci_u32_e32 v12, vcc_lo, 0, v6, vcc_lo
	v_cmp_ne_u32_e32 vcc_lo, 0, v7
	s_delay_alu instid0(VALU_DEP_2) | instskip(SKIP_2) | instid1(VALU_DEP_3)
	v_dual_cndmask_b32 v4, v12, v11 :: v_dual_cndmask_b32 v7, v9, v8
	v_cmp_ne_u32_e32 vcc_lo, 0, v3
	v_xor_b32_e32 v3, s24, v10
	v_dual_cndmask_b32 v5, v5, v7 :: v_dual_cndmask_b32 v4, v6, v4
	s_delay_alu instid0(VALU_DEP_1) | instskip(NEXT) | instid1(VALU_DEP_2)
	v_xor_b32_e32 v5, v5, v3
	v_xor_b32_e32 v4, v4, v3
	s_delay_alu instid0(VALU_DEP_2) | instskip(NEXT) | instid1(VALU_DEP_2)
	v_sub_co_u32 v8, vcc_lo, v5, v3
	v_sub_co_ci_u32_e32 v9, vcc_lo, v4, v3, vcc_lo
.LBB94_5:                               ;   in Loop: Header=BB94_3 Depth=1
	s_and_not1_saveexec_b32 s0, s1
; %bb.6:                                ;   in Loop: Header=BB94_3 Depth=1
	v_mul_hi_u32 v3, v0, v14
	v_mov_b32_e32 v9, v2
	s_delay_alu instid0(VALU_DEP_2) | instskip(NEXT) | instid1(VALU_DEP_1)
	v_mul_lo_u32 v4, v3, s2
	v_sub_nc_u32_e32 v4, v0, v4
	s_delay_alu instid0(VALU_DEP_1) | instskip(SKIP_1) | instid1(VALU_DEP_2)
	v_subrev_nc_u32_e32 v6, s2, v4
	v_cmp_le_u32_e32 vcc_lo, s2, v4
	v_dual_cndmask_b32 v4, v4, v6 :: v_dual_add_nc_u32 v5, 1, v3
	s_delay_alu instid0(VALU_DEP_1) | instskip(NEXT) | instid1(VALU_DEP_2)
	v_cndmask_b32_e32 v3, v3, v5, vcc_lo
	v_cmp_le_u32_e32 vcc_lo, s2, v4
	s_delay_alu instid0(VALU_DEP_2) | instskip(NEXT) | instid1(VALU_DEP_1)
	v_add_nc_u32_e32 v5, 1, v3
	v_cndmask_b32_e32 v8, v3, v5, vcc_lo
; %bb.7:                                ;   in Loop: Header=BB94_3 Depth=1
	s_or_b32 exec_lo, exec_lo, s0
	v_or_b32_e32 v3, s23, v9
                                        ; implicit-def: $vgpr6_vgpr7
	s_mov_b32 s0, exec_lo
	s_delay_alu instid0(VALU_DEP_1)
	v_cmpx_ne_u64_e32 0, v[2:3]
	s_xor_b32 s1, exec_lo, s0
	s_cbranch_execz .LBB94_9
; %bb.8:                                ;   in Loop: Header=BB94_3 Depth=1
	s_add_u32 s28, s22, s26
	s_mov_b32 s27, s26
	s_addc_u32 s29, s23, s26
	s_delay_alu instid0(SALU_CYCLE_1) | instskip(NEXT) | instid1(SALU_CYCLE_1)
	s_xor_b64 s[28:29], s[28:29], s[26:27]
	v_cvt_f32_u32_e32 v3, s28
	v_cvt_f32_u32_e32 v4, s29
	s_sub_u32 s0, 0, s28
	s_subb_u32 s25, 0, s29
	s_delay_alu instid0(VALU_DEP_1) | instskip(NEXT) | instid1(VALU_DEP_1)
	v_fmac_f32_e32 v3, 0x4f800000, v4
	v_rcp_f32_e32 v3, v3
	s_waitcnt_depctr 0xfff
	v_mul_f32_e32 v3, 0x5f7ffffc, v3
	s_delay_alu instid0(VALU_DEP_1) | instskip(NEXT) | instid1(VALU_DEP_1)
	v_mul_f32_e32 v4, 0x2f800000, v3
	v_trunc_f32_e32 v4, v4
	s_delay_alu instid0(VALU_DEP_1) | instskip(SKIP_1) | instid1(VALU_DEP_2)
	v_fmac_f32_e32 v3, 0xcf800000, v4
	v_cvt_u32_f32_e32 v4, v4
	v_cvt_u32_f32_e32 v3, v3
	s_delay_alu instid0(VALU_DEP_2) | instskip(NEXT) | instid1(VALU_DEP_2)
	v_mul_lo_u32 v5, s0, v4
	v_mul_hi_u32 v6, s0, v3
	v_mul_lo_u32 v7, s25, v3
	s_delay_alu instid0(VALU_DEP_2) | instskip(SKIP_1) | instid1(VALU_DEP_2)
	v_add_nc_u32_e32 v5, v6, v5
	v_mul_lo_u32 v6, s0, v3
	v_add_nc_u32_e32 v5, v5, v7
	s_delay_alu instid0(VALU_DEP_2) | instskip(NEXT) | instid1(VALU_DEP_2)
	v_mul_hi_u32 v7, v3, v6
	v_mul_lo_u32 v10, v3, v5
	v_mul_hi_u32 v11, v3, v5
	v_mul_hi_u32 v12, v4, v6
	v_mul_lo_u32 v6, v4, v6
	v_mul_hi_u32 v13, v4, v5
	v_mul_lo_u32 v5, v4, v5
	v_add_co_u32 v7, vcc_lo, v7, v10
	v_add_co_ci_u32_e32 v10, vcc_lo, 0, v11, vcc_lo
	s_delay_alu instid0(VALU_DEP_2) | instskip(NEXT) | instid1(VALU_DEP_2)
	v_add_co_u32 v6, vcc_lo, v7, v6
	v_add_co_ci_u32_e32 v6, vcc_lo, v10, v12, vcc_lo
	v_add_co_ci_u32_e32 v7, vcc_lo, 0, v13, vcc_lo
	v_ashrrev_i32_e32 v12, 31, v9
	s_delay_alu instid0(VALU_DEP_3) | instskip(NEXT) | instid1(VALU_DEP_3)
	v_add_co_u32 v5, vcc_lo, v6, v5
	v_add_co_ci_u32_e32 v6, vcc_lo, 0, v7, vcc_lo
	s_delay_alu instid0(VALU_DEP_2) | instskip(NEXT) | instid1(VALU_DEP_2)
	v_add_co_u32 v3, vcc_lo, v3, v5
	v_add_co_ci_u32_e32 v4, vcc_lo, v4, v6, vcc_lo
	s_delay_alu instid0(VALU_DEP_2) | instskip(SKIP_1) | instid1(VALU_DEP_3)
	v_mul_hi_u32 v5, s0, v3
	v_mul_lo_u32 v7, s25, v3
	v_mul_lo_u32 v6, s0, v4
	s_delay_alu instid0(VALU_DEP_1) | instskip(SKIP_1) | instid1(VALU_DEP_2)
	v_add_nc_u32_e32 v5, v5, v6
	v_mul_lo_u32 v6, s0, v3
	v_add_nc_u32_e32 v5, v5, v7
	s_delay_alu instid0(VALU_DEP_2) | instskip(NEXT) | instid1(VALU_DEP_2)
	v_mul_hi_u32 v7, v3, v6
	v_mul_lo_u32 v10, v3, v5
	v_mul_hi_u32 v11, v3, v5
	v_mul_hi_u32 v13, v4, v6
	v_mul_lo_u32 v6, v4, v6
	v_mul_hi_u32 v15, v4, v5
	v_mul_lo_u32 v5, v4, v5
	v_add_co_u32 v7, vcc_lo, v7, v10
	v_add_co_ci_u32_e32 v10, vcc_lo, 0, v11, vcc_lo
	s_delay_alu instid0(VALU_DEP_2) | instskip(NEXT) | instid1(VALU_DEP_2)
	v_add_co_u32 v6, vcc_lo, v7, v6
	v_add_co_ci_u32_e32 v6, vcc_lo, v10, v13, vcc_lo
	v_add_co_ci_u32_e32 v7, vcc_lo, 0, v15, vcc_lo
	v_add_co_u32 v10, vcc_lo, v8, v12
	v_add_co_ci_u32_e32 v11, vcc_lo, v9, v12, vcc_lo
	s_delay_alu instid0(VALU_DEP_4) | instskip(NEXT) | instid1(VALU_DEP_4)
	v_add_co_u32 v5, vcc_lo, v6, v5
	v_add_co_ci_u32_e32 v6, vcc_lo, 0, v7, vcc_lo
	s_delay_alu instid0(VALU_DEP_4) | instskip(NEXT) | instid1(VALU_DEP_3)
	v_xor_b32_e32 v7, v10, v12
	v_add_co_u32 v10, vcc_lo, v3, v5
	s_delay_alu instid0(VALU_DEP_3) | instskip(SKIP_1) | instid1(VALU_DEP_3)
	v_add_co_ci_u32_e32 v13, vcc_lo, v4, v6, vcc_lo
	v_xor_b32_e32 v15, v11, v12
	v_mul_hi_u32 v16, v7, v10
	s_delay_alu instid0(VALU_DEP_3) | instskip(NEXT) | instid1(VALU_DEP_3)
	v_mad_u64_u32 v[3:4], null, v7, v13, 0
	v_mad_u64_u32 v[5:6], null, v15, v10, 0
	;; [unrolled: 1-line block ×3, first 2 shown]
	s_delay_alu instid0(VALU_DEP_3) | instskip(NEXT) | instid1(VALU_DEP_4)
	v_add_co_u32 v3, vcc_lo, v16, v3
	v_add_co_ci_u32_e32 v4, vcc_lo, 0, v4, vcc_lo
	s_delay_alu instid0(VALU_DEP_2) | instskip(NEXT) | instid1(VALU_DEP_2)
	v_add_co_u32 v3, vcc_lo, v3, v5
	v_add_co_ci_u32_e32 v3, vcc_lo, v4, v6, vcc_lo
	v_add_co_ci_u32_e32 v4, vcc_lo, 0, v11, vcc_lo
	s_delay_alu instid0(VALU_DEP_2) | instskip(NEXT) | instid1(VALU_DEP_2)
	v_add_co_u32 v5, vcc_lo, v3, v10
	v_add_co_ci_u32_e32 v6, vcc_lo, 0, v4, vcc_lo
	s_delay_alu instid0(VALU_DEP_2) | instskip(SKIP_1) | instid1(VALU_DEP_3)
	v_mul_lo_u32 v10, s29, v5
	v_mad_u64_u32 v[3:4], null, s28, v5, 0
	v_mul_lo_u32 v11, s28, v6
	s_delay_alu instid0(VALU_DEP_2) | instskip(NEXT) | instid1(VALU_DEP_2)
	v_sub_co_u32 v3, vcc_lo, v7, v3
	v_add3_u32 v4, v4, v11, v10
	s_delay_alu instid0(VALU_DEP_1) | instskip(NEXT) | instid1(VALU_DEP_1)
	v_sub_nc_u32_e32 v10, v15, v4
	v_subrev_co_ci_u32_e64 v7, s0, s29, v10, vcc_lo
	v_add_co_u32 v10, s0, v5, 2
	s_delay_alu instid0(VALU_DEP_1) | instskip(SKIP_3) | instid1(VALU_DEP_3)
	v_add_co_ci_u32_e64 v11, s0, 0, v6, s0
	v_sub_co_u32 v13, s0, v3, s28
	v_sub_co_ci_u32_e32 v4, vcc_lo, v15, v4, vcc_lo
	v_subrev_co_ci_u32_e64 v7, s0, 0, v7, s0
	v_cmp_le_u32_e32 vcc_lo, s28, v13
	s_delay_alu instid0(VALU_DEP_3) | instskip(SKIP_1) | instid1(VALU_DEP_4)
	v_cmp_eq_u32_e64 s0, s29, v4
	v_cndmask_b32_e64 v13, 0, -1, vcc_lo
	v_cmp_le_u32_e32 vcc_lo, s29, v7
	v_cndmask_b32_e64 v15, 0, -1, vcc_lo
	v_cmp_le_u32_e32 vcc_lo, s28, v3
	;; [unrolled: 2-line block ×3, first 2 shown]
	v_cndmask_b32_e64 v16, 0, -1, vcc_lo
	v_cmp_eq_u32_e32 vcc_lo, s29, v7
	s_delay_alu instid0(VALU_DEP_2) | instskip(SKIP_3) | instid1(VALU_DEP_3)
	v_cndmask_b32_e64 v3, v16, v3, s0
	v_cndmask_b32_e32 v7, v15, v13, vcc_lo
	v_add_co_u32 v13, vcc_lo, v5, 1
	v_add_co_ci_u32_e32 v15, vcc_lo, 0, v6, vcc_lo
	v_cmp_ne_u32_e32 vcc_lo, 0, v7
	s_delay_alu instid0(VALU_DEP_2) | instskip(SKIP_2) | instid1(VALU_DEP_3)
	v_dual_cndmask_b32 v4, v15, v11 :: v_dual_cndmask_b32 v7, v13, v10
	v_cmp_ne_u32_e32 vcc_lo, 0, v3
	v_xor_b32_e32 v3, s26, v12
	v_dual_cndmask_b32 v5, v5, v7 :: v_dual_cndmask_b32 v4, v6, v4
	s_delay_alu instid0(VALU_DEP_1) | instskip(NEXT) | instid1(VALU_DEP_2)
	v_xor_b32_e32 v5, v5, v3
	v_xor_b32_e32 v4, v4, v3
	s_delay_alu instid0(VALU_DEP_2) | instskip(NEXT) | instid1(VALU_DEP_2)
	v_sub_co_u32 v6, vcc_lo, v5, v3
	v_sub_co_ci_u32_e32 v7, vcc_lo, v4, v3, vcc_lo
.LBB94_9:                               ;   in Loop: Header=BB94_3 Depth=1
	s_and_not1_saveexec_b32 s0, s1
	s_cbranch_execz .LBB94_11
; %bb.10:                               ;   in Loop: Header=BB94_3 Depth=1
	v_cvt_f32_u32_e32 v3, s22
	s_sub_i32 s1, 0, s22
	v_mov_b32_e32 v7, v2
	s_delay_alu instid0(VALU_DEP_2) | instskip(SKIP_2) | instid1(VALU_DEP_1)
	v_rcp_iflag_f32_e32 v3, v3
	s_waitcnt_depctr 0xfff
	v_mul_f32_e32 v3, 0x4f7ffffe, v3
	v_cvt_u32_f32_e32 v3, v3
	s_delay_alu instid0(VALU_DEP_1) | instskip(NEXT) | instid1(VALU_DEP_1)
	v_mul_lo_u32 v4, s1, v3
	v_mul_hi_u32 v4, v3, v4
	s_delay_alu instid0(VALU_DEP_1) | instskip(NEXT) | instid1(VALU_DEP_1)
	v_add_nc_u32_e32 v3, v3, v4
	v_mul_hi_u32 v3, v8, v3
	s_delay_alu instid0(VALU_DEP_1) | instskip(SKIP_1) | instid1(VALU_DEP_2)
	v_mul_lo_u32 v4, v3, s22
	v_add_nc_u32_e32 v5, 1, v3
	v_sub_nc_u32_e32 v4, v8, v4
	s_delay_alu instid0(VALU_DEP_1) | instskip(SKIP_1) | instid1(VALU_DEP_2)
	v_subrev_nc_u32_e32 v6, s22, v4
	v_cmp_le_u32_e32 vcc_lo, s22, v4
	v_dual_cndmask_b32 v4, v4, v6 :: v_dual_cndmask_b32 v3, v3, v5
	s_delay_alu instid0(VALU_DEP_1) | instskip(NEXT) | instid1(VALU_DEP_2)
	v_cmp_le_u32_e32 vcc_lo, s22, v4
	v_add_nc_u32_e32 v5, 1, v3
	s_delay_alu instid0(VALU_DEP_1)
	v_cndmask_b32_e32 v6, v3, v5, vcc_lo
.LBB94_11:                              ;   in Loop: Header=BB94_3 Depth=1
	s_or_b32 exec_lo, exec_lo, s0
	v_mul_lo_u32 v5, v9, s2
	v_mul_lo_u32 v12, v8, s3
	v_mad_u64_u32 v[3:4], null, v8, s2, 0
	v_mul_lo_u32 v13, v7, s22
	v_mul_lo_u32 v15, v6, s23
	v_mad_u64_u32 v[10:11], null, v6, s22, 0
	s_mov_b32 s25, exec_lo
	s_delay_alu instid0(VALU_DEP_4) | instskip(SKIP_1) | instid1(VALU_DEP_3)
	v_add3_u32 v5, v4, v12, v5
	v_sub_co_u32 v4, vcc_lo, v0, v3
	v_add3_u32 v11, v11, v15, v13
	s_delay_alu instid0(VALU_DEP_3) | instskip(SKIP_1) | instid1(VALU_DEP_3)
	v_sub_co_ci_u32_e32 v5, vcc_lo, v1, v5, vcc_lo
	v_sub_co_u32 v15, vcc_lo, v8, v10
	v_sub_co_ci_u32_e32 v16, vcc_lo, v9, v11, vcc_lo
	s_delay_alu instid0(VALU_DEP_2) | instskip(NEXT) | instid1(VALU_DEP_2)
	v_sub_co_u32 v8, vcc_lo, v4, v15
	v_sub_co_ci_u32_e32 v9, vcc_lo, v5, v16, vcc_lo
	s_delay_alu instid0(VALU_DEP_1)
	v_cmpx_gt_i64_e64 s[4:5], v[8:9]
	s_cbranch_execz .LBB94_2
; %bb.12:                               ;   in Loop: Header=BB94_3 Depth=1
	s_clause 0x1
	s_load_b64 s[28:29], s[10:11], 0x0
	s_load_b64 s[0:1], s[12:13], 0x0
	s_and_b32 vcc_lo, exec_lo, s44
	s_mov_b64 s[30:31], s[20:21]
	s_mov_b64 s[34:35], s[18:19]
	;; [unrolled: 1-line block ×3, first 2 shown]
	s_waitcnt lgkmcnt(0)
	v_mul_lo_u32 v3, s29, v4
	v_mul_lo_u32 v10, s28, v5
	v_mad_u64_u32 v[8:9], null, s28, v4, 0
	s_delay_alu instid0(VALU_DEP_1) | instskip(SKIP_1) | instid1(VALU_DEP_2)
	v_add3_u32 v9, v9, v10, v3
	v_mul_lo_u32 v3, s0, v16
	v_mad_u64_u32 v[12:13], null, s0, v15, v[8:9]
	v_mul_lo_u32 v8, s1, v15
	s_delay_alu instid0(VALU_DEP_1) | instskip(NEXT) | instid1(VALU_DEP_1)
	v_add3_u32 v13, v8, v13, v3
	v_dual_mov_b32 v8, v12 :: v_dual_mov_b32 v9, v13
	s_cbranch_vccnz .LBB94_23
.LBB94_13:                              ;   in Loop: Header=BB94_3 Depth=1
	s_load_b64 s[0:1], s[14:15], 0x0
	s_waitcnt lgkmcnt(0)
	v_cmp_gt_i64_e32 vcc_lo, s[0:1], v[4:5]
	s_and_b32 exec_lo, exec_lo, vcc_lo
	s_cbranch_execz .LBB94_2
; %bb.14:                               ;   in Loop: Header=BB94_3 Depth=1
	v_lshlrev_b64 v[6:7], 1, v[12:13]
	v_add_co_u32 v8, vcc_lo, v4, 1
	v_add_co_ci_u32_e32 v9, vcc_lo, 0, v5, vcc_lo
	s_delay_alu instid0(VALU_DEP_3) | instskip(NEXT) | instid1(VALU_DEP_4)
	v_add_co_u32 v6, vcc_lo, s8, v6
	v_add_co_ci_u32_e32 v7, vcc_lo, s9, v7, vcc_lo
	s_delay_alu instid0(VALU_DEP_3)
	v_cmp_gt_i64_e32 vcc_lo, s[0:1], v[8:9]
	global_store_b16 v[6:7], v2, off
	s_and_b32 exec_lo, exec_lo, vcc_lo
	s_cbranch_execz .LBB94_2
; %bb.15:                               ;   in Loop: Header=BB94_3 Depth=1
	v_sub_co_u32 v8, vcc_lo, v8, v15
	v_sub_co_ci_u32_e32 v9, vcc_lo, v9, v16, vcc_lo
	s_mov_b32 s27, exec_lo
	s_delay_alu instid0(VALU_DEP_1)
	v_cmpx_gt_i64_e64 s[4:5], v[8:9]
	s_cbranch_execz .LBB94_17
; %bb.16:                               ;   in Loop: Header=BB94_3 Depth=1
	s_lshl_b64 s[30:31], s[28:29], 1
	s_delay_alu instid0(SALU_CYCLE_1)
	v_add_co_u32 v8, vcc_lo, v6, s30
	v_add_co_ci_u32_e32 v9, vcc_lo, s31, v7, vcc_lo
	global_store_b16 v[8:9], v2, off
.LBB94_17:                              ;   in Loop: Header=BB94_3 Depth=1
	s_or_b32 exec_lo, exec_lo, s27
	v_add_co_u32 v8, vcc_lo, v4, 2
	v_add_co_ci_u32_e32 v9, vcc_lo, 0, v5, vcc_lo
	s_delay_alu instid0(VALU_DEP_1)
	v_cmp_gt_i64_e32 vcc_lo, s[0:1], v[8:9]
	s_and_b32 exec_lo, exec_lo, vcc_lo
	s_cbranch_execz .LBB94_2
; %bb.18:                               ;   in Loop: Header=BB94_3 Depth=1
	v_sub_co_u32 v8, vcc_lo, v8, v15
	v_sub_co_ci_u32_e32 v9, vcc_lo, v9, v16, vcc_lo
	s_mov_b32 s27, exec_lo
	s_delay_alu instid0(VALU_DEP_1)
	v_cmpx_gt_i64_e64 s[4:5], v[8:9]
	s_cbranch_execz .LBB94_20
; %bb.19:                               ;   in Loop: Header=BB94_3 Depth=1
	s_lshl_b64 s[30:31], s[28:29], 2
	s_delay_alu instid0(SALU_CYCLE_1)
	v_add_co_u32 v8, vcc_lo, v6, s30
	v_add_co_ci_u32_e32 v9, vcc_lo, s31, v7, vcc_lo
	global_store_b16 v[8:9], v2, off
.LBB94_20:                              ;   in Loop: Header=BB94_3 Depth=1
	s_or_b32 exec_lo, exec_lo, s27
	v_add_co_u32 v3, vcc_lo, v4, 3
	v_add_co_ci_u32_e32 v4, vcc_lo, 0, v5, vcc_lo
	s_delay_alu instid0(VALU_DEP_2) | instskip(NEXT) | instid1(VALU_DEP_2)
	v_sub_co_u32 v8, vcc_lo, v3, v15
	v_sub_co_ci_u32_e32 v9, vcc_lo, v4, v16, vcc_lo
	v_cmp_gt_i64_e32 vcc_lo, s[0:1], v[3:4]
	s_delay_alu instid0(VALU_DEP_2) | instskip(NEXT) | instid1(VALU_DEP_1)
	v_cmp_gt_i64_e64 s0, s[4:5], v[8:9]
	s_and_b32 s0, vcc_lo, s0
	s_delay_alu instid0(SALU_CYCLE_1)
	s_and_b32 exec_lo, exec_lo, s0
	s_cbranch_execz .LBB94_2
; %bb.21:                               ;   in Loop: Header=BB94_3 Depth=1
	v_mad_u64_u32 v[3:4], null, s28, 6, v[6:7]
	s_delay_alu instid0(VALU_DEP_1) | instskip(NEXT) | instid1(VALU_DEP_1)
	v_mad_u64_u32 v[5:6], null, s29, 6, v[4:5]
	v_mov_b32_e32 v4, v5
	global_store_b16 v[3:4], v2, off
	s_branch .LBB94_2
.LBB94_22:                              ;   in Loop: Header=BB94_23 Depth=2
	s_or_b32 exec_lo, exec_lo, s0
	s_load_b64 s[0:1], s[36:37], 0x0
	s_delay_alu instid0(VALU_DEP_1)
	v_mul_lo_u32 v3, v11, s38
	v_mul_lo_u32 v17, v10, s39
	v_mad_u64_u32 v[12:13], null, v10, s38, 0
	s_add_u32 s36, s36, -8
	s_addc_u32 s37, s37, -1
	s_add_u32 s34, s34, -8
	s_addc_u32 s35, s35, -1
	;; [unrolled: 2-line block ×3, first 2 shown]
	s_delay_alu instid0(VALU_DEP_1) | instskip(SKIP_1) | instid1(VALU_DEP_2)
	v_add3_u32 v3, v13, v17, v3
	v_sub_co_u32 v6, vcc_lo, v6, v12
	v_sub_co_ci_u32_e32 v3, vcc_lo, v7, v3, vcc_lo
	s_waitcnt lgkmcnt(0)
	s_delay_alu instid0(VALU_DEP_2) | instskip(NEXT) | instid1(VALU_DEP_2)
	v_mul_lo_u32 v7, s1, v6
	v_mul_lo_u32 v3, s0, v3
	v_mad_u64_u32 v[12:13], null, s0, v6, v[8:9]
	v_cmp_lt_i64_e64 s0, s[30:31], 1
	s_delay_alu instid0(VALU_DEP_1) | instskip(NEXT) | instid1(VALU_DEP_2)
	s_and_b32 vcc_lo, exec_lo, s0
	v_add3_u32 v13, v7, v13, v3
	s_delay_alu instid0(VALU_DEP_3) | instskip(SKIP_1) | instid1(VALU_DEP_3)
	v_mov_b32_e32 v8, v12
	v_dual_mov_b32 v6, v10 :: v_dual_mov_b32 v7, v11
	v_mov_b32_e32 v9, v13
	s_cbranch_vccnz .LBB94_13
.LBB94_23:                              ;   Parent Loop BB94_3 Depth=1
                                        ; =>  This Inner Loop Header: Depth=2
	s_load_b64 s[38:39], s[34:35], 0x0
                                        ; implicit-def: $vgpr10_vgpr11
	s_mov_b32 s0, exec_lo
	s_waitcnt lgkmcnt(0)
	v_or_b32_e32 v3, s39, v7
	s_delay_alu instid0(VALU_DEP_1)
	v_cmpx_ne_u64_e32 0, v[2:3]
	s_xor_b32 s1, exec_lo, s0
	s_cbranch_execz .LBB94_25
; %bb.24:                               ;   in Loop: Header=BB94_23 Depth=2
	s_ashr_i32 s40, s39, 31
	s_delay_alu instid0(SALU_CYCLE_1) | instskip(SKIP_2) | instid1(SALU_CYCLE_1)
	s_add_u32 s42, s38, s40
	s_mov_b32 s41, s40
	s_addc_u32 s43, s39, s40
	s_xor_b64 s[42:43], s[42:43], s[40:41]
	s_delay_alu instid0(SALU_CYCLE_1) | instskip(SKIP_3) | instid1(VALU_DEP_1)
	v_cvt_f32_u32_e32 v3, s42
	v_cvt_f32_u32_e32 v10, s43
	s_sub_u32 s0, 0, s42
	s_subb_u32 s27, 0, s43
	v_fmac_f32_e32 v3, 0x4f800000, v10
	s_delay_alu instid0(VALU_DEP_1) | instskip(SKIP_2) | instid1(VALU_DEP_1)
	v_rcp_f32_e32 v3, v3
	s_waitcnt_depctr 0xfff
	v_mul_f32_e32 v3, 0x5f7ffffc, v3
	v_mul_f32_e32 v10, 0x2f800000, v3
	s_delay_alu instid0(VALU_DEP_1) | instskip(NEXT) | instid1(VALU_DEP_1)
	v_trunc_f32_e32 v10, v10
	v_fmac_f32_e32 v3, 0xcf800000, v10
	v_cvt_u32_f32_e32 v10, v10
	s_delay_alu instid0(VALU_DEP_2) | instskip(NEXT) | instid1(VALU_DEP_2)
	v_cvt_u32_f32_e32 v3, v3
	v_mul_lo_u32 v11, s0, v10
	s_delay_alu instid0(VALU_DEP_2) | instskip(SKIP_1) | instid1(VALU_DEP_2)
	v_mul_hi_u32 v12, s0, v3
	v_mul_lo_u32 v13, s27, v3
	v_add_nc_u32_e32 v11, v12, v11
	v_mul_lo_u32 v12, s0, v3
	s_delay_alu instid0(VALU_DEP_2) | instskip(NEXT) | instid1(VALU_DEP_2)
	v_add_nc_u32_e32 v11, v11, v13
	v_mul_hi_u32 v13, v3, v12
	s_delay_alu instid0(VALU_DEP_2)
	v_mul_lo_u32 v17, v3, v11
	v_mul_hi_u32 v18, v3, v11
	v_mul_hi_u32 v19, v10, v12
	v_mul_lo_u32 v12, v10, v12
	v_mul_hi_u32 v20, v10, v11
	v_mul_lo_u32 v11, v10, v11
	v_add_co_u32 v13, vcc_lo, v13, v17
	v_add_co_ci_u32_e32 v17, vcc_lo, 0, v18, vcc_lo
	s_delay_alu instid0(VALU_DEP_2) | instskip(NEXT) | instid1(VALU_DEP_2)
	v_add_co_u32 v12, vcc_lo, v13, v12
	v_add_co_ci_u32_e32 v12, vcc_lo, v17, v19, vcc_lo
	v_add_co_ci_u32_e32 v13, vcc_lo, 0, v20, vcc_lo
	v_ashrrev_i32_e32 v19, 31, v7
	s_delay_alu instid0(VALU_DEP_3) | instskip(NEXT) | instid1(VALU_DEP_3)
	v_add_co_u32 v11, vcc_lo, v12, v11
	v_add_co_ci_u32_e32 v12, vcc_lo, 0, v13, vcc_lo
	s_delay_alu instid0(VALU_DEP_2) | instskip(NEXT) | instid1(VALU_DEP_2)
	v_add_co_u32 v3, vcc_lo, v3, v11
	v_add_co_ci_u32_e32 v10, vcc_lo, v10, v12, vcc_lo
	s_delay_alu instid0(VALU_DEP_2) | instskip(SKIP_1) | instid1(VALU_DEP_3)
	v_mul_hi_u32 v11, s0, v3
	v_mul_lo_u32 v13, s27, v3
	v_mul_lo_u32 v12, s0, v10
	s_delay_alu instid0(VALU_DEP_1) | instskip(SKIP_1) | instid1(VALU_DEP_2)
	v_add_nc_u32_e32 v11, v11, v12
	v_mul_lo_u32 v12, s0, v3
	v_add_nc_u32_e32 v11, v11, v13
	s_delay_alu instid0(VALU_DEP_2) | instskip(NEXT) | instid1(VALU_DEP_2)
	v_mul_hi_u32 v13, v3, v12
	v_mul_lo_u32 v17, v3, v11
	v_mul_hi_u32 v18, v3, v11
	v_mul_hi_u32 v20, v10, v12
	v_mul_lo_u32 v12, v10, v12
	v_mul_hi_u32 v21, v10, v11
	v_mul_lo_u32 v11, v10, v11
	v_add_co_u32 v13, vcc_lo, v13, v17
	v_add_co_ci_u32_e32 v17, vcc_lo, 0, v18, vcc_lo
	s_delay_alu instid0(VALU_DEP_2) | instskip(NEXT) | instid1(VALU_DEP_2)
	v_add_co_u32 v12, vcc_lo, v13, v12
	v_add_co_ci_u32_e32 v12, vcc_lo, v17, v20, vcc_lo
	v_add_co_ci_u32_e32 v13, vcc_lo, 0, v21, vcc_lo
	v_add_co_u32 v17, vcc_lo, v6, v19
	v_add_co_ci_u32_e32 v18, vcc_lo, v7, v19, vcc_lo
	s_delay_alu instid0(VALU_DEP_4) | instskip(NEXT) | instid1(VALU_DEP_4)
	v_add_co_u32 v11, vcc_lo, v12, v11
	v_add_co_ci_u32_e32 v12, vcc_lo, 0, v13, vcc_lo
	s_delay_alu instid0(VALU_DEP_4) | instskip(NEXT) | instid1(VALU_DEP_3)
	v_xor_b32_e32 v20, v17, v19
	v_add_co_u32 v3, vcc_lo, v3, v11
	s_delay_alu instid0(VALU_DEP_3) | instskip(SKIP_1) | instid1(VALU_DEP_3)
	v_add_co_ci_u32_e32 v21, vcc_lo, v10, v12, vcc_lo
	v_xor_b32_e32 v22, v18, v19
	v_mul_hi_u32 v23, v20, v3
	s_delay_alu instid0(VALU_DEP_3) | instskip(NEXT) | instid1(VALU_DEP_3)
	v_mad_u64_u32 v[10:11], null, v20, v21, 0
	v_mad_u64_u32 v[12:13], null, v22, v3, 0
	;; [unrolled: 1-line block ×3, first 2 shown]
	s_delay_alu instid0(VALU_DEP_3) | instskip(NEXT) | instid1(VALU_DEP_4)
	v_add_co_u32 v3, vcc_lo, v23, v10
	v_add_co_ci_u32_e32 v10, vcc_lo, 0, v11, vcc_lo
	s_delay_alu instid0(VALU_DEP_2) | instskip(NEXT) | instid1(VALU_DEP_2)
	v_add_co_u32 v3, vcc_lo, v3, v12
	v_add_co_ci_u32_e32 v3, vcc_lo, v10, v13, vcc_lo
	v_add_co_ci_u32_e32 v10, vcc_lo, 0, v18, vcc_lo
	s_delay_alu instid0(VALU_DEP_2) | instskip(NEXT) | instid1(VALU_DEP_2)
	v_add_co_u32 v3, vcc_lo, v3, v17
	v_add_co_ci_u32_e32 v12, vcc_lo, 0, v10, vcc_lo
	s_delay_alu instid0(VALU_DEP_2) | instskip(SKIP_1) | instid1(VALU_DEP_3)
	v_mul_lo_u32 v13, s43, v3
	v_mad_u64_u32 v[10:11], null, s42, v3, 0
	v_mul_lo_u32 v17, s42, v12
	s_delay_alu instid0(VALU_DEP_2) | instskip(NEXT) | instid1(VALU_DEP_2)
	v_sub_co_u32 v10, vcc_lo, v20, v10
	v_add3_u32 v11, v11, v17, v13
	s_delay_alu instid0(VALU_DEP_1) | instskip(NEXT) | instid1(VALU_DEP_1)
	v_sub_nc_u32_e32 v13, v22, v11
	v_subrev_co_ci_u32_e64 v13, s0, s43, v13, vcc_lo
	v_add_co_u32 v17, s0, v3, 2
	s_delay_alu instid0(VALU_DEP_1) | instskip(SKIP_3) | instid1(VALU_DEP_3)
	v_add_co_ci_u32_e64 v18, s0, 0, v12, s0
	v_sub_co_u32 v20, s0, v10, s42
	v_sub_co_ci_u32_e32 v11, vcc_lo, v22, v11, vcc_lo
	v_subrev_co_ci_u32_e64 v13, s0, 0, v13, s0
	v_cmp_le_u32_e32 vcc_lo, s42, v20
	s_delay_alu instid0(VALU_DEP_3) | instskip(SKIP_1) | instid1(VALU_DEP_4)
	v_cmp_eq_u32_e64 s0, s43, v11
	v_cndmask_b32_e64 v20, 0, -1, vcc_lo
	v_cmp_le_u32_e32 vcc_lo, s43, v13
	v_cndmask_b32_e64 v21, 0, -1, vcc_lo
	v_cmp_le_u32_e32 vcc_lo, s42, v10
	v_cndmask_b32_e64 v10, 0, -1, vcc_lo
	v_cmp_le_u32_e32 vcc_lo, s43, v11
	v_cndmask_b32_e64 v22, 0, -1, vcc_lo
	v_cmp_eq_u32_e32 vcc_lo, s43, v13
	s_delay_alu instid0(VALU_DEP_2) | instskip(SKIP_3) | instid1(VALU_DEP_3)
	v_cndmask_b32_e64 v10, v22, v10, s0
	v_cndmask_b32_e32 v13, v21, v20, vcc_lo
	v_add_co_u32 v20, vcc_lo, v3, 1
	v_add_co_ci_u32_e32 v21, vcc_lo, 0, v12, vcc_lo
	v_cmp_ne_u32_e32 vcc_lo, 0, v13
	s_delay_alu instid0(VALU_DEP_2) | instskip(NEXT) | instid1(VALU_DEP_4)
	v_cndmask_b32_e32 v11, v21, v18, vcc_lo
	v_cndmask_b32_e32 v13, v20, v17, vcc_lo
	v_cmp_ne_u32_e32 vcc_lo, 0, v10
	v_xor_b32_e32 v17, s40, v19
	s_delay_alu instid0(VALU_DEP_3) | instskip(NEXT) | instid1(VALU_DEP_1)
	v_dual_cndmask_b32 v3, v3, v13 :: v_dual_cndmask_b32 v10, v12, v11
	v_xor_b32_e32 v3, v3, v17
	s_delay_alu instid0(VALU_DEP_2) | instskip(NEXT) | instid1(VALU_DEP_2)
	v_xor_b32_e32 v11, v10, v17
	v_sub_co_u32 v10, vcc_lo, v3, v17
	s_delay_alu instid0(VALU_DEP_2)
	v_sub_co_ci_u32_e32 v11, vcc_lo, v11, v17, vcc_lo
.LBB94_25:                              ;   in Loop: Header=BB94_23 Depth=2
	s_and_not1_saveexec_b32 s0, s1
	s_cbranch_execz .LBB94_22
; %bb.26:                               ;   in Loop: Header=BB94_23 Depth=2
	v_cvt_f32_u32_e32 v3, s38
	s_sub_i32 s1, 0, s38
	s_delay_alu instid0(VALU_DEP_1) | instskip(SKIP_2) | instid1(VALU_DEP_1)
	v_rcp_iflag_f32_e32 v3, v3
	s_waitcnt_depctr 0xfff
	v_mul_f32_e32 v3, 0x4f7ffffe, v3
	v_cvt_u32_f32_e32 v3, v3
	s_delay_alu instid0(VALU_DEP_1) | instskip(NEXT) | instid1(VALU_DEP_1)
	v_mul_lo_u32 v10, s1, v3
	v_mul_hi_u32 v10, v3, v10
	s_delay_alu instid0(VALU_DEP_1) | instskip(NEXT) | instid1(VALU_DEP_1)
	v_add_nc_u32_e32 v3, v3, v10
	v_mul_hi_u32 v3, v6, v3
	s_delay_alu instid0(VALU_DEP_1) | instskip(SKIP_1) | instid1(VALU_DEP_2)
	v_mul_lo_u32 v10, v3, s38
	v_add_nc_u32_e32 v11, 1, v3
	v_sub_nc_u32_e32 v10, v6, v10
	s_delay_alu instid0(VALU_DEP_1) | instskip(SKIP_1) | instid1(VALU_DEP_2)
	v_subrev_nc_u32_e32 v12, s38, v10
	v_cmp_le_u32_e32 vcc_lo, s38, v10
	v_dual_cndmask_b32 v10, v10, v12 :: v_dual_cndmask_b32 v3, v3, v11
	s_delay_alu instid0(VALU_DEP_1) | instskip(NEXT) | instid1(VALU_DEP_2)
	v_cmp_le_u32_e32 vcc_lo, s38, v10
	v_add_nc_u32_e32 v11, 1, v3
	s_delay_alu instid0(VALU_DEP_1)
	v_dual_cndmask_b32 v10, v3, v11 :: v_dual_mov_b32 v11, v2
	s_branch .LBB94_22
.LBB94_27:
	s_nop 0
	s_sendmsg sendmsg(MSG_DEALLOC_VGPRS)
	s_endpgm
	.section	.rodata,"a",@progbits
	.p2align	6, 0x0
	.amdhsa_kernel _ZN2at6native16triu_tril_kernelIN3c104HalfElLb1ELi4ELb1EEEvNS_4cuda6detail10TensorInfoIT_T0_EENS6_IKS7_S8_EEllS8_
		.amdhsa_group_segment_fixed_size 0
		.amdhsa_private_segment_fixed_size 0
		.amdhsa_kernarg_size 1112
		.amdhsa_user_sgpr_count 15
		.amdhsa_user_sgpr_dispatch_ptr 0
		.amdhsa_user_sgpr_queue_ptr 0
		.amdhsa_user_sgpr_kernarg_segment_ptr 1
		.amdhsa_user_sgpr_dispatch_id 0
		.amdhsa_user_sgpr_private_segment_size 0
		.amdhsa_wavefront_size32 1
		.amdhsa_uses_dynamic_stack 0
		.amdhsa_enable_private_segment 0
		.amdhsa_system_sgpr_workgroup_id_x 1
		.amdhsa_system_sgpr_workgroup_id_y 0
		.amdhsa_system_sgpr_workgroup_id_z 0
		.amdhsa_system_sgpr_workgroup_info 0
		.amdhsa_system_vgpr_workitem_id 0
		.amdhsa_next_free_vgpr 24
		.amdhsa_next_free_sgpr 46
		.amdhsa_reserve_vcc 1
		.amdhsa_float_round_mode_32 0
		.amdhsa_float_round_mode_16_64 0
		.amdhsa_float_denorm_mode_32 3
		.amdhsa_float_denorm_mode_16_64 3
		.amdhsa_dx10_clamp 1
		.amdhsa_ieee_mode 1
		.amdhsa_fp16_overflow 0
		.amdhsa_workgroup_processor_mode 1
		.amdhsa_memory_ordered 1
		.amdhsa_forward_progress 0
		.amdhsa_shared_vgpr_count 0
		.amdhsa_exception_fp_ieee_invalid_op 0
		.amdhsa_exception_fp_denorm_src 0
		.amdhsa_exception_fp_ieee_div_zero 0
		.amdhsa_exception_fp_ieee_overflow 0
		.amdhsa_exception_fp_ieee_underflow 0
		.amdhsa_exception_fp_ieee_inexact 0
		.amdhsa_exception_int_div_zero 0
	.end_amdhsa_kernel
	.section	.text._ZN2at6native16triu_tril_kernelIN3c104HalfElLb1ELi4ELb1EEEvNS_4cuda6detail10TensorInfoIT_T0_EENS6_IKS7_S8_EEllS8_,"axG",@progbits,_ZN2at6native16triu_tril_kernelIN3c104HalfElLb1ELi4ELb1EEEvNS_4cuda6detail10TensorInfoIT_T0_EENS6_IKS7_S8_EEllS8_,comdat
.Lfunc_end94:
	.size	_ZN2at6native16triu_tril_kernelIN3c104HalfElLb1ELi4ELb1EEEvNS_4cuda6detail10TensorInfoIT_T0_EENS6_IKS7_S8_EEllS8_, .Lfunc_end94-_ZN2at6native16triu_tril_kernelIN3c104HalfElLb1ELi4ELb1EEEvNS_4cuda6detail10TensorInfoIT_T0_EENS6_IKS7_S8_EEllS8_
                                        ; -- End function
	.section	.AMDGPU.csdata,"",@progbits
; Kernel info:
; codeLenInByte = 4064
; NumSgprs: 48
; NumVgprs: 24
; ScratchSize: 0
; MemoryBound: 0
; FloatMode: 240
; IeeeMode: 1
; LDSByteSize: 0 bytes/workgroup (compile time only)
; SGPRBlocks: 5
; VGPRBlocks: 2
; NumSGPRsForWavesPerEU: 48
; NumVGPRsForWavesPerEU: 24
; Occupancy: 16
; WaveLimiterHint : 0
; COMPUTE_PGM_RSRC2:SCRATCH_EN: 0
; COMPUTE_PGM_RSRC2:USER_SGPR: 15
; COMPUTE_PGM_RSRC2:TRAP_HANDLER: 0
; COMPUTE_PGM_RSRC2:TGID_X_EN: 1
; COMPUTE_PGM_RSRC2:TGID_Y_EN: 0
; COMPUTE_PGM_RSRC2:TGID_Z_EN: 0
; COMPUTE_PGM_RSRC2:TIDIG_COMP_CNT: 0
	.section	.text._ZN2at6native16triu_tril_kernelIN3c104HalfElLb1ELi4ELb0EEEvNS_4cuda6detail10TensorInfoIT_T0_EENS6_IKS7_S8_EEllS8_,"axG",@progbits,_ZN2at6native16triu_tril_kernelIN3c104HalfElLb1ELi4ELb0EEEvNS_4cuda6detail10TensorInfoIT_T0_EENS6_IKS7_S8_EEllS8_,comdat
	.protected	_ZN2at6native16triu_tril_kernelIN3c104HalfElLb1ELi4ELb0EEEvNS_4cuda6detail10TensorInfoIT_T0_EENS6_IKS7_S8_EEllS8_ ; -- Begin function _ZN2at6native16triu_tril_kernelIN3c104HalfElLb1ELi4ELb0EEEvNS_4cuda6detail10TensorInfoIT_T0_EENS6_IKS7_S8_EEllS8_
	.globl	_ZN2at6native16triu_tril_kernelIN3c104HalfElLb1ELi4ELb0EEEvNS_4cuda6detail10TensorInfoIT_T0_EENS6_IKS7_S8_EEllS8_
	.p2align	8
	.type	_ZN2at6native16triu_tril_kernelIN3c104HalfElLb1ELi4ELb0EEEvNS_4cuda6detail10TensorInfoIT_T0_EENS6_IKS7_S8_EEllS8_,@function
_ZN2at6native16triu_tril_kernelIN3c104HalfElLb1ELi4ELb0EEEvNS_4cuda6detail10TensorInfoIT_T0_EENS6_IKS7_S8_EEllS8_: ; @_ZN2at6native16triu_tril_kernelIN3c104HalfElLb1ELi4ELb0EEEvNS_4cuda6detail10TensorInfoIT_T0_EENS6_IKS7_S8_EEllS8_
; %bb.0:
	s_clause 0x1
	s_load_b32 s2, s[0:1], 0x364
	s_load_b128 s[4:7], s[0:1], 0x340
	v_mov_b32_e32 v2, 0
	s_add_u32 s8, s0, 0x358
	s_addc_u32 s9, s1, 0
	s_delay_alu instid0(VALU_DEP_1) | instskip(SKIP_3) | instid1(VALU_DEP_1)
	v_mov_b32_e32 v1, v2
	s_waitcnt lgkmcnt(0)
	s_and_b32 s26, s2, 0xffff
	s_mov_b32 s2, exec_lo
	v_mad_u64_u32 v[3:4], null, s26, s15, v[0:1]
	s_delay_alu instid0(VALU_DEP_1) | instskip(NEXT) | instid1(VALU_DEP_1)
	v_lshlrev_b64 v[0:1], 2, v[3:4]
	v_cmpx_gt_i64_e64 s[6:7], v[0:1]
	s_cbranch_execz .LBB95_32
; %bb.1:
	s_clause 0x1
	s_load_b32 s24, s[0:1], 0x338
	s_load_b64 s[2:3], s[0:1], 0x350
	s_add_u32 s10, s0, 0x1a0
	s_addc_u32 s11, s1, 0
	s_load_b32 s27, s[8:9], 0x0
	s_load_b64 s[20:21], s[0:1], 0x1a0
	s_waitcnt lgkmcnt(0)
	s_ashr_i32 s25, s24, 31
	s_add_u32 s36, s0, 0x1a8
	s_addc_u32 s37, s1, 0
	s_lshl_b64 s[8:9], s[24:25], 3
	v_cvt_f32_u32_e32 v3, s2
	s_add_u32 s12, s8, -16
	s_addc_u32 s13, s9, -1
	s_add_u32 s16, s36, s12
	s_addc_u32 s17, s37, s13
	s_add_u32 s8, s10, s12
	s_addc_u32 s9, s11, s13
	s_add_u32 s28, s0, 0xd0
	s_load_b128 s[8:11], s[8:9], 0xd0
	s_addc_u32 s29, s1, 0
	s_add_u32 s12, s28, s12
	s_addc_u32 s13, s29, s13
	s_clause 0x2
	s_load_b128 s[12:15], s[12:13], 0x0
	s_load_b128 s[16:19], s[16:17], 0x0
	s_load_b64 s[22:23], s[0:1], 0x0
	v_rcp_iflag_f32_e32 v3, v3
	s_add_i32 s34, s24, -3
	s_mul_i32 s27, s27, s26
	s_ashr_i32 s35, s34, 31
	v_cmp_gt_i64_e64 s33, s[24:25], 2
	s_lshl_b64 s[30:31], s[34:35], 3
	s_lshl_b32 s50, s27, 2
	s_mov_b32 s1, 0
	s_waitcnt_depctr 0xfff
	v_mul_f32_e32 v3, 0x4f7ffffe, v3
	s_waitcnt lgkmcnt(0)
	s_mul_i32 s0, s11, 6
	s_mul_hi_u32 s26, s10, 6
	s_lshl_b64 s[24:25], s[10:11], 2
	s_add_i32 s52, s26, s0
	s_mul_i32 s0, s15, 6
	s_mul_hi_u32 s38, s14, 6
	s_lshl_b64 s[26:27], s[14:15], 2
	s_add_i32 s54, s38, s0
	s_add_u32 s28, s28, s30
	s_addc_u32 s29, s29, s31
	v_cvt_u32_f32_e32 v18, v3
	s_add_u32 s30, s36, s30
	s_addc_u32 s31, s37, s31
	s_add_u32 s34, s34, 1
	s_mul_i32 s51, s10, 6
	s_mul_i32 s53, s14, 6
	s_addc_u32 s35, s35, 0
	s_ashr_i32 s36, s3, 31
	s_branch .LBB95_3
.LBB95_2:                               ;   in Loop: Header=BB95_3 Depth=1
	s_or_b32 exec_lo, exec_lo, s0
	v_add_co_u32 v0, vcc_lo, v0, s50
	v_add_co_ci_u32_e32 v1, vcc_lo, 0, v1, vcc_lo
	s_delay_alu instid0(VALU_DEP_1) | instskip(SKIP_1) | instid1(SALU_CYCLE_1)
	v_cmp_le_i64_e32 vcc_lo, s[6:7], v[0:1]
	s_or_b32 s1, vcc_lo, s1
	s_and_not1_b32 exec_lo, exec_lo, s1
	s_cbranch_execz .LBB95_32
.LBB95_3:                               ; =>This Loop Header: Depth=1
                                        ;     Child Loop BB95_28 Depth 2
	v_or_b32_e32 v3, s3, v1
                                        ; implicit-def: $vgpr8_vgpr9
	s_mov_b32 s0, exec_lo
	s_delay_alu instid0(VALU_DEP_1)
	v_cmpx_ne_u64_e32 0, v[2:3]
	s_xor_b32 s40, exec_lo, s0
	s_cbranch_execz .LBB95_5
; %bb.4:                                ;   in Loop: Header=BB95_3 Depth=1
	s_add_u32 s38, s2, s36
	s_mov_b32 s37, s36
	s_addc_u32 s39, s3, s36
	s_delay_alu instid0(SALU_CYCLE_1) | instskip(NEXT) | instid1(SALU_CYCLE_1)
	s_xor_b64 s[38:39], s[38:39], s[36:37]
	v_cvt_f32_u32_e32 v3, s38
	v_cvt_f32_u32_e32 v4, s39
	s_sub_u32 s0, 0, s38
	s_subb_u32 s37, 0, s39
	s_delay_alu instid0(VALU_DEP_1) | instskip(NEXT) | instid1(VALU_DEP_1)
	v_fmac_f32_e32 v3, 0x4f800000, v4
	v_rcp_f32_e32 v3, v3
	s_waitcnt_depctr 0xfff
	v_mul_f32_e32 v3, 0x5f7ffffc, v3
	s_delay_alu instid0(VALU_DEP_1) | instskip(NEXT) | instid1(VALU_DEP_1)
	v_mul_f32_e32 v4, 0x2f800000, v3
	v_trunc_f32_e32 v4, v4
	s_delay_alu instid0(VALU_DEP_1) | instskip(SKIP_1) | instid1(VALU_DEP_2)
	v_fmac_f32_e32 v3, 0xcf800000, v4
	v_cvt_u32_f32_e32 v4, v4
	v_cvt_u32_f32_e32 v3, v3
	s_delay_alu instid0(VALU_DEP_2) | instskip(NEXT) | instid1(VALU_DEP_2)
	v_mul_lo_u32 v5, s0, v4
	v_mul_hi_u32 v6, s0, v3
	v_mul_lo_u32 v7, s37, v3
	s_delay_alu instid0(VALU_DEP_2) | instskip(SKIP_1) | instid1(VALU_DEP_2)
	v_add_nc_u32_e32 v5, v6, v5
	v_mul_lo_u32 v6, s0, v3
	v_add_nc_u32_e32 v5, v5, v7
	s_delay_alu instid0(VALU_DEP_2) | instskip(NEXT) | instid1(VALU_DEP_2)
	v_mul_hi_u32 v7, v3, v6
	v_mul_lo_u32 v8, v3, v5
	v_mul_hi_u32 v9, v3, v5
	v_mul_hi_u32 v10, v4, v6
	v_mul_lo_u32 v6, v4, v6
	v_mul_hi_u32 v11, v4, v5
	v_mul_lo_u32 v5, v4, v5
	v_add_co_u32 v7, vcc_lo, v7, v8
	v_add_co_ci_u32_e32 v8, vcc_lo, 0, v9, vcc_lo
	s_delay_alu instid0(VALU_DEP_2) | instskip(NEXT) | instid1(VALU_DEP_2)
	v_add_co_u32 v6, vcc_lo, v7, v6
	v_add_co_ci_u32_e32 v6, vcc_lo, v8, v10, vcc_lo
	v_add_co_ci_u32_e32 v7, vcc_lo, 0, v11, vcc_lo
	v_ashrrev_i32_e32 v10, 31, v1
	s_delay_alu instid0(VALU_DEP_3) | instskip(NEXT) | instid1(VALU_DEP_3)
	v_add_co_u32 v5, vcc_lo, v6, v5
	v_add_co_ci_u32_e32 v6, vcc_lo, 0, v7, vcc_lo
	s_delay_alu instid0(VALU_DEP_2) | instskip(NEXT) | instid1(VALU_DEP_2)
	v_add_co_u32 v3, vcc_lo, v3, v5
	v_add_co_ci_u32_e32 v4, vcc_lo, v4, v6, vcc_lo
	s_delay_alu instid0(VALU_DEP_2) | instskip(SKIP_1) | instid1(VALU_DEP_3)
	v_mul_hi_u32 v5, s0, v3
	v_mul_lo_u32 v7, s37, v3
	v_mul_lo_u32 v6, s0, v4
	s_delay_alu instid0(VALU_DEP_1) | instskip(SKIP_1) | instid1(VALU_DEP_2)
	v_add_nc_u32_e32 v5, v5, v6
	v_mul_lo_u32 v6, s0, v3
	v_add_nc_u32_e32 v5, v5, v7
	s_delay_alu instid0(VALU_DEP_2) | instskip(NEXT) | instid1(VALU_DEP_2)
	v_mul_hi_u32 v7, v3, v6
	v_mul_lo_u32 v8, v3, v5
	v_mul_hi_u32 v9, v3, v5
	v_mul_hi_u32 v11, v4, v6
	v_mul_lo_u32 v6, v4, v6
	v_mul_hi_u32 v12, v4, v5
	v_mul_lo_u32 v5, v4, v5
	v_add_co_u32 v7, vcc_lo, v7, v8
	v_add_co_ci_u32_e32 v8, vcc_lo, 0, v9, vcc_lo
	s_delay_alu instid0(VALU_DEP_2) | instskip(NEXT) | instid1(VALU_DEP_2)
	v_add_co_u32 v6, vcc_lo, v7, v6
	v_add_co_ci_u32_e32 v6, vcc_lo, v8, v11, vcc_lo
	v_add_co_ci_u32_e32 v7, vcc_lo, 0, v12, vcc_lo
	v_add_co_u32 v8, vcc_lo, v0, v10
	v_add_co_ci_u32_e32 v9, vcc_lo, v1, v10, vcc_lo
	s_delay_alu instid0(VALU_DEP_4) | instskip(NEXT) | instid1(VALU_DEP_4)
	v_add_co_u32 v5, vcc_lo, v6, v5
	v_add_co_ci_u32_e32 v6, vcc_lo, 0, v7, vcc_lo
	s_delay_alu instid0(VALU_DEP_4) | instskip(NEXT) | instid1(VALU_DEP_3)
	v_xor_b32_e32 v11, v8, v10
	v_add_co_u32 v7, vcc_lo, v3, v5
	s_delay_alu instid0(VALU_DEP_3) | instskip(SKIP_1) | instid1(VALU_DEP_3)
	v_add_co_ci_u32_e32 v12, vcc_lo, v4, v6, vcc_lo
	v_xor_b32_e32 v9, v9, v10
	v_mul_hi_u32 v13, v11, v7
	s_delay_alu instid0(VALU_DEP_3) | instskip(NEXT) | instid1(VALU_DEP_3)
	v_mad_u64_u32 v[3:4], null, v11, v12, 0
	v_mad_u64_u32 v[5:6], null, v9, v7, 0
	;; [unrolled: 1-line block ×3, first 2 shown]
	s_delay_alu instid0(VALU_DEP_3) | instskip(NEXT) | instid1(VALU_DEP_4)
	v_add_co_u32 v3, vcc_lo, v13, v3
	v_add_co_ci_u32_e32 v4, vcc_lo, 0, v4, vcc_lo
	s_delay_alu instid0(VALU_DEP_2) | instskip(NEXT) | instid1(VALU_DEP_2)
	v_add_co_u32 v3, vcc_lo, v3, v5
	v_add_co_ci_u32_e32 v3, vcc_lo, v4, v6, vcc_lo
	v_add_co_ci_u32_e32 v4, vcc_lo, 0, v8, vcc_lo
	s_delay_alu instid0(VALU_DEP_2) | instskip(NEXT) | instid1(VALU_DEP_2)
	v_add_co_u32 v5, vcc_lo, v3, v7
	v_add_co_ci_u32_e32 v6, vcc_lo, 0, v4, vcc_lo
	s_delay_alu instid0(VALU_DEP_2) | instskip(SKIP_1) | instid1(VALU_DEP_3)
	v_mul_lo_u32 v7, s39, v5
	v_mad_u64_u32 v[3:4], null, s38, v5, 0
	v_mul_lo_u32 v8, s38, v6
	s_delay_alu instid0(VALU_DEP_2) | instskip(NEXT) | instid1(VALU_DEP_2)
	v_sub_co_u32 v3, vcc_lo, v11, v3
	v_add3_u32 v4, v4, v8, v7
	s_delay_alu instid0(VALU_DEP_1) | instskip(NEXT) | instid1(VALU_DEP_1)
	v_sub_nc_u32_e32 v7, v9, v4
	v_subrev_co_ci_u32_e64 v7, s0, s39, v7, vcc_lo
	v_add_co_u32 v8, s0, v5, 2
	s_delay_alu instid0(VALU_DEP_1) | instskip(SKIP_3) | instid1(VALU_DEP_3)
	v_add_co_ci_u32_e64 v11, s0, 0, v6, s0
	v_sub_co_u32 v12, s0, v3, s38
	v_sub_co_ci_u32_e32 v4, vcc_lo, v9, v4, vcc_lo
	v_subrev_co_ci_u32_e64 v7, s0, 0, v7, s0
	v_cmp_le_u32_e32 vcc_lo, s38, v12
	s_delay_alu instid0(VALU_DEP_3) | instskip(SKIP_1) | instid1(VALU_DEP_4)
	v_cmp_eq_u32_e64 s0, s39, v4
	v_cndmask_b32_e64 v9, 0, -1, vcc_lo
	v_cmp_le_u32_e32 vcc_lo, s39, v7
	v_cndmask_b32_e64 v12, 0, -1, vcc_lo
	v_cmp_le_u32_e32 vcc_lo, s38, v3
	v_cndmask_b32_e64 v3, 0, -1, vcc_lo
	v_cmp_le_u32_e32 vcc_lo, s39, v4
	v_cndmask_b32_e64 v13, 0, -1, vcc_lo
	v_cmp_eq_u32_e32 vcc_lo, s39, v7
	s_delay_alu instid0(VALU_DEP_2) | instskip(SKIP_3) | instid1(VALU_DEP_3)
	v_cndmask_b32_e64 v3, v13, v3, s0
	v_cndmask_b32_e32 v7, v12, v9, vcc_lo
	v_add_co_u32 v9, vcc_lo, v5, 1
	v_add_co_ci_u32_e32 v12, vcc_lo, 0, v6, vcc_lo
	v_cmp_ne_u32_e32 vcc_lo, 0, v7
	s_delay_alu instid0(VALU_DEP_2) | instskip(SKIP_2) | instid1(VALU_DEP_3)
	v_dual_cndmask_b32 v4, v12, v11 :: v_dual_cndmask_b32 v7, v9, v8
	v_cmp_ne_u32_e32 vcc_lo, 0, v3
	v_xor_b32_e32 v3, s36, v10
	v_dual_cndmask_b32 v5, v5, v7 :: v_dual_cndmask_b32 v4, v6, v4
	s_delay_alu instid0(VALU_DEP_1) | instskip(NEXT) | instid1(VALU_DEP_2)
	v_xor_b32_e32 v5, v5, v3
	v_xor_b32_e32 v4, v4, v3
	s_delay_alu instid0(VALU_DEP_2) | instskip(NEXT) | instid1(VALU_DEP_2)
	v_sub_co_u32 v8, vcc_lo, v5, v3
	v_sub_co_ci_u32_e32 v9, vcc_lo, v4, v3, vcc_lo
.LBB95_5:                               ;   in Loop: Header=BB95_3 Depth=1
	s_and_not1_saveexec_b32 s0, s40
	s_cbranch_execz .LBB95_7
; %bb.6:                                ;   in Loop: Header=BB95_3 Depth=1
	s_sub_i32 s37, 0, s2
	v_mov_b32_e32 v9, v2
	v_mul_lo_u32 v3, s37, v18
	s_delay_alu instid0(VALU_DEP_1) | instskip(NEXT) | instid1(VALU_DEP_1)
	v_mul_hi_u32 v3, v18, v3
	v_add_nc_u32_e32 v3, v18, v3
	s_delay_alu instid0(VALU_DEP_1) | instskip(NEXT) | instid1(VALU_DEP_1)
	v_mul_hi_u32 v3, v0, v3
	v_mul_lo_u32 v4, v3, s2
	v_add_nc_u32_e32 v5, 1, v3
	s_delay_alu instid0(VALU_DEP_2) | instskip(NEXT) | instid1(VALU_DEP_1)
	v_sub_nc_u32_e32 v4, v0, v4
	v_subrev_nc_u32_e32 v6, s2, v4
	v_cmp_le_u32_e32 vcc_lo, s2, v4
	s_delay_alu instid0(VALU_DEP_2) | instskip(NEXT) | instid1(VALU_DEP_1)
	v_dual_cndmask_b32 v4, v4, v6 :: v_dual_cndmask_b32 v3, v3, v5
	v_cmp_le_u32_e32 vcc_lo, s2, v4
	s_delay_alu instid0(VALU_DEP_2) | instskip(NEXT) | instid1(VALU_DEP_1)
	v_add_nc_u32_e32 v5, 1, v3
	v_cndmask_b32_e32 v8, v3, v5, vcc_lo
.LBB95_7:                               ;   in Loop: Header=BB95_3 Depth=1
	s_or_b32 exec_lo, exec_lo, s0
	s_delay_alu instid0(VALU_DEP_1) | instskip(SKIP_1) | instid1(VALU_DEP_1)
	v_or_b32_e32 v3, s17, v9
                                        ; implicit-def: $vgpr6_vgpr7
	s_mov_b32 s0, exec_lo
	v_cmpx_ne_u64_e32 0, v[2:3]
	s_xor_b32 s37, exec_lo, s0
	s_cbranch_execz .LBB95_9
; %bb.8:                                ;   in Loop: Header=BB95_3 Depth=1
	s_ashr_i32 s38, s17, 31
	s_delay_alu instid0(SALU_CYCLE_1) | instskip(SKIP_2) | instid1(SALU_CYCLE_1)
	s_add_u32 s40, s16, s38
	s_mov_b32 s39, s38
	s_addc_u32 s41, s17, s38
	s_xor_b64 s[40:41], s[40:41], s[38:39]
	s_delay_alu instid0(SALU_CYCLE_1) | instskip(SKIP_3) | instid1(VALU_DEP_1)
	v_cvt_f32_u32_e32 v3, s40
	v_cvt_f32_u32_e32 v4, s41
	s_sub_u32 s0, 0, s40
	s_subb_u32 s39, 0, s41
	v_fmac_f32_e32 v3, 0x4f800000, v4
	s_delay_alu instid0(VALU_DEP_1) | instskip(SKIP_2) | instid1(VALU_DEP_1)
	v_rcp_f32_e32 v3, v3
	s_waitcnt_depctr 0xfff
	v_mul_f32_e32 v3, 0x5f7ffffc, v3
	v_mul_f32_e32 v4, 0x2f800000, v3
	s_delay_alu instid0(VALU_DEP_1) | instskip(NEXT) | instid1(VALU_DEP_1)
	v_trunc_f32_e32 v4, v4
	v_fmac_f32_e32 v3, 0xcf800000, v4
	v_cvt_u32_f32_e32 v4, v4
	s_delay_alu instid0(VALU_DEP_2) | instskip(NEXT) | instid1(VALU_DEP_2)
	v_cvt_u32_f32_e32 v3, v3
	v_mul_lo_u32 v5, s0, v4
	s_delay_alu instid0(VALU_DEP_2) | instskip(SKIP_1) | instid1(VALU_DEP_2)
	v_mul_hi_u32 v6, s0, v3
	v_mul_lo_u32 v7, s39, v3
	v_add_nc_u32_e32 v5, v6, v5
	v_mul_lo_u32 v6, s0, v3
	s_delay_alu instid0(VALU_DEP_2) | instskip(NEXT) | instid1(VALU_DEP_2)
	v_add_nc_u32_e32 v5, v5, v7
	v_mul_hi_u32 v7, v3, v6
	s_delay_alu instid0(VALU_DEP_2)
	v_mul_lo_u32 v10, v3, v5
	v_mul_hi_u32 v11, v3, v5
	v_mul_hi_u32 v12, v4, v6
	v_mul_lo_u32 v6, v4, v6
	v_mul_hi_u32 v13, v4, v5
	v_mul_lo_u32 v5, v4, v5
	v_add_co_u32 v7, vcc_lo, v7, v10
	v_add_co_ci_u32_e32 v10, vcc_lo, 0, v11, vcc_lo
	s_delay_alu instid0(VALU_DEP_2) | instskip(NEXT) | instid1(VALU_DEP_2)
	v_add_co_u32 v6, vcc_lo, v7, v6
	v_add_co_ci_u32_e32 v6, vcc_lo, v10, v12, vcc_lo
	v_add_co_ci_u32_e32 v7, vcc_lo, 0, v13, vcc_lo
	v_ashrrev_i32_e32 v12, 31, v9
	s_delay_alu instid0(VALU_DEP_3) | instskip(NEXT) | instid1(VALU_DEP_3)
	v_add_co_u32 v5, vcc_lo, v6, v5
	v_add_co_ci_u32_e32 v6, vcc_lo, 0, v7, vcc_lo
	s_delay_alu instid0(VALU_DEP_2) | instskip(NEXT) | instid1(VALU_DEP_2)
	v_add_co_u32 v3, vcc_lo, v3, v5
	v_add_co_ci_u32_e32 v4, vcc_lo, v4, v6, vcc_lo
	s_delay_alu instid0(VALU_DEP_2) | instskip(SKIP_1) | instid1(VALU_DEP_3)
	v_mul_hi_u32 v5, s0, v3
	v_mul_lo_u32 v7, s39, v3
	v_mul_lo_u32 v6, s0, v4
	s_delay_alu instid0(VALU_DEP_1) | instskip(SKIP_1) | instid1(VALU_DEP_2)
	v_add_nc_u32_e32 v5, v5, v6
	v_mul_lo_u32 v6, s0, v3
	v_add_nc_u32_e32 v5, v5, v7
	s_delay_alu instid0(VALU_DEP_2) | instskip(NEXT) | instid1(VALU_DEP_2)
	v_mul_hi_u32 v7, v3, v6
	v_mul_lo_u32 v10, v3, v5
	v_mul_hi_u32 v11, v3, v5
	v_mul_hi_u32 v13, v4, v6
	v_mul_lo_u32 v6, v4, v6
	v_mul_hi_u32 v14, v4, v5
	v_mul_lo_u32 v5, v4, v5
	v_add_co_u32 v7, vcc_lo, v7, v10
	v_add_co_ci_u32_e32 v10, vcc_lo, 0, v11, vcc_lo
	s_delay_alu instid0(VALU_DEP_2) | instskip(NEXT) | instid1(VALU_DEP_2)
	v_add_co_u32 v6, vcc_lo, v7, v6
	v_add_co_ci_u32_e32 v6, vcc_lo, v10, v13, vcc_lo
	v_add_co_ci_u32_e32 v7, vcc_lo, 0, v14, vcc_lo
	v_add_co_u32 v10, vcc_lo, v8, v12
	v_add_co_ci_u32_e32 v11, vcc_lo, v9, v12, vcc_lo
	s_delay_alu instid0(VALU_DEP_4) | instskip(NEXT) | instid1(VALU_DEP_4)
	v_add_co_u32 v5, vcc_lo, v6, v5
	v_add_co_ci_u32_e32 v6, vcc_lo, 0, v7, vcc_lo
	s_delay_alu instid0(VALU_DEP_4) | instskip(NEXT) | instid1(VALU_DEP_3)
	v_xor_b32_e32 v7, v10, v12
	v_add_co_u32 v10, vcc_lo, v3, v5
	s_delay_alu instid0(VALU_DEP_3) | instskip(SKIP_1) | instid1(VALU_DEP_3)
	v_add_co_ci_u32_e32 v13, vcc_lo, v4, v6, vcc_lo
	v_xor_b32_e32 v14, v11, v12
	v_mul_hi_u32 v15, v7, v10
	s_delay_alu instid0(VALU_DEP_3) | instskip(NEXT) | instid1(VALU_DEP_3)
	v_mad_u64_u32 v[3:4], null, v7, v13, 0
	v_mad_u64_u32 v[5:6], null, v14, v10, 0
	v_mad_u64_u32 v[10:11], null, v14, v13, 0
	s_delay_alu instid0(VALU_DEP_3) | instskip(NEXT) | instid1(VALU_DEP_4)
	v_add_co_u32 v3, vcc_lo, v15, v3
	v_add_co_ci_u32_e32 v4, vcc_lo, 0, v4, vcc_lo
	s_delay_alu instid0(VALU_DEP_2) | instskip(NEXT) | instid1(VALU_DEP_2)
	v_add_co_u32 v3, vcc_lo, v3, v5
	v_add_co_ci_u32_e32 v3, vcc_lo, v4, v6, vcc_lo
	v_add_co_ci_u32_e32 v4, vcc_lo, 0, v11, vcc_lo
	s_delay_alu instid0(VALU_DEP_2) | instskip(NEXT) | instid1(VALU_DEP_2)
	v_add_co_u32 v5, vcc_lo, v3, v10
	v_add_co_ci_u32_e32 v6, vcc_lo, 0, v4, vcc_lo
	s_delay_alu instid0(VALU_DEP_2) | instskip(SKIP_1) | instid1(VALU_DEP_3)
	v_mul_lo_u32 v10, s41, v5
	v_mad_u64_u32 v[3:4], null, s40, v5, 0
	v_mul_lo_u32 v11, s40, v6
	s_delay_alu instid0(VALU_DEP_2) | instskip(NEXT) | instid1(VALU_DEP_2)
	v_sub_co_u32 v3, vcc_lo, v7, v3
	v_add3_u32 v4, v4, v11, v10
	s_delay_alu instid0(VALU_DEP_1) | instskip(NEXT) | instid1(VALU_DEP_1)
	v_sub_nc_u32_e32 v10, v14, v4
	v_subrev_co_ci_u32_e64 v7, s0, s41, v10, vcc_lo
	v_add_co_u32 v10, s0, v5, 2
	s_delay_alu instid0(VALU_DEP_1) | instskip(SKIP_3) | instid1(VALU_DEP_3)
	v_add_co_ci_u32_e64 v11, s0, 0, v6, s0
	v_sub_co_u32 v13, s0, v3, s40
	v_sub_co_ci_u32_e32 v4, vcc_lo, v14, v4, vcc_lo
	v_subrev_co_ci_u32_e64 v7, s0, 0, v7, s0
	v_cmp_le_u32_e32 vcc_lo, s40, v13
	s_delay_alu instid0(VALU_DEP_3) | instskip(SKIP_1) | instid1(VALU_DEP_4)
	v_cmp_eq_u32_e64 s0, s41, v4
	v_cndmask_b32_e64 v13, 0, -1, vcc_lo
	v_cmp_le_u32_e32 vcc_lo, s41, v7
	v_cndmask_b32_e64 v14, 0, -1, vcc_lo
	v_cmp_le_u32_e32 vcc_lo, s40, v3
	;; [unrolled: 2-line block ×3, first 2 shown]
	v_cndmask_b32_e64 v15, 0, -1, vcc_lo
	v_cmp_eq_u32_e32 vcc_lo, s41, v7
	s_delay_alu instid0(VALU_DEP_2) | instskip(SKIP_3) | instid1(VALU_DEP_3)
	v_cndmask_b32_e64 v3, v15, v3, s0
	v_cndmask_b32_e32 v7, v14, v13, vcc_lo
	v_add_co_u32 v13, vcc_lo, v5, 1
	v_add_co_ci_u32_e32 v14, vcc_lo, 0, v6, vcc_lo
	v_cmp_ne_u32_e32 vcc_lo, 0, v7
	s_delay_alu instid0(VALU_DEP_2) | instskip(SKIP_2) | instid1(VALU_DEP_3)
	v_dual_cndmask_b32 v4, v14, v11 :: v_dual_cndmask_b32 v7, v13, v10
	v_cmp_ne_u32_e32 vcc_lo, 0, v3
	v_xor_b32_e32 v3, s38, v12
	v_dual_cndmask_b32 v5, v5, v7 :: v_dual_cndmask_b32 v4, v6, v4
	s_delay_alu instid0(VALU_DEP_1) | instskip(NEXT) | instid1(VALU_DEP_2)
	v_xor_b32_e32 v5, v5, v3
	v_xor_b32_e32 v4, v4, v3
	s_delay_alu instid0(VALU_DEP_2) | instskip(NEXT) | instid1(VALU_DEP_2)
	v_sub_co_u32 v6, vcc_lo, v5, v3
	v_sub_co_ci_u32_e32 v7, vcc_lo, v4, v3, vcc_lo
.LBB95_9:                               ;   in Loop: Header=BB95_3 Depth=1
	s_and_not1_saveexec_b32 s0, s37
	s_cbranch_execz .LBB95_11
; %bb.10:                               ;   in Loop: Header=BB95_3 Depth=1
	v_cvt_f32_u32_e32 v3, s16
	s_sub_i32 s37, 0, s16
	v_mov_b32_e32 v7, v2
	s_delay_alu instid0(VALU_DEP_2) | instskip(SKIP_2) | instid1(VALU_DEP_1)
	v_rcp_iflag_f32_e32 v3, v3
	s_waitcnt_depctr 0xfff
	v_mul_f32_e32 v3, 0x4f7ffffe, v3
	v_cvt_u32_f32_e32 v3, v3
	s_delay_alu instid0(VALU_DEP_1) | instskip(NEXT) | instid1(VALU_DEP_1)
	v_mul_lo_u32 v4, s37, v3
	v_mul_hi_u32 v4, v3, v4
	s_delay_alu instid0(VALU_DEP_1) | instskip(NEXT) | instid1(VALU_DEP_1)
	v_add_nc_u32_e32 v3, v3, v4
	v_mul_hi_u32 v3, v8, v3
	s_delay_alu instid0(VALU_DEP_1) | instskip(SKIP_1) | instid1(VALU_DEP_2)
	v_mul_lo_u32 v4, v3, s16
	v_add_nc_u32_e32 v5, 1, v3
	v_sub_nc_u32_e32 v4, v8, v4
	s_delay_alu instid0(VALU_DEP_1) | instskip(SKIP_1) | instid1(VALU_DEP_2)
	v_subrev_nc_u32_e32 v6, s16, v4
	v_cmp_le_u32_e32 vcc_lo, s16, v4
	v_dual_cndmask_b32 v4, v4, v6 :: v_dual_cndmask_b32 v3, v3, v5
	s_delay_alu instid0(VALU_DEP_1) | instskip(NEXT) | instid1(VALU_DEP_2)
	v_cmp_le_u32_e32 vcc_lo, s16, v4
	v_add_nc_u32_e32 v5, 1, v3
	s_delay_alu instid0(VALU_DEP_1)
	v_cndmask_b32_e32 v6, v3, v5, vcc_lo
.LBB95_11:                              ;   in Loop: Header=BB95_3 Depth=1
	s_or_b32 exec_lo, exec_lo, s0
	v_mul_lo_u32 v5, v9, s2
	v_mul_lo_u32 v12, v8, s3
	v_mad_u64_u32 v[3:4], null, v8, s2, 0
	v_mul_lo_u32 v13, v7, s16
	v_mul_lo_u32 v14, v6, s17
	v_mad_u64_u32 v[10:11], null, v6, s16, 0
	s_mov_b64 s[38:39], s[34:35]
	s_mov_b64 s[40:41], s[30:31]
	s_delay_alu instid0(VALU_DEP_4) | instskip(SKIP_2) | instid1(VALU_DEP_3)
	v_add3_u32 v5, v4, v12, v5
	v_sub_co_u32 v4, vcc_lo, v0, v3
	s_mov_b64 s[42:43], s[28:29]
	v_add3_u32 v3, v11, v14, v13
	s_delay_alu instid0(VALU_DEP_3) | instskip(NEXT) | instid1(VALU_DEP_3)
	v_sub_co_ci_u32_e32 v5, vcc_lo, v1, v5, vcc_lo
	v_mul_lo_u32 v11, s11, v4
	v_mul_lo_u32 v12, s15, v4
	v_mad_u64_u32 v[14:15], null, s14, v4, 0
	s_delay_alu instid0(VALU_DEP_4)
	v_mul_lo_u32 v13, s10, v5
	v_mul_lo_u32 v21, s14, v5
	v_mad_u64_u32 v[16:17], null, s10, v4, 0
	v_sub_co_u32 v19, vcc_lo, v8, v10
	v_sub_co_ci_u32_e32 v20, vcc_lo, v9, v3, vcc_lo
	s_and_b32 vcc_lo, exec_lo, s33
	s_delay_alu instid0(VALU_DEP_4) | instskip(NEXT) | instid1(VALU_DEP_4)
	v_add3_u32 v15, v15, v21, v12
	v_add3_u32 v17, v17, v13, v11
	v_mul_lo_u32 v3, s9, v19
	v_mul_lo_u32 v8, s8, v20
	;; [unrolled: 1-line block ×3, first 2 shown]
	v_mad_u64_u32 v[12:13], null, s12, v19, v[14:15]
	v_mul_lo_u32 v10, s13, v19
	v_mad_u64_u32 v[14:15], null, s8, v19, v[16:17]
	s_delay_alu instid0(VALU_DEP_2) | instskip(NEXT) | instid1(VALU_DEP_2)
	v_add3_u32 v13, v10, v13, v9
	v_add3_u32 v15, v3, v15, v8
	v_mov_b32_e32 v8, v12
	s_delay_alu instid0(VALU_DEP_3) | instskip(NEXT) | instid1(VALU_DEP_3)
	v_dual_mov_b32 v10, v14 :: v_dual_mov_b32 v9, v13
	v_mov_b32_e32 v11, v15
	s_cbranch_vccnz .LBB95_28
.LBB95_12:                              ;   in Loop: Header=BB95_3 Depth=1
	v_sub_co_u32 v6, vcc_lo, v4, v19
	v_sub_co_ci_u32_e32 v7, vcc_lo, v5, v20, vcc_lo
	v_dual_mov_b32 v10, 0 :: v_dual_mov_b32 v9, 0
	s_delay_alu instid0(VALU_DEP_3) | instskip(NEXT) | instid1(VALU_DEP_3)
	v_add_co_u32 v16, vcc_lo, v6, 4
	v_add_co_ci_u32_e32 v17, vcc_lo, 0, v7, vcc_lo
	v_dual_mov_b32 v8, 0 :: v_dual_mov_b32 v3, 0
	s_mov_b32 s0, exec_lo
	s_delay_alu instid0(VALU_DEP_2)
	v_cmpx_le_i64_e64 s[4:5], v[16:17]
	s_cbranch_execz .LBB95_22
; %bb.13:                               ;   in Loop: Header=BB95_3 Depth=1
	v_dual_mov_b32 v16, 0 :: v_dual_mov_b32 v11, 0
	v_dual_mov_b32 v3, 0 :: v_dual_mov_b32 v10, 0
	s_mov_b32 s37, exec_lo
	v_cmpx_gt_i64_e64 s[18:19], v[4:5]
	s_cbranch_execz .LBB95_21
; %bb.14:                               ;   in Loop: Header=BB95_3 Depth=1
	v_lshlrev_b64 v[8:9], 1, v[14:15]
	v_dual_mov_b32 v3, 0 :: v_dual_mov_b32 v16, 0
	v_mov_b32_e32 v11, 0
	s_mov_b32 s38, exec_lo
	s_delay_alu instid0(VALU_DEP_3) | instskip(NEXT) | instid1(VALU_DEP_4)
	v_add_co_u32 v8, vcc_lo, s20, v8
	v_add_co_ci_u32_e32 v9, vcc_lo, s21, v9, vcc_lo
	v_add_co_u32 v14, vcc_lo, v4, 1
	v_add_co_ci_u32_e32 v15, vcc_lo, 0, v5, vcc_lo
	global_load_u16 v10, v[8:9], off
	v_cmpx_gt_i64_e64 s[18:19], v[14:15]
	s_xor_b32 s38, exec_lo, s38
	s_cbranch_execz .LBB95_20
; %bb.15:                               ;   in Loop: Header=BB95_3 Depth=1
	s_lshl_b64 s[40:41], s[10:11], 1
	v_dual_mov_b32 v11, 0 :: v_dual_mov_b32 v16, 0
	v_add_co_u32 v14, vcc_lo, v8, s40
	v_add_co_ci_u32_e32 v15, vcc_lo, s41, v9, vcc_lo
	s_mov_b32 s39, exec_lo
	global_load_u16 v3, v[14:15], off
	v_add_co_u32 v14, vcc_lo, v4, 2
	v_add_co_ci_u32_e32 v15, vcc_lo, 0, v5, vcc_lo
	s_delay_alu instid0(VALU_DEP_1)
	v_cmpx_gt_i64_e64 s[18:19], v[14:15]
	s_xor_b32 s39, exec_lo, s39
	s_cbranch_execz .LBB95_19
; %bb.16:                               ;   in Loop: Header=BB95_3 Depth=1
	v_add_co_u32 v14, vcc_lo, v8, s24
	v_add_co_ci_u32_e32 v15, vcc_lo, s25, v9, vcc_lo
	v_mov_b32_e32 v16, 0
	s_mov_b32 s40, exec_lo
	global_load_u16 v11, v[14:15], off
	v_add_co_u32 v14, vcc_lo, v4, 3
	v_add_co_ci_u32_e32 v15, vcc_lo, 0, v5, vcc_lo
	s_delay_alu instid0(VALU_DEP_1)
	v_cmpx_gt_i64_e64 s[18:19], v[14:15]
	s_xor_b32 s40, exec_lo, s40
	s_cbranch_execz .LBB95_18
; %bb.17:                               ;   in Loop: Header=BB95_3 Depth=1
	v_add_co_u32 v8, vcc_lo, v8, s51
	v_add_co_ci_u32_e32 v9, vcc_lo, s52, v9, vcc_lo
	global_load_u16 v16, v[8:9], off
.LBB95_18:                              ;   in Loop: Header=BB95_3 Depth=1
	s_or_b32 exec_lo, exec_lo, s40
.LBB95_19:                              ;   in Loop: Header=BB95_3 Depth=1
	s_delay_alu instid0(SALU_CYCLE_1)
	s_or_b32 exec_lo, exec_lo, s39
.LBB95_20:                              ;   in Loop: Header=BB95_3 Depth=1
	s_delay_alu instid0(SALU_CYCLE_1)
	s_or_b32 exec_lo, exec_lo, s38
.LBB95_21:                              ;   in Loop: Header=BB95_3 Depth=1
	s_delay_alu instid0(SALU_CYCLE_1)
	s_or_b32 exec_lo, exec_lo, s37
	v_cmp_le_i64_e32 vcc_lo, s[4:5], v[6:7]
	s_waitcnt vmcnt(0)
	v_cndmask_b32_e32 v10, 0, v10, vcc_lo
	v_add_co_u32 v8, vcc_lo, v6, 1
	v_add_co_ci_u32_e32 v9, vcc_lo, 0, v7, vcc_lo
	v_add_co_u32 v14, vcc_lo, v6, 2
	v_add_co_ci_u32_e32 v15, vcc_lo, 0, v7, vcc_lo
	;; [unrolled: 2-line block ×3, first 2 shown]
	v_cmp_le_i64_e32 vcc_lo, s[4:5], v[8:9]
	v_cndmask_b32_e32 v9, 0, v3, vcc_lo
	v_cmp_le_i64_e32 vcc_lo, s[4:5], v[14:15]
	v_cndmask_b32_e32 v8, 0, v11, vcc_lo
	;; [unrolled: 2-line block ×3, first 2 shown]
.LBB95_22:                              ;   in Loop: Header=BB95_3 Depth=1
	s_or_b32 exec_lo, exec_lo, s0
	s_delay_alu instid0(SALU_CYCLE_1)
	s_mov_b32 s0, exec_lo
	v_cmpx_gt_i64_e64 s[18:19], v[4:5]
	s_cbranch_execz .LBB95_2
; %bb.23:                               ;   in Loop: Header=BB95_3 Depth=1
	v_lshlrev_b64 v[6:7], 1, v[12:13]
	v_add_co_u32 v11, vcc_lo, v4, 1
	v_add_co_ci_u32_e32 v12, vcc_lo, 0, v5, vcc_lo
	s_mov_b32 s37, exec_lo
	s_delay_alu instid0(VALU_DEP_3) | instskip(NEXT) | instid1(VALU_DEP_4)
	v_add_co_u32 v6, vcc_lo, s22, v6
	v_add_co_ci_u32_e32 v7, vcc_lo, s23, v7, vcc_lo
	global_store_b16 v[6:7], v10, off
	v_cmpx_gt_i64_e64 s[18:19], v[11:12]
	s_xor_b32 s37, exec_lo, s37
	s_cbranch_execz .LBB95_2
; %bb.24:                               ;   in Loop: Header=BB95_3 Depth=1
	v_add_co_u32 v10, vcc_lo, v4, 2
	s_lshl_b64 s[38:39], s[14:15], 1
	v_add_co_ci_u32_e32 v11, vcc_lo, 0, v5, vcc_lo
	v_add_co_u32 v12, vcc_lo, v6, s38
	v_add_co_ci_u32_e32 v13, vcc_lo, s39, v7, vcc_lo
	s_mov_b32 s37, exec_lo
	global_store_b16 v[12:13], v9, off
	v_cmpx_gt_i64_e64 s[18:19], v[10:11]
	s_xor_b32 s37, exec_lo, s37
	s_cbranch_execz .LBB95_2
; %bb.25:                               ;   in Loop: Header=BB95_3 Depth=1
	v_add_co_u32 v4, vcc_lo, v4, 3
	v_add_co_ci_u32_e32 v5, vcc_lo, 0, v5, vcc_lo
	v_add_co_u32 v9, vcc_lo, v6, s26
	v_add_co_ci_u32_e32 v10, vcc_lo, s27, v7, vcc_lo
	s_mov_b32 s37, exec_lo
	global_store_b16 v[9:10], v8, off
	v_cmpx_gt_i64_e64 s[18:19], v[4:5]
	s_xor_b32 s37, exec_lo, s37
	s_cbranch_execz .LBB95_2
; %bb.26:                               ;   in Loop: Header=BB95_3 Depth=1
	v_add_co_u32 v4, vcc_lo, v6, s53
	v_add_co_ci_u32_e32 v5, vcc_lo, s54, v7, vcc_lo
	global_store_b16 v[4:5], v3, off
	s_branch .LBB95_2
.LBB95_27:                              ;   in Loop: Header=BB95_28 Depth=2
	s_or_b32 exec_lo, exec_lo, s0
	s_delay_alu instid0(VALU_DEP_1) | instskip(NEXT) | instid1(VALU_DEP_2)
	v_mul_lo_u32 v3, v17, s44
	v_mul_lo_u32 v14, v16, s45
	s_load_b64 s[46:47], s[40:41], 0xc8
	v_mad_u64_u32 v[12:13], null, v16, s44, 0
	s_load_b64 s[44:45], s[42:43], 0x0
	s_add_u32 s42, s42, -8
	s_addc_u32 s43, s43, -1
	s_add_u32 s40, s40, -8
	s_addc_u32 s41, s41, -1
	s_add_u32 s38, s38, -1
	s_delay_alu instid0(VALU_DEP_1) | instskip(SKIP_2) | instid1(VALU_DEP_2)
	v_add3_u32 v3, v13, v14, v3
	v_sub_co_u32 v6, vcc_lo, v6, v12
	s_addc_u32 s39, s39, -1
	v_sub_co_ci_u32_e32 v3, vcc_lo, v7, v3, vcc_lo
	v_cmp_lt_i64_e64 s0, s[38:39], 1
	s_waitcnt lgkmcnt(0)
	s_delay_alu instid0(VALU_DEP_2)
	v_mul_lo_u32 v7, s46, v3
	v_mul_lo_u32 v21, s47, v6
	v_mad_u64_u32 v[14:15], null, s46, v6, v[10:11]
	v_mul_lo_u32 v3, s44, v3
	v_mul_lo_u32 v10, s45, v6
	v_mad_u64_u32 v[12:13], null, s44, v6, v[8:9]
	s_and_b32 vcc_lo, exec_lo, s0
	s_delay_alu instid0(VALU_DEP_4) | instskip(SKIP_1) | instid1(VALU_DEP_3)
	v_add3_u32 v15, v21, v15, v7
	v_dual_mov_b32 v6, v16 :: v_dual_mov_b32 v7, v17
	v_add3_u32 v13, v10, v13, v3
	s_delay_alu instid0(VALU_DEP_4) | instskip(NEXT) | instid1(VALU_DEP_4)
	v_mov_b32_e32 v8, v12
	v_dual_mov_b32 v10, v14 :: v_dual_mov_b32 v11, v15
	s_delay_alu instid0(VALU_DEP_3)
	v_mov_b32_e32 v9, v13
	s_cbranch_vccnz .LBB95_12
.LBB95_28:                              ;   Parent Loop BB95_3 Depth=1
                                        ; =>  This Inner Loop Header: Depth=2
	s_load_b64 s[44:45], s[40:41], 0x0
                                        ; implicit-def: $vgpr16_vgpr17
	s_mov_b32 s0, exec_lo
	s_waitcnt lgkmcnt(0)
	v_or_b32_e32 v3, s45, v7
	s_delay_alu instid0(VALU_DEP_1)
	v_cmpx_ne_u64_e32 0, v[2:3]
	s_xor_b32 s37, exec_lo, s0
	s_cbranch_execz .LBB95_30
; %bb.29:                               ;   in Loop: Header=BB95_28 Depth=2
	s_ashr_i32 s46, s45, 31
	s_delay_alu instid0(SALU_CYCLE_1) | instskip(SKIP_2) | instid1(SALU_CYCLE_1)
	s_add_u32 s48, s44, s46
	s_mov_b32 s47, s46
	s_addc_u32 s49, s45, s46
	s_xor_b64 s[48:49], s[48:49], s[46:47]
	s_delay_alu instid0(SALU_CYCLE_1) | instskip(SKIP_3) | instid1(VALU_DEP_1)
	v_cvt_f32_u32_e32 v3, s48
	v_cvt_f32_u32_e32 v12, s49
	s_sub_u32 s0, 0, s48
	s_subb_u32 s47, 0, s49
	v_fmac_f32_e32 v3, 0x4f800000, v12
	s_delay_alu instid0(VALU_DEP_1) | instskip(SKIP_2) | instid1(VALU_DEP_1)
	v_rcp_f32_e32 v3, v3
	s_waitcnt_depctr 0xfff
	v_mul_f32_e32 v3, 0x5f7ffffc, v3
	v_mul_f32_e32 v12, 0x2f800000, v3
	s_delay_alu instid0(VALU_DEP_1) | instskip(NEXT) | instid1(VALU_DEP_1)
	v_trunc_f32_e32 v12, v12
	v_fmac_f32_e32 v3, 0xcf800000, v12
	v_cvt_u32_f32_e32 v12, v12
	s_delay_alu instid0(VALU_DEP_2) | instskip(NEXT) | instid1(VALU_DEP_2)
	v_cvt_u32_f32_e32 v3, v3
	v_mul_lo_u32 v13, s0, v12
	s_delay_alu instid0(VALU_DEP_2) | instskip(SKIP_1) | instid1(VALU_DEP_2)
	v_mul_hi_u32 v14, s0, v3
	v_mul_lo_u32 v15, s47, v3
	v_add_nc_u32_e32 v13, v14, v13
	v_mul_lo_u32 v14, s0, v3
	s_delay_alu instid0(VALU_DEP_2) | instskip(NEXT) | instid1(VALU_DEP_2)
	v_add_nc_u32_e32 v13, v13, v15
	v_mul_hi_u32 v15, v3, v14
	s_delay_alu instid0(VALU_DEP_2)
	v_mul_lo_u32 v16, v3, v13
	v_mul_hi_u32 v17, v3, v13
	v_mul_hi_u32 v21, v12, v14
	v_mul_lo_u32 v14, v12, v14
	v_mul_hi_u32 v22, v12, v13
	v_mul_lo_u32 v13, v12, v13
	v_add_co_u32 v15, vcc_lo, v15, v16
	v_add_co_ci_u32_e32 v16, vcc_lo, 0, v17, vcc_lo
	s_delay_alu instid0(VALU_DEP_2) | instskip(NEXT) | instid1(VALU_DEP_2)
	v_add_co_u32 v14, vcc_lo, v15, v14
	v_add_co_ci_u32_e32 v14, vcc_lo, v16, v21, vcc_lo
	v_add_co_ci_u32_e32 v15, vcc_lo, 0, v22, vcc_lo
	v_ashrrev_i32_e32 v21, 31, v7
	s_delay_alu instid0(VALU_DEP_3) | instskip(NEXT) | instid1(VALU_DEP_3)
	v_add_co_u32 v13, vcc_lo, v14, v13
	v_add_co_ci_u32_e32 v14, vcc_lo, 0, v15, vcc_lo
	s_delay_alu instid0(VALU_DEP_2) | instskip(NEXT) | instid1(VALU_DEP_2)
	v_add_co_u32 v3, vcc_lo, v3, v13
	v_add_co_ci_u32_e32 v12, vcc_lo, v12, v14, vcc_lo
	s_delay_alu instid0(VALU_DEP_2) | instskip(SKIP_1) | instid1(VALU_DEP_3)
	v_mul_hi_u32 v13, s0, v3
	v_mul_lo_u32 v15, s47, v3
	v_mul_lo_u32 v14, s0, v12
	s_delay_alu instid0(VALU_DEP_1) | instskip(SKIP_1) | instid1(VALU_DEP_2)
	v_add_nc_u32_e32 v13, v13, v14
	v_mul_lo_u32 v14, s0, v3
	v_add_nc_u32_e32 v13, v13, v15
	s_delay_alu instid0(VALU_DEP_2) | instskip(NEXT) | instid1(VALU_DEP_2)
	v_mul_hi_u32 v15, v3, v14
	v_mul_lo_u32 v16, v3, v13
	v_mul_hi_u32 v17, v3, v13
	v_mul_hi_u32 v22, v12, v14
	v_mul_lo_u32 v14, v12, v14
	v_mul_hi_u32 v23, v12, v13
	v_mul_lo_u32 v13, v12, v13
	v_add_co_u32 v15, vcc_lo, v15, v16
	v_add_co_ci_u32_e32 v16, vcc_lo, 0, v17, vcc_lo
	s_delay_alu instid0(VALU_DEP_2) | instskip(NEXT) | instid1(VALU_DEP_2)
	v_add_co_u32 v14, vcc_lo, v15, v14
	v_add_co_ci_u32_e32 v14, vcc_lo, v16, v22, vcc_lo
	v_add_co_ci_u32_e32 v15, vcc_lo, 0, v23, vcc_lo
	v_add_co_u32 v16, vcc_lo, v6, v21
	v_add_co_ci_u32_e32 v17, vcc_lo, v7, v21, vcc_lo
	s_delay_alu instid0(VALU_DEP_4) | instskip(NEXT) | instid1(VALU_DEP_4)
	v_add_co_u32 v13, vcc_lo, v14, v13
	v_add_co_ci_u32_e32 v14, vcc_lo, 0, v15, vcc_lo
	s_delay_alu instid0(VALU_DEP_4) | instskip(NEXT) | instid1(VALU_DEP_3)
	v_xor_b32_e32 v22, v16, v21
	v_add_co_u32 v3, vcc_lo, v3, v13
	s_delay_alu instid0(VALU_DEP_3) | instskip(SKIP_1) | instid1(VALU_DEP_3)
	v_add_co_ci_u32_e32 v23, vcc_lo, v12, v14, vcc_lo
	v_xor_b32_e32 v24, v17, v21
	v_mul_hi_u32 v25, v22, v3
	s_delay_alu instid0(VALU_DEP_3) | instskip(NEXT) | instid1(VALU_DEP_3)
	v_mad_u64_u32 v[12:13], null, v22, v23, 0
	v_mad_u64_u32 v[14:15], null, v24, v3, 0
	;; [unrolled: 1-line block ×3, first 2 shown]
	s_delay_alu instid0(VALU_DEP_3) | instskip(NEXT) | instid1(VALU_DEP_4)
	v_add_co_u32 v3, vcc_lo, v25, v12
	v_add_co_ci_u32_e32 v12, vcc_lo, 0, v13, vcc_lo
	s_delay_alu instid0(VALU_DEP_2) | instskip(NEXT) | instid1(VALU_DEP_2)
	v_add_co_u32 v3, vcc_lo, v3, v14
	v_add_co_ci_u32_e32 v3, vcc_lo, v12, v15, vcc_lo
	v_add_co_ci_u32_e32 v12, vcc_lo, 0, v17, vcc_lo
	s_delay_alu instid0(VALU_DEP_2) | instskip(NEXT) | instid1(VALU_DEP_2)
	v_add_co_u32 v3, vcc_lo, v3, v16
	v_add_co_ci_u32_e32 v14, vcc_lo, 0, v12, vcc_lo
	s_delay_alu instid0(VALU_DEP_2) | instskip(SKIP_1) | instid1(VALU_DEP_3)
	v_mul_lo_u32 v15, s49, v3
	v_mad_u64_u32 v[12:13], null, s48, v3, 0
	v_mul_lo_u32 v16, s48, v14
	s_delay_alu instid0(VALU_DEP_2) | instskip(NEXT) | instid1(VALU_DEP_2)
	v_sub_co_u32 v12, vcc_lo, v22, v12
	v_add3_u32 v13, v13, v16, v15
	s_delay_alu instid0(VALU_DEP_1) | instskip(NEXT) | instid1(VALU_DEP_1)
	v_sub_nc_u32_e32 v15, v24, v13
	v_subrev_co_ci_u32_e64 v15, s0, s49, v15, vcc_lo
	v_add_co_u32 v16, s0, v3, 2
	s_delay_alu instid0(VALU_DEP_1) | instskip(SKIP_3) | instid1(VALU_DEP_3)
	v_add_co_ci_u32_e64 v17, s0, 0, v14, s0
	v_sub_co_u32 v22, s0, v12, s48
	v_sub_co_ci_u32_e32 v13, vcc_lo, v24, v13, vcc_lo
	v_subrev_co_ci_u32_e64 v15, s0, 0, v15, s0
	v_cmp_le_u32_e32 vcc_lo, s48, v22
	s_delay_alu instid0(VALU_DEP_3) | instskip(SKIP_1) | instid1(VALU_DEP_4)
	v_cmp_eq_u32_e64 s0, s49, v13
	v_cndmask_b32_e64 v22, 0, -1, vcc_lo
	v_cmp_le_u32_e32 vcc_lo, s49, v15
	v_cndmask_b32_e64 v23, 0, -1, vcc_lo
	v_cmp_le_u32_e32 vcc_lo, s48, v12
	;; [unrolled: 2-line block ×3, first 2 shown]
	v_cndmask_b32_e64 v24, 0, -1, vcc_lo
	v_cmp_eq_u32_e32 vcc_lo, s49, v15
	s_delay_alu instid0(VALU_DEP_2) | instskip(SKIP_3) | instid1(VALU_DEP_3)
	v_cndmask_b32_e64 v12, v24, v12, s0
	v_cndmask_b32_e32 v15, v23, v22, vcc_lo
	v_add_co_u32 v22, vcc_lo, v3, 1
	v_add_co_ci_u32_e32 v23, vcc_lo, 0, v14, vcc_lo
	v_cmp_ne_u32_e32 vcc_lo, 0, v15
	s_delay_alu instid0(VALU_DEP_2) | instskip(NEXT) | instid1(VALU_DEP_4)
	v_cndmask_b32_e32 v13, v23, v17, vcc_lo
	v_cndmask_b32_e32 v15, v22, v16, vcc_lo
	v_cmp_ne_u32_e32 vcc_lo, 0, v12
	v_xor_b32_e32 v12, s46, v21
	s_delay_alu instid0(VALU_DEP_3) | instskip(SKIP_1) | instid1(VALU_DEP_2)
	v_cndmask_b32_e32 v3, v3, v15, vcc_lo
	v_cndmask_b32_e32 v13, v14, v13, vcc_lo
	v_xor_b32_e32 v3, v3, v12
	s_delay_alu instid0(VALU_DEP_2) | instskip(NEXT) | instid1(VALU_DEP_2)
	v_xor_b32_e32 v13, v13, v12
	v_sub_co_u32 v16, vcc_lo, v3, v12
	s_delay_alu instid0(VALU_DEP_2)
	v_sub_co_ci_u32_e32 v17, vcc_lo, v13, v12, vcc_lo
.LBB95_30:                              ;   in Loop: Header=BB95_28 Depth=2
	s_and_not1_saveexec_b32 s0, s37
	s_cbranch_execz .LBB95_27
; %bb.31:                               ;   in Loop: Header=BB95_28 Depth=2
	v_cvt_f32_u32_e32 v3, s44
	s_sub_i32 s37, 0, s44
	v_mov_b32_e32 v17, v2
	s_delay_alu instid0(VALU_DEP_2) | instskip(SKIP_2) | instid1(VALU_DEP_1)
	v_rcp_iflag_f32_e32 v3, v3
	s_waitcnt_depctr 0xfff
	v_mul_f32_e32 v3, 0x4f7ffffe, v3
	v_cvt_u32_f32_e32 v3, v3
	s_delay_alu instid0(VALU_DEP_1) | instskip(NEXT) | instid1(VALU_DEP_1)
	v_mul_lo_u32 v12, s37, v3
	v_mul_hi_u32 v12, v3, v12
	s_delay_alu instid0(VALU_DEP_1) | instskip(NEXT) | instid1(VALU_DEP_1)
	v_add_nc_u32_e32 v3, v3, v12
	v_mul_hi_u32 v3, v6, v3
	s_delay_alu instid0(VALU_DEP_1) | instskip(SKIP_1) | instid1(VALU_DEP_2)
	v_mul_lo_u32 v12, v3, s44
	v_add_nc_u32_e32 v13, 1, v3
	v_sub_nc_u32_e32 v12, v6, v12
	s_delay_alu instid0(VALU_DEP_1) | instskip(SKIP_1) | instid1(VALU_DEP_2)
	v_subrev_nc_u32_e32 v14, s44, v12
	v_cmp_le_u32_e32 vcc_lo, s44, v12
	v_dual_cndmask_b32 v12, v12, v14 :: v_dual_cndmask_b32 v3, v3, v13
	s_delay_alu instid0(VALU_DEP_1) | instskip(NEXT) | instid1(VALU_DEP_2)
	v_cmp_le_u32_e32 vcc_lo, s44, v12
	v_add_nc_u32_e32 v13, 1, v3
	s_delay_alu instid0(VALU_DEP_1)
	v_cndmask_b32_e32 v16, v3, v13, vcc_lo
	s_branch .LBB95_27
.LBB95_32:
	s_nop 0
	s_sendmsg sendmsg(MSG_DEALLOC_VGPRS)
	s_endpgm
	.section	.rodata,"a",@progbits
	.p2align	6, 0x0
	.amdhsa_kernel _ZN2at6native16triu_tril_kernelIN3c104HalfElLb1ELi4ELb0EEEvNS_4cuda6detail10TensorInfoIT_T0_EENS6_IKS7_S8_EEllS8_
		.amdhsa_group_segment_fixed_size 0
		.amdhsa_private_segment_fixed_size 0
		.amdhsa_kernarg_size 1112
		.amdhsa_user_sgpr_count 15
		.amdhsa_user_sgpr_dispatch_ptr 0
		.amdhsa_user_sgpr_queue_ptr 0
		.amdhsa_user_sgpr_kernarg_segment_ptr 1
		.amdhsa_user_sgpr_dispatch_id 0
		.amdhsa_user_sgpr_private_segment_size 0
		.amdhsa_wavefront_size32 1
		.amdhsa_uses_dynamic_stack 0
		.amdhsa_enable_private_segment 0
		.amdhsa_system_sgpr_workgroup_id_x 1
		.amdhsa_system_sgpr_workgroup_id_y 0
		.amdhsa_system_sgpr_workgroup_id_z 0
		.amdhsa_system_sgpr_workgroup_info 0
		.amdhsa_system_vgpr_workitem_id 0
		.amdhsa_next_free_vgpr 26
		.amdhsa_next_free_sgpr 55
		.amdhsa_reserve_vcc 1
		.amdhsa_float_round_mode_32 0
		.amdhsa_float_round_mode_16_64 0
		.amdhsa_float_denorm_mode_32 3
		.amdhsa_float_denorm_mode_16_64 3
		.amdhsa_dx10_clamp 1
		.amdhsa_ieee_mode 1
		.amdhsa_fp16_overflow 0
		.amdhsa_workgroup_processor_mode 1
		.amdhsa_memory_ordered 1
		.amdhsa_forward_progress 0
		.amdhsa_shared_vgpr_count 0
		.amdhsa_exception_fp_ieee_invalid_op 0
		.amdhsa_exception_fp_denorm_src 0
		.amdhsa_exception_fp_ieee_div_zero 0
		.amdhsa_exception_fp_ieee_overflow 0
		.amdhsa_exception_fp_ieee_underflow 0
		.amdhsa_exception_fp_ieee_inexact 0
		.amdhsa_exception_int_div_zero 0
	.end_amdhsa_kernel
	.section	.text._ZN2at6native16triu_tril_kernelIN3c104HalfElLb1ELi4ELb0EEEvNS_4cuda6detail10TensorInfoIT_T0_EENS6_IKS7_S8_EEllS8_,"axG",@progbits,_ZN2at6native16triu_tril_kernelIN3c104HalfElLb1ELi4ELb0EEEvNS_4cuda6detail10TensorInfoIT_T0_EENS6_IKS7_S8_EEllS8_,comdat
.Lfunc_end95:
	.size	_ZN2at6native16triu_tril_kernelIN3c104HalfElLb1ELi4ELb0EEEvNS_4cuda6detail10TensorInfoIT_T0_EENS6_IKS7_S8_EEllS8_, .Lfunc_end95-_ZN2at6native16triu_tril_kernelIN3c104HalfElLb1ELi4ELb0EEEvNS_4cuda6detail10TensorInfoIT_T0_EENS6_IKS7_S8_EEllS8_
                                        ; -- End function
	.section	.AMDGPU.csdata,"",@progbits
; Kernel info:
; codeLenInByte = 4512
; NumSgprs: 57
; NumVgprs: 26
; ScratchSize: 0
; MemoryBound: 0
; FloatMode: 240
; IeeeMode: 1
; LDSByteSize: 0 bytes/workgroup (compile time only)
; SGPRBlocks: 7
; VGPRBlocks: 3
; NumSGPRsForWavesPerEU: 57
; NumVGPRsForWavesPerEU: 26
; Occupancy: 16
; WaveLimiterHint : 0
; COMPUTE_PGM_RSRC2:SCRATCH_EN: 0
; COMPUTE_PGM_RSRC2:USER_SGPR: 15
; COMPUTE_PGM_RSRC2:TRAP_HANDLER: 0
; COMPUTE_PGM_RSRC2:TGID_X_EN: 1
; COMPUTE_PGM_RSRC2:TGID_Y_EN: 0
; COMPUTE_PGM_RSRC2:TGID_Z_EN: 0
; COMPUTE_PGM_RSRC2:TIDIG_COMP_CNT: 0
	.section	.text._ZN2at6native16triu_tril_kernelIN3c108BFloat16EiLb1ELi4ELb1EEEvNS_4cuda6detail10TensorInfoIT_T0_EENS6_IKS7_S8_EEllS8_,"axG",@progbits,_ZN2at6native16triu_tril_kernelIN3c108BFloat16EiLb1ELi4ELb1EEEvNS_4cuda6detail10TensorInfoIT_T0_EENS6_IKS7_S8_EEllS8_,comdat
	.protected	_ZN2at6native16triu_tril_kernelIN3c108BFloat16EiLb1ELi4ELb1EEEvNS_4cuda6detail10TensorInfoIT_T0_EENS6_IKS7_S8_EEllS8_ ; -- Begin function _ZN2at6native16triu_tril_kernelIN3c108BFloat16EiLb1ELi4ELb1EEEvNS_4cuda6detail10TensorInfoIT_T0_EENS6_IKS7_S8_EEllS8_
	.globl	_ZN2at6native16triu_tril_kernelIN3c108BFloat16EiLb1ELi4ELb1EEEvNS_4cuda6detail10TensorInfoIT_T0_EENS6_IKS7_S8_EEllS8_
	.p2align	8
	.type	_ZN2at6native16triu_tril_kernelIN3c108BFloat16EiLb1ELi4ELb1EEEvNS_4cuda6detail10TensorInfoIT_T0_EENS6_IKS7_S8_EEllS8_,@function
_ZN2at6native16triu_tril_kernelIN3c108BFloat16EiLb1ELi4ELb1EEEvNS_4cuda6detail10TensorInfoIT_T0_EENS6_IKS7_S8_EEllS8_: ; @_ZN2at6native16triu_tril_kernelIN3c108BFloat16EiLb1ELi4ELb1EEEvNS_4cuda6detail10TensorInfoIT_T0_EENS6_IKS7_S8_EEllS8_
; %bb.0:
	s_clause 0x1
	s_load_b32 s2, s[0:1], 0x1d4
	s_load_b128 s[4:7], s[0:1], 0x1b0
	v_mov_b32_e32 v2, 0
	s_add_u32 s8, s0, 0x1c8
	s_addc_u32 s9, s1, 0
	s_delay_alu instid0(VALU_DEP_1) | instskip(SKIP_3) | instid1(VALU_DEP_1)
	v_mov_b32_e32 v1, v2
	s_waitcnt lgkmcnt(0)
	s_and_b32 s14, s2, 0xffff
	s_mov_b32 s2, exec_lo
	v_mad_u64_u32 v[3:4], null, s14, s15, v[0:1]
	s_delay_alu instid0(VALU_DEP_1) | instskip(NEXT) | instid1(VALU_DEP_1)
	v_lshlrev_b64 v[0:1], 2, v[3:4]
	v_cmpx_gt_i64_e64 s[6:7], v[0:1]
	s_cbranch_execz .LBB96_68
; %bb.1:
	s_clause 0x2
	s_load_b32 s24, s[0:1], 0x1c0
	s_load_b32 s16, s[0:1], 0x1a8
	s_load_b64 s[2:3], s[0:1], 0x0
	s_load_b32 s19, s[8:9], 0x0
	s_mov_b32 s38, 0
	s_waitcnt lgkmcnt(0)
	s_ashr_i32 s25, s24, 31
	s_ashr_i32 s17, s16, 31
	s_add_u32 s26, s0, 0xe0
	s_addc_u32 s27, s1, 0
	s_lshl_b64 s[10:11], s[16:17], 2
	v_cvt_f32_u32_e32 v3, s24
	s_add_u32 s15, s10, -8
	s_addc_u32 s18, s11, -1
	s_add_u32 s12, s26, s15
	s_addc_u32 s13, s27, s18
	v_rcp_iflag_f32_e32 v3, v3
	s_load_b32 s28, s[12:13], 0x0
	s_mul_i32 s19, s19, s14
	v_cmp_gt_i64_e64 s37, s[16:17], 2
	s_waitcnt_depctr 0xfff
	v_mul_f32_e32 v3, 0x4f7ffffe, v3
	s_delay_alu instid0(VALU_DEP_1)
	v_cvt_u32_f32_e32 v3, v3
	s_waitcnt lgkmcnt(0)
	s_ashr_i32 s29, s28, 31
	s_add_u32 s12, s10, -4
	s_addc_u32 s13, s11, -1
	s_add_u32 s30, s0, 0x6c
	s_addc_u32 s1, s1, 0
	s_add_u32 s8, s30, s12
	s_addc_u32 s9, s1, s13
	;; [unrolled: 2-line block ×3, first 2 shown]
	s_add_i32 s31, s16, -3
	s_add_u32 s12, s26, s12
	s_addc_u32 s13, s27, s13
	s_add_i32 s0, s16, 6
	s_lshl_b32 s34, s19, 2
	s_and_b32 s33, s0, 7
	s_mov_b32 s15, 0
	s_cmp_lg_u32 s33, 0
	s_cselect_b32 s35, -1, 0
	s_cmp_gt_u32 s31, 6
	s_cselect_b32 s36, -1, 0
	s_sub_i32 s0, 0, s24
	s_delay_alu instid0(SALU_CYCLE_1) | instskip(NEXT) | instid1(VALU_DEP_1)
	v_mul_lo_u32 v4, s0, v3
	v_mul_hi_u32 v4, v3, v4
	s_delay_alu instid0(VALU_DEP_1)
	v_add_nc_u32_e32 v24, v3, v4
	s_branch .LBB96_3
.LBB96_2:                               ;   in Loop: Header=BB96_3 Depth=1
	s_or_b32 exec_lo, exec_lo, s39
	v_add_co_u32 v0, vcc_lo, v0, s34
	v_add_co_ci_u32_e32 v1, vcc_lo, 0, v1, vcc_lo
	s_delay_alu instid0(VALU_DEP_1) | instskip(SKIP_1) | instid1(SALU_CYCLE_1)
	v_cmp_le_i64_e32 vcc_lo, s[6:7], v[0:1]
	s_or_b32 s38, vcc_lo, s38
	s_and_not1_b32 exec_lo, exec_lo, s38
	s_cbranch_execz .LBB96_68
.LBB96_3:                               ; =>This Loop Header: Depth=1
                                        ;     Child Loop BB96_15 Depth 2
                                        ;     Child Loop BB96_24 Depth 2
	v_or_b32_e32 v3, s25, v1
                                        ; implicit-def: $vgpr4_vgpr5
	s_mov_b32 s0, exec_lo
	s_delay_alu instid0(VALU_DEP_1)
	v_cmpx_ne_u64_e32 0, v[2:3]
	s_xor_b32 s14, exec_lo, s0
	s_cbranch_execz .LBB96_5
; %bb.4:                                ;   in Loop: Header=BB96_3 Depth=1
	s_add_u32 s18, s24, s25
	s_mov_b32 s16, s25
	s_mov_b32 s17, s25
	s_addc_u32 s19, s25, s25
	s_delay_alu instid0(SALU_CYCLE_1) | instskip(NEXT) | instid1(SALU_CYCLE_1)
	s_xor_b64 s[18:19], s[18:19], s[16:17]
	v_cvt_f32_u32_e32 v3, s18
	v_cvt_f32_u32_e32 v4, s19
	s_sub_u32 s0, 0, s18
	s_subb_u32 s20, 0, s19
	s_delay_alu instid0(VALU_DEP_1) | instskip(NEXT) | instid1(VALU_DEP_1)
	v_fmac_f32_e32 v3, 0x4f800000, v4
	v_rcp_f32_e32 v3, v3
	s_waitcnt_depctr 0xfff
	v_mul_f32_e32 v3, 0x5f7ffffc, v3
	s_delay_alu instid0(VALU_DEP_1) | instskip(NEXT) | instid1(VALU_DEP_1)
	v_mul_f32_e32 v4, 0x2f800000, v3
	v_trunc_f32_e32 v4, v4
	s_delay_alu instid0(VALU_DEP_1) | instskip(SKIP_1) | instid1(VALU_DEP_2)
	v_fmac_f32_e32 v3, 0xcf800000, v4
	v_cvt_u32_f32_e32 v4, v4
	v_cvt_u32_f32_e32 v3, v3
	s_delay_alu instid0(VALU_DEP_2) | instskip(NEXT) | instid1(VALU_DEP_2)
	v_mul_lo_u32 v5, s0, v4
	v_mul_hi_u32 v6, s0, v3
	v_mul_lo_u32 v7, s20, v3
	s_delay_alu instid0(VALU_DEP_2) | instskip(SKIP_1) | instid1(VALU_DEP_2)
	v_add_nc_u32_e32 v5, v6, v5
	v_mul_lo_u32 v6, s0, v3
	v_add_nc_u32_e32 v5, v5, v7
	s_delay_alu instid0(VALU_DEP_2) | instskip(NEXT) | instid1(VALU_DEP_2)
	v_mul_hi_u32 v7, v3, v6
	v_mul_lo_u32 v8, v3, v5
	v_mul_hi_u32 v9, v3, v5
	v_mul_hi_u32 v10, v4, v6
	v_mul_lo_u32 v6, v4, v6
	v_mul_hi_u32 v11, v4, v5
	v_mul_lo_u32 v5, v4, v5
	v_add_co_u32 v7, vcc_lo, v7, v8
	v_add_co_ci_u32_e32 v8, vcc_lo, 0, v9, vcc_lo
	s_delay_alu instid0(VALU_DEP_2) | instskip(NEXT) | instid1(VALU_DEP_2)
	v_add_co_u32 v6, vcc_lo, v7, v6
	v_add_co_ci_u32_e32 v6, vcc_lo, v8, v10, vcc_lo
	v_add_co_ci_u32_e32 v7, vcc_lo, 0, v11, vcc_lo
	v_ashrrev_i32_e32 v10, 31, v1
	s_delay_alu instid0(VALU_DEP_3) | instskip(NEXT) | instid1(VALU_DEP_3)
	v_add_co_u32 v5, vcc_lo, v6, v5
	v_add_co_ci_u32_e32 v6, vcc_lo, 0, v7, vcc_lo
	s_delay_alu instid0(VALU_DEP_2) | instskip(NEXT) | instid1(VALU_DEP_2)
	v_add_co_u32 v3, vcc_lo, v3, v5
	v_add_co_ci_u32_e32 v4, vcc_lo, v4, v6, vcc_lo
	s_delay_alu instid0(VALU_DEP_2) | instskip(SKIP_1) | instid1(VALU_DEP_3)
	v_mul_hi_u32 v5, s0, v3
	v_mul_lo_u32 v7, s20, v3
	v_mul_lo_u32 v6, s0, v4
	s_delay_alu instid0(VALU_DEP_1) | instskip(SKIP_1) | instid1(VALU_DEP_2)
	v_add_nc_u32_e32 v5, v5, v6
	v_mul_lo_u32 v6, s0, v3
	v_add_nc_u32_e32 v5, v5, v7
	s_delay_alu instid0(VALU_DEP_2) | instskip(NEXT) | instid1(VALU_DEP_2)
	v_mul_hi_u32 v7, v3, v6
	v_mul_lo_u32 v8, v3, v5
	v_mul_hi_u32 v9, v3, v5
	v_mul_hi_u32 v11, v4, v6
	v_mul_lo_u32 v6, v4, v6
	v_mul_hi_u32 v12, v4, v5
	v_mul_lo_u32 v5, v4, v5
	v_add_co_u32 v7, vcc_lo, v7, v8
	v_add_co_ci_u32_e32 v8, vcc_lo, 0, v9, vcc_lo
	s_delay_alu instid0(VALU_DEP_2) | instskip(NEXT) | instid1(VALU_DEP_2)
	v_add_co_u32 v6, vcc_lo, v7, v6
	v_add_co_ci_u32_e32 v6, vcc_lo, v8, v11, vcc_lo
	v_add_co_ci_u32_e32 v7, vcc_lo, 0, v12, vcc_lo
	v_add_co_u32 v8, vcc_lo, v0, v10
	v_add_co_ci_u32_e32 v9, vcc_lo, v1, v10, vcc_lo
	s_delay_alu instid0(VALU_DEP_4) | instskip(NEXT) | instid1(VALU_DEP_4)
	v_add_co_u32 v5, vcc_lo, v6, v5
	v_add_co_ci_u32_e32 v6, vcc_lo, 0, v7, vcc_lo
	s_delay_alu instid0(VALU_DEP_4) | instskip(NEXT) | instid1(VALU_DEP_3)
	v_xor_b32_e32 v11, v8, v10
	v_add_co_u32 v7, vcc_lo, v3, v5
	s_delay_alu instid0(VALU_DEP_3) | instskip(SKIP_1) | instid1(VALU_DEP_3)
	v_add_co_ci_u32_e32 v12, vcc_lo, v4, v6, vcc_lo
	v_xor_b32_e32 v9, v9, v10
	v_mul_hi_u32 v13, v11, v7
	s_delay_alu instid0(VALU_DEP_3) | instskip(NEXT) | instid1(VALU_DEP_3)
	v_mad_u64_u32 v[3:4], null, v11, v12, 0
	v_mad_u64_u32 v[5:6], null, v9, v7, 0
	;; [unrolled: 1-line block ×3, first 2 shown]
	s_delay_alu instid0(VALU_DEP_3) | instskip(NEXT) | instid1(VALU_DEP_4)
	v_add_co_u32 v3, vcc_lo, v13, v3
	v_add_co_ci_u32_e32 v4, vcc_lo, 0, v4, vcc_lo
	s_delay_alu instid0(VALU_DEP_2) | instskip(NEXT) | instid1(VALU_DEP_2)
	v_add_co_u32 v3, vcc_lo, v3, v5
	v_add_co_ci_u32_e32 v3, vcc_lo, v4, v6, vcc_lo
	v_add_co_ci_u32_e32 v4, vcc_lo, 0, v8, vcc_lo
	s_delay_alu instid0(VALU_DEP_2) | instskip(NEXT) | instid1(VALU_DEP_2)
	v_add_co_u32 v5, vcc_lo, v3, v7
	v_add_co_ci_u32_e32 v6, vcc_lo, 0, v4, vcc_lo
	s_delay_alu instid0(VALU_DEP_2) | instskip(SKIP_1) | instid1(VALU_DEP_3)
	v_mul_lo_u32 v7, s19, v5
	v_mad_u64_u32 v[3:4], null, s18, v5, 0
	v_mul_lo_u32 v8, s18, v6
	s_delay_alu instid0(VALU_DEP_2) | instskip(NEXT) | instid1(VALU_DEP_2)
	v_sub_co_u32 v3, vcc_lo, v11, v3
	v_add3_u32 v4, v4, v8, v7
	s_delay_alu instid0(VALU_DEP_1) | instskip(NEXT) | instid1(VALU_DEP_1)
	v_sub_nc_u32_e32 v7, v9, v4
	v_subrev_co_ci_u32_e64 v7, s0, s19, v7, vcc_lo
	v_add_co_u32 v8, s0, v5, 2
	s_delay_alu instid0(VALU_DEP_1) | instskip(SKIP_3) | instid1(VALU_DEP_3)
	v_add_co_ci_u32_e64 v11, s0, 0, v6, s0
	v_sub_co_u32 v12, s0, v3, s18
	v_sub_co_ci_u32_e32 v4, vcc_lo, v9, v4, vcc_lo
	v_subrev_co_ci_u32_e64 v7, s0, 0, v7, s0
	v_cmp_le_u32_e32 vcc_lo, s18, v12
	s_delay_alu instid0(VALU_DEP_3) | instskip(SKIP_1) | instid1(VALU_DEP_4)
	v_cmp_eq_u32_e64 s0, s19, v4
	v_cndmask_b32_e64 v9, 0, -1, vcc_lo
	v_cmp_le_u32_e32 vcc_lo, s19, v7
	v_cndmask_b32_e64 v12, 0, -1, vcc_lo
	v_cmp_le_u32_e32 vcc_lo, s18, v3
	;; [unrolled: 2-line block ×3, first 2 shown]
	v_cndmask_b32_e64 v13, 0, -1, vcc_lo
	v_cmp_eq_u32_e32 vcc_lo, s19, v7
	s_delay_alu instid0(VALU_DEP_2) | instskip(SKIP_3) | instid1(VALU_DEP_3)
	v_cndmask_b32_e64 v3, v13, v3, s0
	v_cndmask_b32_e32 v7, v12, v9, vcc_lo
	v_add_co_u32 v9, vcc_lo, v5, 1
	v_add_co_ci_u32_e32 v12, vcc_lo, 0, v6, vcc_lo
	v_cmp_ne_u32_e32 vcc_lo, 0, v7
	s_delay_alu instid0(VALU_DEP_2) | instskip(SKIP_2) | instid1(VALU_DEP_3)
	v_dual_cndmask_b32 v4, v12, v11 :: v_dual_cndmask_b32 v7, v9, v8
	v_cmp_ne_u32_e32 vcc_lo, 0, v3
	v_xor_b32_e32 v3, s16, v10
	v_dual_cndmask_b32 v5, v5, v7 :: v_dual_cndmask_b32 v4, v6, v4
	v_xor_b32_e32 v6, s17, v10
	s_delay_alu instid0(VALU_DEP_2) | instskip(NEXT) | instid1(VALU_DEP_2)
	v_xor_b32_e32 v5, v5, v3
	v_xor_b32_e32 v7, v4, v6
	s_delay_alu instid0(VALU_DEP_2) | instskip(NEXT) | instid1(VALU_DEP_2)
	v_sub_co_u32 v4, vcc_lo, v5, v3
	v_sub_co_ci_u32_e32 v5, vcc_lo, v7, v6, vcc_lo
.LBB96_5:                               ;   in Loop: Header=BB96_3 Depth=1
	s_and_not1_saveexec_b32 s0, s14
; %bb.6:                                ;   in Loop: Header=BB96_3 Depth=1
	v_mul_hi_u32 v3, v0, v24
	s_delay_alu instid0(VALU_DEP_1) | instskip(NEXT) | instid1(VALU_DEP_1)
	v_mul_lo_u32 v4, v3, s24
	v_sub_nc_u32_e32 v4, v0, v4
	s_delay_alu instid0(VALU_DEP_1) | instskip(SKIP_1) | instid1(VALU_DEP_2)
	v_subrev_nc_u32_e32 v6, s24, v4
	v_cmp_le_u32_e32 vcc_lo, s24, v4
	v_dual_cndmask_b32 v4, v4, v6 :: v_dual_add_nc_u32 v5, 1, v3
	s_delay_alu instid0(VALU_DEP_1) | instskip(NEXT) | instid1(VALU_DEP_2)
	v_cndmask_b32_e32 v3, v3, v5, vcc_lo
	v_cmp_le_u32_e32 vcc_lo, s24, v4
	s_delay_alu instid0(VALU_DEP_2) | instskip(NEXT) | instid1(VALU_DEP_1)
	v_add_nc_u32_e32 v5, 1, v3
	v_dual_cndmask_b32 v4, v3, v5 :: v_dual_mov_b32 v5, v2
; %bb.7:                                ;   in Loop: Header=BB96_3 Depth=1
	s_or_b32 exec_lo, exec_lo, s0
	s_delay_alu instid0(VALU_DEP_1) | instskip(SKIP_1) | instid1(VALU_DEP_1)
	v_or_b32_e32 v3, s29, v5
                                        ; implicit-def: $vgpr6_vgpr7
	s_mov_b32 s0, exec_lo
	v_cmpx_ne_u64_e32 0, v[2:3]
	s_xor_b32 s14, exec_lo, s0
	s_cbranch_execz .LBB96_9
; %bb.8:                                ;   in Loop: Header=BB96_3 Depth=1
	s_add_u32 s18, s28, s29
	s_mov_b32 s16, s29
	s_mov_b32 s17, s29
	s_addc_u32 s19, s29, s29
	s_delay_alu instid0(SALU_CYCLE_1) | instskip(NEXT) | instid1(SALU_CYCLE_1)
	s_xor_b64 s[18:19], s[18:19], s[16:17]
	v_cvt_f32_u32_e32 v3, s18
	v_cvt_f32_u32_e32 v6, s19
	s_sub_u32 s0, 0, s18
	s_subb_u32 s20, 0, s19
	s_delay_alu instid0(VALU_DEP_1) | instskip(NEXT) | instid1(VALU_DEP_1)
	v_fmac_f32_e32 v3, 0x4f800000, v6
	v_rcp_f32_e32 v3, v3
	s_waitcnt_depctr 0xfff
	v_mul_f32_e32 v3, 0x5f7ffffc, v3
	s_delay_alu instid0(VALU_DEP_1) | instskip(NEXT) | instid1(VALU_DEP_1)
	v_mul_f32_e32 v6, 0x2f800000, v3
	v_trunc_f32_e32 v6, v6
	s_delay_alu instid0(VALU_DEP_1) | instskip(SKIP_1) | instid1(VALU_DEP_2)
	v_fmac_f32_e32 v3, 0xcf800000, v6
	v_cvt_u32_f32_e32 v6, v6
	v_cvt_u32_f32_e32 v3, v3
	s_delay_alu instid0(VALU_DEP_2) | instskip(NEXT) | instid1(VALU_DEP_2)
	v_mul_lo_u32 v7, s0, v6
	v_mul_hi_u32 v8, s0, v3
	v_mul_lo_u32 v9, s20, v3
	s_delay_alu instid0(VALU_DEP_2) | instskip(SKIP_1) | instid1(VALU_DEP_2)
	v_add_nc_u32_e32 v7, v8, v7
	v_mul_lo_u32 v8, s0, v3
	v_add_nc_u32_e32 v7, v7, v9
	s_delay_alu instid0(VALU_DEP_2) | instskip(NEXT) | instid1(VALU_DEP_2)
	v_mul_hi_u32 v9, v3, v8
	v_mul_lo_u32 v10, v3, v7
	v_mul_hi_u32 v11, v3, v7
	v_mul_hi_u32 v12, v6, v8
	v_mul_lo_u32 v8, v6, v8
	v_mul_hi_u32 v13, v6, v7
	v_mul_lo_u32 v7, v6, v7
	v_add_co_u32 v9, vcc_lo, v9, v10
	v_add_co_ci_u32_e32 v10, vcc_lo, 0, v11, vcc_lo
	s_delay_alu instid0(VALU_DEP_2) | instskip(NEXT) | instid1(VALU_DEP_2)
	v_add_co_u32 v8, vcc_lo, v9, v8
	v_add_co_ci_u32_e32 v8, vcc_lo, v10, v12, vcc_lo
	v_add_co_ci_u32_e32 v9, vcc_lo, 0, v13, vcc_lo
	v_ashrrev_i32_e32 v12, 31, v5
	s_delay_alu instid0(VALU_DEP_3) | instskip(NEXT) | instid1(VALU_DEP_3)
	v_add_co_u32 v7, vcc_lo, v8, v7
	v_add_co_ci_u32_e32 v8, vcc_lo, 0, v9, vcc_lo
	s_delay_alu instid0(VALU_DEP_2) | instskip(NEXT) | instid1(VALU_DEP_2)
	v_add_co_u32 v3, vcc_lo, v3, v7
	v_add_co_ci_u32_e32 v6, vcc_lo, v6, v8, vcc_lo
	s_delay_alu instid0(VALU_DEP_2) | instskip(SKIP_1) | instid1(VALU_DEP_3)
	v_mul_hi_u32 v7, s0, v3
	v_mul_lo_u32 v9, s20, v3
	v_mul_lo_u32 v8, s0, v6
	s_delay_alu instid0(VALU_DEP_1) | instskip(SKIP_1) | instid1(VALU_DEP_2)
	v_add_nc_u32_e32 v7, v7, v8
	v_mul_lo_u32 v8, s0, v3
	v_add_nc_u32_e32 v7, v7, v9
	s_delay_alu instid0(VALU_DEP_2) | instskip(NEXT) | instid1(VALU_DEP_2)
	v_mul_hi_u32 v9, v3, v8
	v_mul_lo_u32 v10, v3, v7
	v_mul_hi_u32 v11, v3, v7
	v_mul_hi_u32 v13, v6, v8
	v_mul_lo_u32 v8, v6, v8
	v_mul_hi_u32 v14, v6, v7
	v_mul_lo_u32 v7, v6, v7
	v_add_co_u32 v9, vcc_lo, v9, v10
	v_add_co_ci_u32_e32 v10, vcc_lo, 0, v11, vcc_lo
	s_delay_alu instid0(VALU_DEP_2) | instskip(NEXT) | instid1(VALU_DEP_2)
	v_add_co_u32 v8, vcc_lo, v9, v8
	v_add_co_ci_u32_e32 v8, vcc_lo, v10, v13, vcc_lo
	v_add_co_ci_u32_e32 v9, vcc_lo, 0, v14, vcc_lo
	v_add_co_u32 v10, vcc_lo, v4, v12
	v_add_co_ci_u32_e32 v5, vcc_lo, v5, v12, vcc_lo
	s_delay_alu instid0(VALU_DEP_4) | instskip(NEXT) | instid1(VALU_DEP_4)
	v_add_co_u32 v7, vcc_lo, v8, v7
	v_add_co_ci_u32_e32 v8, vcc_lo, 0, v9, vcc_lo
	s_delay_alu instid0(VALU_DEP_4) | instskip(NEXT) | instid1(VALU_DEP_3)
	v_xor_b32_e32 v11, v10, v12
	v_add_co_u32 v3, vcc_lo, v3, v7
	s_delay_alu instid0(VALU_DEP_3) | instskip(SKIP_1) | instid1(VALU_DEP_3)
	v_add_co_ci_u32_e32 v13, vcc_lo, v6, v8, vcc_lo
	v_xor_b32_e32 v14, v5, v12
	v_mul_hi_u32 v15, v11, v3
	s_delay_alu instid0(VALU_DEP_3) | instskip(NEXT) | instid1(VALU_DEP_3)
	v_mad_u64_u32 v[5:6], null, v11, v13, 0
	v_mad_u64_u32 v[7:8], null, v14, v3, 0
	;; [unrolled: 1-line block ×3, first 2 shown]
	s_delay_alu instid0(VALU_DEP_3) | instskip(NEXT) | instid1(VALU_DEP_4)
	v_add_co_u32 v3, vcc_lo, v15, v5
	v_add_co_ci_u32_e32 v5, vcc_lo, 0, v6, vcc_lo
	s_delay_alu instid0(VALU_DEP_2) | instskip(NEXT) | instid1(VALU_DEP_2)
	v_add_co_u32 v3, vcc_lo, v3, v7
	v_add_co_ci_u32_e32 v3, vcc_lo, v5, v8, vcc_lo
	v_add_co_ci_u32_e32 v5, vcc_lo, 0, v10, vcc_lo
	s_delay_alu instid0(VALU_DEP_2) | instskip(NEXT) | instid1(VALU_DEP_2)
	v_add_co_u32 v3, vcc_lo, v3, v9
	v_add_co_ci_u32_e32 v7, vcc_lo, 0, v5, vcc_lo
	s_delay_alu instid0(VALU_DEP_2) | instskip(SKIP_1) | instid1(VALU_DEP_3)
	v_mul_lo_u32 v8, s19, v3
	v_mad_u64_u32 v[5:6], null, s18, v3, 0
	v_mul_lo_u32 v9, s18, v7
	s_delay_alu instid0(VALU_DEP_2) | instskip(NEXT) | instid1(VALU_DEP_2)
	v_sub_co_u32 v5, vcc_lo, v11, v5
	v_add3_u32 v6, v6, v9, v8
	s_delay_alu instid0(VALU_DEP_1) | instskip(NEXT) | instid1(VALU_DEP_1)
	v_sub_nc_u32_e32 v8, v14, v6
	v_subrev_co_ci_u32_e64 v8, s0, s19, v8, vcc_lo
	v_add_co_u32 v9, s0, v3, 2
	s_delay_alu instid0(VALU_DEP_1) | instskip(SKIP_3) | instid1(VALU_DEP_3)
	v_add_co_ci_u32_e64 v10, s0, 0, v7, s0
	v_sub_co_u32 v11, s0, v5, s18
	v_sub_co_ci_u32_e32 v6, vcc_lo, v14, v6, vcc_lo
	v_subrev_co_ci_u32_e64 v8, s0, 0, v8, s0
	v_cmp_le_u32_e32 vcc_lo, s18, v11
	s_delay_alu instid0(VALU_DEP_3) | instskip(SKIP_1) | instid1(VALU_DEP_4)
	v_cmp_eq_u32_e64 s0, s19, v6
	v_cndmask_b32_e64 v11, 0, -1, vcc_lo
	v_cmp_le_u32_e32 vcc_lo, s19, v8
	v_cndmask_b32_e64 v13, 0, -1, vcc_lo
	v_cmp_le_u32_e32 vcc_lo, s18, v5
	;; [unrolled: 2-line block ×3, first 2 shown]
	v_cndmask_b32_e64 v14, 0, -1, vcc_lo
	v_cmp_eq_u32_e32 vcc_lo, s19, v8
	s_delay_alu instid0(VALU_DEP_2) | instskip(SKIP_3) | instid1(VALU_DEP_3)
	v_cndmask_b32_e64 v5, v14, v5, s0
	v_cndmask_b32_e32 v8, v13, v11, vcc_lo
	v_add_co_u32 v11, vcc_lo, v3, 1
	v_add_co_ci_u32_e32 v13, vcc_lo, 0, v7, vcc_lo
	v_cmp_ne_u32_e32 vcc_lo, 0, v8
	s_delay_alu instid0(VALU_DEP_3) | instskip(NEXT) | instid1(VALU_DEP_3)
	v_cndmask_b32_e32 v8, v11, v9, vcc_lo
	v_cndmask_b32_e32 v6, v13, v10, vcc_lo
	v_cmp_ne_u32_e32 vcc_lo, 0, v5
	v_xor_b32_e32 v5, s16, v12
	s_delay_alu instid0(VALU_DEP_4) | instskip(NEXT) | instid1(VALU_DEP_4)
	v_cndmask_b32_e32 v3, v3, v8, vcc_lo
	v_cndmask_b32_e32 v6, v7, v6, vcc_lo
	v_xor_b32_e32 v7, s17, v12
	s_delay_alu instid0(VALU_DEP_3) | instskip(NEXT) | instid1(VALU_DEP_2)
	v_xor_b32_e32 v3, v3, v5
	v_xor_b32_e32 v8, v6, v7
	s_delay_alu instid0(VALU_DEP_2) | instskip(NEXT) | instid1(VALU_DEP_2)
	v_sub_co_u32 v6, vcc_lo, v3, v5
	v_sub_co_ci_u32_e32 v7, vcc_lo, v8, v7, vcc_lo
.LBB96_9:                               ;   in Loop: Header=BB96_3 Depth=1
	s_and_not1_saveexec_b32 s0, s14
	s_cbranch_execz .LBB96_11
; %bb.10:                               ;   in Loop: Header=BB96_3 Depth=1
	v_cvt_f32_u32_e32 v3, s28
	s_sub_i32 s14, 0, s28
	s_delay_alu instid0(VALU_DEP_1) | instskip(SKIP_2) | instid1(VALU_DEP_1)
	v_rcp_iflag_f32_e32 v3, v3
	s_waitcnt_depctr 0xfff
	v_mul_f32_e32 v3, 0x4f7ffffe, v3
	v_cvt_u32_f32_e32 v3, v3
	s_delay_alu instid0(VALU_DEP_1) | instskip(NEXT) | instid1(VALU_DEP_1)
	v_mul_lo_u32 v5, s14, v3
	v_mul_hi_u32 v5, v3, v5
	s_delay_alu instid0(VALU_DEP_1) | instskip(NEXT) | instid1(VALU_DEP_1)
	v_add_nc_u32_e32 v3, v3, v5
	v_mul_hi_u32 v3, v4, v3
	s_delay_alu instid0(VALU_DEP_1) | instskip(SKIP_1) | instid1(VALU_DEP_2)
	v_mul_lo_u32 v5, v3, s28
	v_add_nc_u32_e32 v6, 1, v3
	v_sub_nc_u32_e32 v5, v4, v5
	s_delay_alu instid0(VALU_DEP_1) | instskip(SKIP_1) | instid1(VALU_DEP_2)
	v_subrev_nc_u32_e32 v7, s28, v5
	v_cmp_le_u32_e32 vcc_lo, s28, v5
	v_cndmask_b32_e32 v5, v5, v7, vcc_lo
	v_mov_b32_e32 v7, v2
	v_cndmask_b32_e32 v3, v3, v6, vcc_lo
	s_delay_alu instid0(VALU_DEP_3) | instskip(NEXT) | instid1(VALU_DEP_2)
	v_cmp_le_u32_e32 vcc_lo, s28, v5
	v_add_nc_u32_e32 v6, 1, v3
	s_delay_alu instid0(VALU_DEP_1)
	v_cndmask_b32_e32 v6, v3, v6, vcc_lo
.LBB96_11:                              ;   in Loop: Header=BB96_3 Depth=1
	s_or_b32 exec_lo, exec_lo, s0
	v_mad_u64_u32 v[8:9], null, v4, s24, 0
	s_delay_alu instid0(VALU_DEP_2) | instskip(SKIP_1) | instid1(VALU_DEP_2)
	v_mad_u64_u32 v[9:10], null, v6, s28, 0
	s_mov_b32 s39, exec_lo
	v_sub_co_u32 v26, null, v0, v8
	s_delay_alu instid0(VALU_DEP_2) | instskip(NEXT) | instid1(VALU_DEP_1)
	v_sub_co_u32 v25, null, v4, v9
	v_sub_nc_u32_e32 v3, v26, v25
	s_delay_alu instid0(VALU_DEP_1) | instskip(NEXT) | instid1(VALU_DEP_1)
	v_ashrrev_i32_e32 v4, 31, v3
	v_cmpx_gt_i64_e64 s[4:5], v[3:4]
	s_cbranch_execz .LBB96_2
; %bb.12:                               ;   in Loop: Header=BB96_3 Depth=1
	s_clause 0x1
	s_load_b32 s40, s[8:9], 0x0
	s_load_b32 s0, s[10:11], 0x0
	s_and_not1_b32 vcc_lo, exec_lo, s37
	s_waitcnt lgkmcnt(0)
	v_mul_lo_u32 v3, s40, v26
	s_delay_alu instid0(VALU_DEP_1)
	v_mad_u64_u32 v[4:5], null, s0, v25, v[3:4]
	s_cbranch_vccnz .LBB96_58
; %bb.13:                               ;   in Loop: Header=BB96_3 Depth=1
	s_and_not1_b32 vcc_lo, exec_lo, s35
	s_cbranch_vccnz .LBB96_21
; %bb.14:                               ;   in Loop: Header=BB96_3 Depth=1
	v_dual_mov_b32 v9, v7 :: v_dual_mov_b32 v8, v6
	s_mov_b32 s22, s33
	s_mov_b32 s14, s31
.LBB96_15:                              ;   Parent Loop BB96_3 Depth=1
                                        ; =>  This Inner Loop Header: Depth=2
	s_delay_alu instid0(SALU_CYCLE_1) | instskip(NEXT) | instid1(SALU_CYCLE_1)
	s_lshl_b64 s[16:17], s[14:15], 2
                                        ; implicit-def: $vgpr6_vgpr7
	s_add_u32 s18, s26, s16
	s_addc_u32 s19, s27, s17
	s_load_b32 s23, s[18:19], 0x0
	s_mov_b32 s18, exec_lo
	s_waitcnt lgkmcnt(0)
	s_ashr_i32 s0, s23, 31
	s_delay_alu instid0(SALU_CYCLE_1) | instskip(NEXT) | instid1(VALU_DEP_1)
	v_or_b32_e32 v3, s0, v9
	v_cmpx_ne_u64_e32 0, v[2:3]
	s_xor_b32 s41, exec_lo, s18
	s_cbranch_execz .LBB96_17
; %bb.16:                               ;   in Loop: Header=BB96_15 Depth=2
	s_add_u32 s20, s23, s0
	s_mov_b32 s18, s0
	s_mov_b32 s19, s0
	s_addc_u32 s21, s0, s0
	s_delay_alu instid0(SALU_CYCLE_1) | instskip(NEXT) | instid1(SALU_CYCLE_1)
	s_xor_b64 s[20:21], s[20:21], s[18:19]
	v_cvt_f32_u32_e32 v3, s20
	v_cvt_f32_u32_e32 v5, s21
	s_sub_u32 s0, 0, s20
	s_subb_u32 s42, 0, s21
	s_delay_alu instid0(VALU_DEP_1) | instskip(NEXT) | instid1(VALU_DEP_1)
	v_fmac_f32_e32 v3, 0x4f800000, v5
	v_rcp_f32_e32 v3, v3
	s_waitcnt_depctr 0xfff
	v_mul_f32_e32 v3, 0x5f7ffffc, v3
	s_delay_alu instid0(VALU_DEP_1) | instskip(NEXT) | instid1(VALU_DEP_1)
	v_mul_f32_e32 v5, 0x2f800000, v3
	v_trunc_f32_e32 v5, v5
	s_delay_alu instid0(VALU_DEP_1) | instskip(SKIP_1) | instid1(VALU_DEP_2)
	v_fmac_f32_e32 v3, 0xcf800000, v5
	v_cvt_u32_f32_e32 v5, v5
	v_cvt_u32_f32_e32 v3, v3
	s_delay_alu instid0(VALU_DEP_2) | instskip(NEXT) | instid1(VALU_DEP_2)
	v_mul_lo_u32 v6, s0, v5
	v_mul_hi_u32 v7, s0, v3
	v_mul_lo_u32 v10, s42, v3
	s_delay_alu instid0(VALU_DEP_2) | instskip(SKIP_1) | instid1(VALU_DEP_2)
	v_add_nc_u32_e32 v6, v7, v6
	v_mul_lo_u32 v7, s0, v3
	v_add_nc_u32_e32 v6, v6, v10
	s_delay_alu instid0(VALU_DEP_2) | instskip(NEXT) | instid1(VALU_DEP_2)
	v_mul_hi_u32 v10, v3, v7
	v_mul_lo_u32 v11, v3, v6
	v_mul_hi_u32 v12, v3, v6
	v_mul_hi_u32 v13, v5, v7
	v_mul_lo_u32 v7, v5, v7
	v_mul_hi_u32 v14, v5, v6
	v_mul_lo_u32 v6, v5, v6
	v_add_co_u32 v10, vcc_lo, v10, v11
	v_add_co_ci_u32_e32 v11, vcc_lo, 0, v12, vcc_lo
	s_delay_alu instid0(VALU_DEP_2) | instskip(NEXT) | instid1(VALU_DEP_2)
	v_add_co_u32 v7, vcc_lo, v10, v7
	v_add_co_ci_u32_e32 v7, vcc_lo, v11, v13, vcc_lo
	v_add_co_ci_u32_e32 v10, vcc_lo, 0, v14, vcc_lo
	v_ashrrev_i32_e32 v13, 31, v9
	s_delay_alu instid0(VALU_DEP_3) | instskip(NEXT) | instid1(VALU_DEP_3)
	v_add_co_u32 v6, vcc_lo, v7, v6
	v_add_co_ci_u32_e32 v7, vcc_lo, 0, v10, vcc_lo
	s_delay_alu instid0(VALU_DEP_2) | instskip(NEXT) | instid1(VALU_DEP_2)
	v_add_co_u32 v3, vcc_lo, v3, v6
	v_add_co_ci_u32_e32 v5, vcc_lo, v5, v7, vcc_lo
	s_delay_alu instid0(VALU_DEP_2) | instskip(SKIP_1) | instid1(VALU_DEP_3)
	v_mul_hi_u32 v6, s0, v3
	v_mul_lo_u32 v10, s42, v3
	v_mul_lo_u32 v7, s0, v5
	s_delay_alu instid0(VALU_DEP_1) | instskip(SKIP_1) | instid1(VALU_DEP_2)
	v_add_nc_u32_e32 v6, v6, v7
	v_mul_lo_u32 v7, s0, v3
	v_add_nc_u32_e32 v6, v6, v10
	s_delay_alu instid0(VALU_DEP_2) | instskip(NEXT) | instid1(VALU_DEP_2)
	v_mul_hi_u32 v10, v3, v7
	v_mul_lo_u32 v11, v3, v6
	v_mul_hi_u32 v12, v3, v6
	v_mul_hi_u32 v14, v5, v7
	v_mul_lo_u32 v7, v5, v7
	v_mul_hi_u32 v15, v5, v6
	v_mul_lo_u32 v6, v5, v6
	v_add_co_u32 v10, vcc_lo, v10, v11
	v_add_co_ci_u32_e32 v11, vcc_lo, 0, v12, vcc_lo
	s_delay_alu instid0(VALU_DEP_2) | instskip(NEXT) | instid1(VALU_DEP_2)
	v_add_co_u32 v7, vcc_lo, v10, v7
	v_add_co_ci_u32_e32 v7, vcc_lo, v11, v14, vcc_lo
	v_add_co_ci_u32_e32 v10, vcc_lo, 0, v15, vcc_lo
	v_add_co_u32 v11, vcc_lo, v8, v13
	v_add_co_ci_u32_e32 v9, vcc_lo, v9, v13, vcc_lo
	s_delay_alu instid0(VALU_DEP_4) | instskip(NEXT) | instid1(VALU_DEP_4)
	v_add_co_u32 v6, vcc_lo, v7, v6
	v_add_co_ci_u32_e32 v7, vcc_lo, 0, v10, vcc_lo
	s_delay_alu instid0(VALU_DEP_4) | instskip(NEXT) | instid1(VALU_DEP_3)
	v_xor_b32_e32 v14, v11, v13
	v_add_co_u32 v3, vcc_lo, v3, v6
	s_delay_alu instid0(VALU_DEP_3) | instskip(SKIP_1) | instid1(VALU_DEP_3)
	v_add_co_ci_u32_e32 v7, vcc_lo, v5, v7, vcc_lo
	v_xor_b32_e32 v15, v9, v13
	v_mul_hi_u32 v16, v14, v3
	s_delay_alu instid0(VALU_DEP_3) | instskip(NEXT) | instid1(VALU_DEP_3)
	v_mad_u64_u32 v[5:6], null, v14, v7, 0
	v_mad_u64_u32 v[9:10], null, v15, v3, 0
	;; [unrolled: 1-line block ×3, first 2 shown]
	s_delay_alu instid0(VALU_DEP_3) | instskip(NEXT) | instid1(VALU_DEP_4)
	v_add_co_u32 v3, vcc_lo, v16, v5
	v_add_co_ci_u32_e32 v5, vcc_lo, 0, v6, vcc_lo
	s_delay_alu instid0(VALU_DEP_2) | instskip(NEXT) | instid1(VALU_DEP_2)
	v_add_co_u32 v3, vcc_lo, v3, v9
	v_add_co_ci_u32_e32 v3, vcc_lo, v5, v10, vcc_lo
	v_add_co_ci_u32_e32 v5, vcc_lo, 0, v12, vcc_lo
	s_delay_alu instid0(VALU_DEP_2) | instskip(NEXT) | instid1(VALU_DEP_2)
	v_add_co_u32 v3, vcc_lo, v3, v11
	v_add_co_ci_u32_e32 v7, vcc_lo, 0, v5, vcc_lo
	s_delay_alu instid0(VALU_DEP_2) | instskip(SKIP_1) | instid1(VALU_DEP_3)
	v_mul_lo_u32 v9, s21, v3
	v_mad_u64_u32 v[5:6], null, s20, v3, 0
	v_mul_lo_u32 v10, s20, v7
	s_delay_alu instid0(VALU_DEP_2) | instskip(NEXT) | instid1(VALU_DEP_2)
	v_sub_co_u32 v5, vcc_lo, v14, v5
	v_add3_u32 v6, v6, v10, v9
	s_delay_alu instid0(VALU_DEP_1) | instskip(NEXT) | instid1(VALU_DEP_1)
	v_sub_nc_u32_e32 v9, v15, v6
	v_subrev_co_ci_u32_e64 v9, s0, s21, v9, vcc_lo
	v_add_co_u32 v10, s0, v3, 2
	s_delay_alu instid0(VALU_DEP_1) | instskip(SKIP_3) | instid1(VALU_DEP_3)
	v_add_co_ci_u32_e64 v11, s0, 0, v7, s0
	v_sub_co_u32 v12, s0, v5, s20
	v_sub_co_ci_u32_e32 v6, vcc_lo, v15, v6, vcc_lo
	v_subrev_co_ci_u32_e64 v9, s0, 0, v9, s0
	v_cmp_le_u32_e32 vcc_lo, s20, v12
	s_delay_alu instid0(VALU_DEP_3) | instskip(SKIP_1) | instid1(VALU_DEP_4)
	v_cmp_eq_u32_e64 s0, s21, v6
	v_cndmask_b32_e64 v12, 0, -1, vcc_lo
	v_cmp_le_u32_e32 vcc_lo, s21, v9
	v_cndmask_b32_e64 v14, 0, -1, vcc_lo
	v_cmp_le_u32_e32 vcc_lo, s20, v5
	;; [unrolled: 2-line block ×3, first 2 shown]
	v_cndmask_b32_e64 v15, 0, -1, vcc_lo
	v_cmp_eq_u32_e32 vcc_lo, s21, v9
	s_delay_alu instid0(VALU_DEP_2) | instskip(SKIP_3) | instid1(VALU_DEP_3)
	v_cndmask_b32_e64 v5, v15, v5, s0
	v_cndmask_b32_e32 v9, v14, v12, vcc_lo
	v_add_co_u32 v12, vcc_lo, v3, 1
	v_add_co_ci_u32_e32 v14, vcc_lo, 0, v7, vcc_lo
	v_cmp_ne_u32_e32 vcc_lo, 0, v9
	s_delay_alu instid0(VALU_DEP_2) | instskip(SKIP_2) | instid1(VALU_DEP_3)
	v_dual_cndmask_b32 v6, v14, v11 :: v_dual_cndmask_b32 v9, v12, v10
	v_cmp_ne_u32_e32 vcc_lo, 0, v5
	v_xor_b32_e32 v5, s18, v13
	v_cndmask_b32_e32 v3, v3, v9, vcc_lo
	s_delay_alu instid0(VALU_DEP_4) | instskip(SKIP_1) | instid1(VALU_DEP_3)
	v_cndmask_b32_e32 v6, v7, v6, vcc_lo
	v_xor_b32_e32 v7, s19, v13
	v_xor_b32_e32 v3, v3, v5
	s_delay_alu instid0(VALU_DEP_2) | instskip(NEXT) | instid1(VALU_DEP_2)
	v_xor_b32_e32 v9, v6, v7
	v_sub_co_u32 v6, vcc_lo, v3, v5
	s_delay_alu instid0(VALU_DEP_2)
	v_sub_co_ci_u32_e32 v7, vcc_lo, v9, v7, vcc_lo
.LBB96_17:                              ;   in Loop: Header=BB96_15 Depth=2
	s_and_not1_saveexec_b32 s0, s41
	s_cbranch_execz .LBB96_19
; %bb.18:                               ;   in Loop: Header=BB96_15 Depth=2
	v_cvt_f32_u32_e32 v3, s23
	s_sub_i32 s18, 0, s23
	s_delay_alu instid0(VALU_DEP_1) | instskip(SKIP_2) | instid1(VALU_DEP_1)
	v_rcp_iflag_f32_e32 v3, v3
	s_waitcnt_depctr 0xfff
	v_mul_f32_e32 v3, 0x4f7ffffe, v3
	v_cvt_u32_f32_e32 v3, v3
	s_delay_alu instid0(VALU_DEP_1) | instskip(NEXT) | instid1(VALU_DEP_1)
	v_mul_lo_u32 v5, s18, v3
	v_mul_hi_u32 v5, v3, v5
	s_delay_alu instid0(VALU_DEP_1) | instskip(NEXT) | instid1(VALU_DEP_1)
	v_add_nc_u32_e32 v3, v3, v5
	v_mul_hi_u32 v3, v8, v3
	s_delay_alu instid0(VALU_DEP_1) | instskip(SKIP_1) | instid1(VALU_DEP_2)
	v_mul_lo_u32 v5, v3, s23
	v_add_nc_u32_e32 v6, 1, v3
	v_sub_nc_u32_e32 v5, v8, v5
	s_delay_alu instid0(VALU_DEP_1) | instskip(SKIP_1) | instid1(VALU_DEP_2)
	v_subrev_nc_u32_e32 v7, s23, v5
	v_cmp_le_u32_e32 vcc_lo, s23, v5
	v_cndmask_b32_e32 v5, v5, v7, vcc_lo
	v_mov_b32_e32 v7, v2
	v_cndmask_b32_e32 v3, v3, v6, vcc_lo
	s_delay_alu instid0(VALU_DEP_3) | instskip(NEXT) | instid1(VALU_DEP_2)
	v_cmp_le_u32_e32 vcc_lo, s23, v5
	v_add_nc_u32_e32 v6, 1, v3
	s_delay_alu instid0(VALU_DEP_1)
	v_cndmask_b32_e32 v6, v3, v6, vcc_lo
.LBB96_19:                              ;   in Loop: Header=BB96_15 Depth=2
	s_or_b32 exec_lo, exec_lo, s0
	s_add_u32 s16, s30, s16
	s_addc_u32 s17, s1, s17
	s_delay_alu instid0(VALU_DEP_1) | instskip(SKIP_4) | instid1(VALU_DEP_1)
	v_mul_lo_u32 v3, v6, s23
	s_load_b32 s0, s[16:17], 0x0
	s_add_i32 s22, s22, -1
	s_add_i32 s14, s14, -1
	s_cmp_lg_u32 s22, 0
	v_sub_nc_u32_e32 v3, v8, v3
	s_waitcnt lgkmcnt(0)
	s_delay_alu instid0(VALU_DEP_1) | instskip(NEXT) | instid1(VALU_DEP_1)
	v_mad_u64_u32 v[8:9], null, s0, v3, v[4:5]
	v_mov_b32_e32 v4, v8
	s_cbranch_scc0 .LBB96_22
; %bb.20:                               ;   in Loop: Header=BB96_15 Depth=2
	v_dual_mov_b32 v9, v7 :: v_dual_mov_b32 v8, v6
	s_branch .LBB96_15
.LBB96_21:                              ;   in Loop: Header=BB96_3 Depth=1
	s_mov_b32 s14, s31
.LBB96_22:                              ;   in Loop: Header=BB96_3 Depth=1
	s_and_not1_b32 vcc_lo, exec_lo, s36
	s_cbranch_vccnz .LBB96_58
; %bb.23:                               ;   in Loop: Header=BB96_3 Depth=1
	s_add_i32 s16, s14, -7
.LBB96_24:                              ;   Parent Loop BB96_3 Depth=1
                                        ; =>  This Inner Loop Header: Depth=2
	s_delay_alu instid0(SALU_CYCLE_1) | instskip(NEXT) | instid1(SALU_CYCLE_1)
	s_add_i32 s14, s16, 7
                                        ; implicit-def: $vgpr8_vgpr9
	s_lshl_b64 s[18:19], s[14:15], 2
	s_mov_b32 s14, exec_lo
	s_add_u32 s20, s26, s18
	s_addc_u32 s21, s27, s19
	s_load_b32 s41, s[20:21], 0x0
	s_waitcnt lgkmcnt(0)
	s_ashr_i32 s0, s41, 31
	s_delay_alu instid0(SALU_CYCLE_1) | instskip(NEXT) | instid1(VALU_DEP_1)
	v_or_b32_e32 v3, s0, v7
	v_cmpx_ne_u64_e32 0, v[2:3]
	s_xor_b32 s14, exec_lo, s14
	s_cbranch_execz .LBB96_26
; %bb.25:                               ;   in Loop: Header=BB96_24 Depth=2
	s_add_u32 s22, s41, s0
	s_mov_b32 s20, s0
	s_mov_b32 s21, s0
	s_addc_u32 s23, s0, s0
	s_delay_alu instid0(SALU_CYCLE_1) | instskip(NEXT) | instid1(SALU_CYCLE_1)
	s_xor_b64 s[22:23], s[22:23], s[20:21]
	v_cvt_f32_u32_e32 v3, s22
	v_cvt_f32_u32_e32 v5, s23
	s_sub_u32 s0, 0, s22
	s_subb_u32 s17, 0, s23
	s_delay_alu instid0(VALU_DEP_1) | instskip(NEXT) | instid1(VALU_DEP_1)
	v_fmac_f32_e32 v3, 0x4f800000, v5
	v_rcp_f32_e32 v3, v3
	s_waitcnt_depctr 0xfff
	v_mul_f32_e32 v3, 0x5f7ffffc, v3
	s_delay_alu instid0(VALU_DEP_1) | instskip(NEXT) | instid1(VALU_DEP_1)
	v_mul_f32_e32 v5, 0x2f800000, v3
	v_trunc_f32_e32 v5, v5
	s_delay_alu instid0(VALU_DEP_1) | instskip(SKIP_1) | instid1(VALU_DEP_2)
	v_fmac_f32_e32 v3, 0xcf800000, v5
	v_cvt_u32_f32_e32 v5, v5
	v_cvt_u32_f32_e32 v3, v3
	s_delay_alu instid0(VALU_DEP_2) | instskip(NEXT) | instid1(VALU_DEP_2)
	v_mul_lo_u32 v8, s0, v5
	v_mul_hi_u32 v9, s0, v3
	v_mul_lo_u32 v10, s17, v3
	s_delay_alu instid0(VALU_DEP_2) | instskip(SKIP_1) | instid1(VALU_DEP_2)
	v_add_nc_u32_e32 v8, v9, v8
	v_mul_lo_u32 v9, s0, v3
	v_add_nc_u32_e32 v8, v8, v10
	s_delay_alu instid0(VALU_DEP_2) | instskip(NEXT) | instid1(VALU_DEP_2)
	v_mul_hi_u32 v10, v3, v9
	v_mul_lo_u32 v11, v3, v8
	v_mul_hi_u32 v12, v3, v8
	v_mul_hi_u32 v13, v5, v9
	v_mul_lo_u32 v9, v5, v9
	v_mul_hi_u32 v14, v5, v8
	v_mul_lo_u32 v8, v5, v8
	v_add_co_u32 v10, vcc_lo, v10, v11
	v_add_co_ci_u32_e32 v11, vcc_lo, 0, v12, vcc_lo
	s_delay_alu instid0(VALU_DEP_2) | instskip(NEXT) | instid1(VALU_DEP_2)
	v_add_co_u32 v9, vcc_lo, v10, v9
	v_add_co_ci_u32_e32 v9, vcc_lo, v11, v13, vcc_lo
	v_add_co_ci_u32_e32 v10, vcc_lo, 0, v14, vcc_lo
	v_ashrrev_i32_e32 v13, 31, v7
	s_delay_alu instid0(VALU_DEP_3) | instskip(NEXT) | instid1(VALU_DEP_3)
	v_add_co_u32 v8, vcc_lo, v9, v8
	v_add_co_ci_u32_e32 v9, vcc_lo, 0, v10, vcc_lo
	s_delay_alu instid0(VALU_DEP_2) | instskip(NEXT) | instid1(VALU_DEP_2)
	v_add_co_u32 v3, vcc_lo, v3, v8
	v_add_co_ci_u32_e32 v5, vcc_lo, v5, v9, vcc_lo
	s_delay_alu instid0(VALU_DEP_2) | instskip(SKIP_1) | instid1(VALU_DEP_3)
	v_mul_hi_u32 v8, s0, v3
	v_mul_lo_u32 v10, s17, v3
	v_mul_lo_u32 v9, s0, v5
	s_delay_alu instid0(VALU_DEP_1) | instskip(SKIP_1) | instid1(VALU_DEP_2)
	v_add_nc_u32_e32 v8, v8, v9
	v_mul_lo_u32 v9, s0, v3
	v_add_nc_u32_e32 v8, v8, v10
	s_delay_alu instid0(VALU_DEP_2) | instskip(NEXT) | instid1(VALU_DEP_2)
	v_mul_hi_u32 v10, v3, v9
	v_mul_lo_u32 v11, v3, v8
	v_mul_hi_u32 v12, v3, v8
	v_mul_hi_u32 v14, v5, v9
	v_mul_lo_u32 v9, v5, v9
	v_mul_hi_u32 v15, v5, v8
	v_mul_lo_u32 v8, v5, v8
	v_add_co_u32 v10, vcc_lo, v10, v11
	v_add_co_ci_u32_e32 v11, vcc_lo, 0, v12, vcc_lo
	s_delay_alu instid0(VALU_DEP_2) | instskip(NEXT) | instid1(VALU_DEP_2)
	v_add_co_u32 v9, vcc_lo, v10, v9
	v_add_co_ci_u32_e32 v9, vcc_lo, v11, v14, vcc_lo
	v_add_co_ci_u32_e32 v10, vcc_lo, 0, v15, vcc_lo
	v_add_co_u32 v11, vcc_lo, v6, v13
	v_add_co_ci_u32_e32 v7, vcc_lo, v7, v13, vcc_lo
	s_delay_alu instid0(VALU_DEP_4) | instskip(NEXT) | instid1(VALU_DEP_4)
	v_add_co_u32 v8, vcc_lo, v9, v8
	v_add_co_ci_u32_e32 v9, vcc_lo, 0, v10, vcc_lo
	s_delay_alu instid0(VALU_DEP_4) | instskip(NEXT) | instid1(VALU_DEP_3)
	v_xor_b32_e32 v14, v11, v13
	v_add_co_u32 v3, vcc_lo, v3, v8
	s_delay_alu instid0(VALU_DEP_3) | instskip(SKIP_1) | instid1(VALU_DEP_3)
	v_add_co_ci_u32_e32 v5, vcc_lo, v5, v9, vcc_lo
	v_xor_b32_e32 v15, v7, v13
	v_mul_hi_u32 v16, v14, v3
	s_delay_alu instid0(VALU_DEP_3) | instskip(NEXT) | instid1(VALU_DEP_3)
	v_mad_u64_u32 v[7:8], null, v14, v5, 0
	v_mad_u64_u32 v[9:10], null, v15, v3, 0
	;; [unrolled: 1-line block ×3, first 2 shown]
	s_delay_alu instid0(VALU_DEP_3) | instskip(NEXT) | instid1(VALU_DEP_4)
	v_add_co_u32 v3, vcc_lo, v16, v7
	v_add_co_ci_u32_e32 v5, vcc_lo, 0, v8, vcc_lo
	s_delay_alu instid0(VALU_DEP_2) | instskip(NEXT) | instid1(VALU_DEP_2)
	v_add_co_u32 v3, vcc_lo, v3, v9
	v_add_co_ci_u32_e32 v3, vcc_lo, v5, v10, vcc_lo
	v_add_co_ci_u32_e32 v5, vcc_lo, 0, v12, vcc_lo
	s_delay_alu instid0(VALU_DEP_2) | instskip(NEXT) | instid1(VALU_DEP_2)
	v_add_co_u32 v3, vcc_lo, v3, v11
	v_add_co_ci_u32_e32 v5, vcc_lo, 0, v5, vcc_lo
	s_delay_alu instid0(VALU_DEP_2) | instskip(SKIP_1) | instid1(VALU_DEP_3)
	v_mul_lo_u32 v9, s23, v3
	v_mad_u64_u32 v[7:8], null, s22, v3, 0
	v_mul_lo_u32 v10, s22, v5
	s_delay_alu instid0(VALU_DEP_2) | instskip(NEXT) | instid1(VALU_DEP_2)
	v_sub_co_u32 v7, vcc_lo, v14, v7
	v_add3_u32 v8, v8, v10, v9
	s_delay_alu instid0(VALU_DEP_1) | instskip(NEXT) | instid1(VALU_DEP_1)
	v_sub_nc_u32_e32 v9, v15, v8
	v_subrev_co_ci_u32_e64 v9, s0, s23, v9, vcc_lo
	v_add_co_u32 v10, s0, v3, 2
	s_delay_alu instid0(VALU_DEP_1) | instskip(SKIP_3) | instid1(VALU_DEP_3)
	v_add_co_ci_u32_e64 v11, s0, 0, v5, s0
	v_sub_co_u32 v12, s0, v7, s22
	v_sub_co_ci_u32_e32 v8, vcc_lo, v15, v8, vcc_lo
	v_subrev_co_ci_u32_e64 v9, s0, 0, v9, s0
	v_cmp_le_u32_e32 vcc_lo, s22, v12
	s_delay_alu instid0(VALU_DEP_3) | instskip(SKIP_1) | instid1(VALU_DEP_4)
	v_cmp_eq_u32_e64 s0, s23, v8
	v_cndmask_b32_e64 v12, 0, -1, vcc_lo
	v_cmp_le_u32_e32 vcc_lo, s23, v9
	v_cndmask_b32_e64 v14, 0, -1, vcc_lo
	v_cmp_le_u32_e32 vcc_lo, s22, v7
	;; [unrolled: 2-line block ×3, first 2 shown]
	v_cndmask_b32_e64 v15, 0, -1, vcc_lo
	v_cmp_eq_u32_e32 vcc_lo, s23, v9
	s_delay_alu instid0(VALU_DEP_2) | instskip(SKIP_3) | instid1(VALU_DEP_3)
	v_cndmask_b32_e64 v7, v15, v7, s0
	v_cndmask_b32_e32 v9, v14, v12, vcc_lo
	v_add_co_u32 v12, vcc_lo, v3, 1
	v_add_co_ci_u32_e32 v14, vcc_lo, 0, v5, vcc_lo
	v_cmp_ne_u32_e32 vcc_lo, 0, v9
	s_delay_alu instid0(VALU_DEP_2) | instskip(SKIP_2) | instid1(VALU_DEP_3)
	v_dual_cndmask_b32 v8, v14, v11 :: v_dual_cndmask_b32 v9, v12, v10
	v_cmp_ne_u32_e32 vcc_lo, 0, v7
	v_xor_b32_e32 v7, s20, v13
	v_cndmask_b32_e32 v3, v3, v9, vcc_lo
	s_delay_alu instid0(VALU_DEP_4) | instskip(SKIP_1) | instid1(VALU_DEP_3)
	v_cndmask_b32_e32 v5, v5, v8, vcc_lo
	v_xor_b32_e32 v9, s21, v13
	v_xor_b32_e32 v3, v3, v7
	s_delay_alu instid0(VALU_DEP_2) | instskip(NEXT) | instid1(VALU_DEP_2)
	v_xor_b32_e32 v5, v5, v9
	v_sub_co_u32 v8, vcc_lo, v3, v7
	s_delay_alu instid0(VALU_DEP_2)
	v_sub_co_ci_u32_e32 v9, vcc_lo, v5, v9, vcc_lo
.LBB96_26:                              ;   in Loop: Header=BB96_24 Depth=2
	s_and_not1_saveexec_b32 s0, s14
	s_cbranch_execz .LBB96_28
; %bb.27:                               ;   in Loop: Header=BB96_24 Depth=2
	v_cvt_f32_u32_e32 v3, s41
	s_sub_i32 s14, 0, s41
	v_mov_b32_e32 v9, v2
	s_delay_alu instid0(VALU_DEP_2) | instskip(SKIP_2) | instid1(VALU_DEP_1)
	v_rcp_iflag_f32_e32 v3, v3
	s_waitcnt_depctr 0xfff
	v_mul_f32_e32 v3, 0x4f7ffffe, v3
	v_cvt_u32_f32_e32 v3, v3
	s_delay_alu instid0(VALU_DEP_1) | instskip(NEXT) | instid1(VALU_DEP_1)
	v_mul_lo_u32 v5, s14, v3
	v_mul_hi_u32 v5, v3, v5
	s_delay_alu instid0(VALU_DEP_1) | instskip(NEXT) | instid1(VALU_DEP_1)
	v_add_nc_u32_e32 v3, v3, v5
	v_mul_hi_u32 v3, v6, v3
	s_delay_alu instid0(VALU_DEP_1) | instskip(SKIP_1) | instid1(VALU_DEP_2)
	v_mul_lo_u32 v5, v3, s41
	v_add_nc_u32_e32 v7, 1, v3
	v_sub_nc_u32_e32 v5, v6, v5
	s_delay_alu instid0(VALU_DEP_1) | instskip(SKIP_1) | instid1(VALU_DEP_4)
	v_cmp_le_u32_e32 vcc_lo, s41, v5
	v_subrev_nc_u32_e32 v8, s41, v5
	v_cndmask_b32_e32 v3, v3, v7, vcc_lo
	s_delay_alu instid0(VALU_DEP_1) | instskip(NEXT) | instid1(VALU_DEP_3)
	v_add_nc_u32_e32 v7, 1, v3
	v_cndmask_b32_e32 v5, v5, v8, vcc_lo
	s_delay_alu instid0(VALU_DEP_1) | instskip(NEXT) | instid1(VALU_DEP_3)
	v_cmp_le_u32_e32 vcc_lo, s41, v5
	v_cndmask_b32_e32 v8, v3, v7, vcc_lo
.LBB96_28:                              ;   in Loop: Header=BB96_24 Depth=2
	s_or_b32 exec_lo, exec_lo, s0
	s_add_u32 s20, s30, s18
	s_addc_u32 s21, s1, s19
	s_add_i32 s14, s16, 6
                                        ; implicit-def: $vgpr10_vgpr11
	s_delay_alu instid0(SALU_CYCLE_1)
	s_lshl_b64 s[18:19], s[14:15], 2
	s_mov_b32 s14, exec_lo
	s_add_u32 s22, s26, s18
	s_addc_u32 s23, s27, s19
	s_clause 0x1
	s_load_b32 s43, s[22:23], 0x0
	s_load_b32 s42, s[20:21], 0x0
	s_waitcnt lgkmcnt(0)
	s_ashr_i32 s0, s43, 31
	s_delay_alu instid0(SALU_CYCLE_1) | instskip(NEXT) | instid1(VALU_DEP_1)
	v_or_b32_e32 v3, s0, v9
	v_cmpx_ne_u64_e32 0, v[2:3]
	s_xor_b32 s14, exec_lo, s14
	s_cbranch_execz .LBB96_30
; %bb.29:                               ;   in Loop: Header=BB96_24 Depth=2
	s_add_u32 s22, s43, s0
	s_mov_b32 s20, s0
	s_mov_b32 s21, s0
	s_addc_u32 s23, s0, s0
	s_delay_alu instid0(SALU_CYCLE_1) | instskip(NEXT) | instid1(SALU_CYCLE_1)
	s_xor_b64 s[22:23], s[22:23], s[20:21]
	v_cvt_f32_u32_e32 v3, s22
	v_cvt_f32_u32_e32 v5, s23
	s_sub_u32 s0, 0, s22
	s_subb_u32 s17, 0, s23
	s_delay_alu instid0(VALU_DEP_1) | instskip(NEXT) | instid1(VALU_DEP_1)
	v_fmac_f32_e32 v3, 0x4f800000, v5
	v_rcp_f32_e32 v3, v3
	s_waitcnt_depctr 0xfff
	v_mul_f32_e32 v3, 0x5f7ffffc, v3
	s_delay_alu instid0(VALU_DEP_1) | instskip(NEXT) | instid1(VALU_DEP_1)
	v_mul_f32_e32 v5, 0x2f800000, v3
	v_trunc_f32_e32 v5, v5
	s_delay_alu instid0(VALU_DEP_1) | instskip(SKIP_1) | instid1(VALU_DEP_2)
	v_fmac_f32_e32 v3, 0xcf800000, v5
	v_cvt_u32_f32_e32 v5, v5
	v_cvt_u32_f32_e32 v3, v3
	s_delay_alu instid0(VALU_DEP_2) | instskip(NEXT) | instid1(VALU_DEP_2)
	v_mul_lo_u32 v7, s0, v5
	v_mul_hi_u32 v10, s0, v3
	v_mul_lo_u32 v11, s17, v3
	s_delay_alu instid0(VALU_DEP_2) | instskip(SKIP_1) | instid1(VALU_DEP_2)
	v_add_nc_u32_e32 v7, v10, v7
	v_mul_lo_u32 v10, s0, v3
	v_add_nc_u32_e32 v7, v7, v11
	s_delay_alu instid0(VALU_DEP_2) | instskip(NEXT) | instid1(VALU_DEP_2)
	v_mul_hi_u32 v11, v3, v10
	v_mul_lo_u32 v12, v3, v7
	v_mul_hi_u32 v13, v3, v7
	v_mul_hi_u32 v14, v5, v10
	v_mul_lo_u32 v10, v5, v10
	v_mul_hi_u32 v15, v5, v7
	v_mul_lo_u32 v7, v5, v7
	v_add_co_u32 v11, vcc_lo, v11, v12
	v_add_co_ci_u32_e32 v12, vcc_lo, 0, v13, vcc_lo
	s_delay_alu instid0(VALU_DEP_2) | instskip(NEXT) | instid1(VALU_DEP_2)
	v_add_co_u32 v10, vcc_lo, v11, v10
	v_add_co_ci_u32_e32 v10, vcc_lo, v12, v14, vcc_lo
	v_add_co_ci_u32_e32 v11, vcc_lo, 0, v15, vcc_lo
	v_ashrrev_i32_e32 v15, 31, v9
	s_delay_alu instid0(VALU_DEP_3) | instskip(NEXT) | instid1(VALU_DEP_3)
	v_add_co_u32 v7, vcc_lo, v10, v7
	v_add_co_ci_u32_e32 v10, vcc_lo, 0, v11, vcc_lo
	s_delay_alu instid0(VALU_DEP_2) | instskip(NEXT) | instid1(VALU_DEP_2)
	v_add_co_u32 v3, vcc_lo, v3, v7
	v_add_co_ci_u32_e32 v5, vcc_lo, v5, v10, vcc_lo
	s_delay_alu instid0(VALU_DEP_2) | instskip(SKIP_1) | instid1(VALU_DEP_3)
	v_mul_hi_u32 v7, s0, v3
	v_mul_lo_u32 v11, s17, v3
	v_mul_lo_u32 v10, s0, v5
	s_delay_alu instid0(VALU_DEP_1) | instskip(SKIP_1) | instid1(VALU_DEP_2)
	v_add_nc_u32_e32 v7, v7, v10
	v_mul_lo_u32 v10, s0, v3
	v_add_nc_u32_e32 v7, v7, v11
	s_delay_alu instid0(VALU_DEP_2) | instskip(NEXT) | instid1(VALU_DEP_2)
	v_mul_hi_u32 v11, v3, v10
	v_mul_lo_u32 v12, v3, v7
	v_mul_hi_u32 v13, v3, v7
	v_mul_hi_u32 v14, v5, v10
	v_mul_lo_u32 v10, v5, v10
	v_mul_hi_u32 v16, v5, v7
	v_mul_lo_u32 v7, v5, v7
	v_add_co_u32 v11, vcc_lo, v11, v12
	v_add_co_ci_u32_e32 v12, vcc_lo, 0, v13, vcc_lo
	s_delay_alu instid0(VALU_DEP_2) | instskip(NEXT) | instid1(VALU_DEP_2)
	v_add_co_u32 v10, vcc_lo, v11, v10
	v_add_co_ci_u32_e32 v10, vcc_lo, v12, v14, vcc_lo
	v_add_co_ci_u32_e32 v11, vcc_lo, 0, v16, vcc_lo
	v_add_co_u32 v12, vcc_lo, v8, v15
	v_add_co_ci_u32_e32 v9, vcc_lo, v9, v15, vcc_lo
	s_delay_alu instid0(VALU_DEP_4) | instskip(NEXT) | instid1(VALU_DEP_4)
	v_add_co_u32 v7, vcc_lo, v10, v7
	v_add_co_ci_u32_e32 v10, vcc_lo, 0, v11, vcc_lo
	s_delay_alu instid0(VALU_DEP_4) | instskip(NEXT) | instid1(VALU_DEP_3)
	v_xor_b32_e32 v16, v12, v15
	v_add_co_u32 v3, vcc_lo, v3, v7
	s_delay_alu instid0(VALU_DEP_3) | instskip(SKIP_1) | instid1(VALU_DEP_3)
	v_add_co_ci_u32_e32 v5, vcc_lo, v5, v10, vcc_lo
	v_xor_b32_e32 v7, v9, v15
	v_mul_hi_u32 v17, v16, v3
	s_delay_alu instid0(VALU_DEP_3) | instskip(NEXT) | instid1(VALU_DEP_3)
	v_mad_u64_u32 v[9:10], null, v16, v5, 0
	v_mad_u64_u32 v[11:12], null, v7, v3, 0
	;; [unrolled: 1-line block ×3, first 2 shown]
	s_delay_alu instid0(VALU_DEP_3) | instskip(NEXT) | instid1(VALU_DEP_4)
	v_add_co_u32 v3, vcc_lo, v17, v9
	v_add_co_ci_u32_e32 v5, vcc_lo, 0, v10, vcc_lo
	s_delay_alu instid0(VALU_DEP_2) | instskip(NEXT) | instid1(VALU_DEP_2)
	v_add_co_u32 v3, vcc_lo, v3, v11
	v_add_co_ci_u32_e32 v3, vcc_lo, v5, v12, vcc_lo
	v_add_co_ci_u32_e32 v5, vcc_lo, 0, v14, vcc_lo
	s_delay_alu instid0(VALU_DEP_2) | instskip(NEXT) | instid1(VALU_DEP_2)
	v_add_co_u32 v3, vcc_lo, v3, v13
	v_add_co_ci_u32_e32 v5, vcc_lo, 0, v5, vcc_lo
	s_delay_alu instid0(VALU_DEP_2) | instskip(SKIP_1) | instid1(VALU_DEP_3)
	v_mul_lo_u32 v11, s23, v3
	v_mad_u64_u32 v[9:10], null, s22, v3, 0
	v_mul_lo_u32 v12, s22, v5
	s_delay_alu instid0(VALU_DEP_2) | instskip(NEXT) | instid1(VALU_DEP_2)
	v_sub_co_u32 v9, vcc_lo, v16, v9
	v_add3_u32 v10, v10, v12, v11
	s_delay_alu instid0(VALU_DEP_1) | instskip(NEXT) | instid1(VALU_DEP_1)
	v_sub_nc_u32_e32 v11, v7, v10
	v_subrev_co_ci_u32_e64 v11, s0, s23, v11, vcc_lo
	v_add_co_u32 v12, s0, v3, 2
	s_delay_alu instid0(VALU_DEP_1) | instskip(SKIP_3) | instid1(VALU_DEP_3)
	v_add_co_ci_u32_e64 v13, s0, 0, v5, s0
	v_sub_co_u32 v14, s0, v9, s22
	v_sub_co_ci_u32_e32 v7, vcc_lo, v7, v10, vcc_lo
	v_subrev_co_ci_u32_e64 v11, s0, 0, v11, s0
	v_cmp_le_u32_e32 vcc_lo, s22, v14
	s_delay_alu instid0(VALU_DEP_3) | instskip(SKIP_1) | instid1(VALU_DEP_4)
	v_cmp_eq_u32_e64 s0, s23, v7
	v_cndmask_b32_e64 v10, 0, -1, vcc_lo
	v_cmp_le_u32_e32 vcc_lo, s23, v11
	v_cndmask_b32_e64 v14, 0, -1, vcc_lo
	v_cmp_le_u32_e32 vcc_lo, s22, v9
	;; [unrolled: 2-line block ×3, first 2 shown]
	v_cndmask_b32_e64 v16, 0, -1, vcc_lo
	v_cmp_eq_u32_e32 vcc_lo, s23, v11
	s_delay_alu instid0(VALU_DEP_2) | instskip(SKIP_3) | instid1(VALU_DEP_3)
	v_cndmask_b32_e64 v7, v16, v9, s0
	v_cndmask_b32_e32 v10, v14, v10, vcc_lo
	v_add_co_u32 v11, vcc_lo, v3, 1
	v_add_co_ci_u32_e32 v14, vcc_lo, 0, v5, vcc_lo
	v_cmp_ne_u32_e32 vcc_lo, 0, v10
	s_delay_alu instid0(VALU_DEP_2) | instskip(SKIP_2) | instid1(VALU_DEP_3)
	v_dual_cndmask_b32 v10, v11, v12 :: v_dual_cndmask_b32 v9, v14, v13
	v_cmp_ne_u32_e32 vcc_lo, 0, v7
	v_xor_b32_e32 v7, s20, v15
	v_cndmask_b32_e32 v3, v3, v10, vcc_lo
	s_delay_alu instid0(VALU_DEP_4) | instskip(SKIP_1) | instid1(VALU_DEP_3)
	v_cndmask_b32_e32 v5, v5, v9, vcc_lo
	v_xor_b32_e32 v9, s21, v15
	v_xor_b32_e32 v3, v3, v7
	s_delay_alu instid0(VALU_DEP_2) | instskip(NEXT) | instid1(VALU_DEP_2)
	v_xor_b32_e32 v5, v5, v9
	v_sub_co_u32 v10, vcc_lo, v3, v7
	s_delay_alu instid0(VALU_DEP_2)
	v_sub_co_ci_u32_e32 v11, vcc_lo, v5, v9, vcc_lo
.LBB96_30:                              ;   in Loop: Header=BB96_24 Depth=2
	s_and_not1_saveexec_b32 s0, s14
	s_cbranch_execz .LBB96_32
; %bb.31:                               ;   in Loop: Header=BB96_24 Depth=2
	v_cvt_f32_u32_e32 v3, s43
	s_sub_i32 s14, 0, s43
	v_mov_b32_e32 v11, v2
	s_delay_alu instid0(VALU_DEP_2) | instskip(SKIP_2) | instid1(VALU_DEP_1)
	v_rcp_iflag_f32_e32 v3, v3
	s_waitcnt_depctr 0xfff
	v_mul_f32_e32 v3, 0x4f7ffffe, v3
	v_cvt_u32_f32_e32 v3, v3
	s_delay_alu instid0(VALU_DEP_1) | instskip(NEXT) | instid1(VALU_DEP_1)
	v_mul_lo_u32 v5, s14, v3
	v_mul_hi_u32 v5, v3, v5
	s_delay_alu instid0(VALU_DEP_1) | instskip(NEXT) | instid1(VALU_DEP_1)
	v_add_nc_u32_e32 v3, v3, v5
	v_mul_hi_u32 v3, v8, v3
	s_delay_alu instid0(VALU_DEP_1) | instskip(SKIP_1) | instid1(VALU_DEP_2)
	v_mul_lo_u32 v5, v3, s43
	v_add_nc_u32_e32 v7, 1, v3
	v_sub_nc_u32_e32 v5, v8, v5
	s_delay_alu instid0(VALU_DEP_1) | instskip(SKIP_1) | instid1(VALU_DEP_4)
	v_cmp_le_u32_e32 vcc_lo, s43, v5
	v_subrev_nc_u32_e32 v9, s43, v5
	v_cndmask_b32_e32 v3, v3, v7, vcc_lo
	s_delay_alu instid0(VALU_DEP_1) | instskip(NEXT) | instid1(VALU_DEP_3)
	v_add_nc_u32_e32 v7, 1, v3
	v_cndmask_b32_e32 v5, v5, v9, vcc_lo
	s_delay_alu instid0(VALU_DEP_1) | instskip(NEXT) | instid1(VALU_DEP_3)
	v_cmp_le_u32_e32 vcc_lo, s43, v5
	v_cndmask_b32_e32 v10, v3, v7, vcc_lo
.LBB96_32:                              ;   in Loop: Header=BB96_24 Depth=2
	s_or_b32 exec_lo, exec_lo, s0
	s_add_u32 s20, s30, s18
	s_addc_u32 s21, s1, s19
	s_add_i32 s14, s16, 5
                                        ; implicit-def: $vgpr12_vgpr13
	s_delay_alu instid0(SALU_CYCLE_1)
	s_lshl_b64 s[18:19], s[14:15], 2
	s_mov_b32 s14, exec_lo
	s_add_u32 s22, s26, s18
	s_addc_u32 s23, s27, s19
	s_clause 0x1
	s_load_b32 s45, s[22:23], 0x0
	s_load_b32 s44, s[20:21], 0x0
	s_waitcnt lgkmcnt(0)
	s_ashr_i32 s0, s45, 31
	s_delay_alu instid0(SALU_CYCLE_1) | instskip(NEXT) | instid1(VALU_DEP_1)
	v_or_b32_e32 v3, s0, v11
	v_cmpx_ne_u64_e32 0, v[2:3]
	s_xor_b32 s14, exec_lo, s14
	s_cbranch_execz .LBB96_34
; %bb.33:                               ;   in Loop: Header=BB96_24 Depth=2
	s_add_u32 s22, s45, s0
	s_mov_b32 s20, s0
	s_mov_b32 s21, s0
	s_addc_u32 s23, s0, s0
	v_ashrrev_i32_e32 v17, 31, v11
	s_xor_b64 s[22:23], s[22:23], s[20:21]
	s_delay_alu instid0(SALU_CYCLE_1) | instskip(SKIP_3) | instid1(VALU_DEP_1)
	v_cvt_f32_u32_e32 v3, s22
	v_cvt_f32_u32_e32 v5, s23
	s_sub_u32 s0, 0, s22
	s_subb_u32 s17, 0, s23
	v_fmac_f32_e32 v3, 0x4f800000, v5
	s_delay_alu instid0(VALU_DEP_1) | instskip(SKIP_2) | instid1(VALU_DEP_1)
	v_rcp_f32_e32 v3, v3
	s_waitcnt_depctr 0xfff
	v_mul_f32_e32 v3, 0x5f7ffffc, v3
	v_mul_f32_e32 v5, 0x2f800000, v3
	s_delay_alu instid0(VALU_DEP_1) | instskip(NEXT) | instid1(VALU_DEP_1)
	v_trunc_f32_e32 v5, v5
	v_fmac_f32_e32 v3, 0xcf800000, v5
	v_cvt_u32_f32_e32 v5, v5
	s_delay_alu instid0(VALU_DEP_2) | instskip(NEXT) | instid1(VALU_DEP_2)
	v_cvt_u32_f32_e32 v3, v3
	v_mul_lo_u32 v7, s0, v5
	s_delay_alu instid0(VALU_DEP_2) | instskip(SKIP_1) | instid1(VALU_DEP_2)
	v_mul_hi_u32 v9, s0, v3
	v_mul_lo_u32 v12, s17, v3
	v_add_nc_u32_e32 v7, v9, v7
	v_mul_lo_u32 v9, s0, v3
	s_delay_alu instid0(VALU_DEP_2) | instskip(NEXT) | instid1(VALU_DEP_2)
	v_add_nc_u32_e32 v7, v7, v12
	v_mul_hi_u32 v12, v3, v9
	s_delay_alu instid0(VALU_DEP_2)
	v_mul_lo_u32 v13, v3, v7
	v_mul_hi_u32 v14, v3, v7
	v_mul_hi_u32 v15, v5, v9
	v_mul_lo_u32 v9, v5, v9
	v_mul_hi_u32 v16, v5, v7
	v_mul_lo_u32 v7, v5, v7
	v_add_co_u32 v12, vcc_lo, v12, v13
	v_add_co_ci_u32_e32 v13, vcc_lo, 0, v14, vcc_lo
	s_delay_alu instid0(VALU_DEP_2) | instskip(NEXT) | instid1(VALU_DEP_2)
	v_add_co_u32 v9, vcc_lo, v12, v9
	v_add_co_ci_u32_e32 v9, vcc_lo, v13, v15, vcc_lo
	v_add_co_ci_u32_e32 v12, vcc_lo, 0, v16, vcc_lo
	s_delay_alu instid0(VALU_DEP_2) | instskip(NEXT) | instid1(VALU_DEP_2)
	v_add_co_u32 v7, vcc_lo, v9, v7
	v_add_co_ci_u32_e32 v9, vcc_lo, 0, v12, vcc_lo
	s_delay_alu instid0(VALU_DEP_2) | instskip(NEXT) | instid1(VALU_DEP_2)
	v_add_co_u32 v3, vcc_lo, v3, v7
	v_add_co_ci_u32_e32 v5, vcc_lo, v5, v9, vcc_lo
	s_delay_alu instid0(VALU_DEP_2) | instskip(SKIP_1) | instid1(VALU_DEP_3)
	v_mul_hi_u32 v7, s0, v3
	v_mul_lo_u32 v12, s17, v3
	v_mul_lo_u32 v9, s0, v5
	s_delay_alu instid0(VALU_DEP_1) | instskip(SKIP_1) | instid1(VALU_DEP_2)
	v_add_nc_u32_e32 v7, v7, v9
	v_mul_lo_u32 v9, s0, v3
	v_add_nc_u32_e32 v7, v7, v12
	s_delay_alu instid0(VALU_DEP_2) | instskip(NEXT) | instid1(VALU_DEP_2)
	v_mul_hi_u32 v12, v3, v9
	v_mul_lo_u32 v13, v3, v7
	v_mul_hi_u32 v14, v3, v7
	v_mul_hi_u32 v15, v5, v9
	v_mul_lo_u32 v9, v5, v9
	v_mul_hi_u32 v16, v5, v7
	v_mul_lo_u32 v7, v5, v7
	v_add_co_u32 v12, vcc_lo, v12, v13
	v_add_co_ci_u32_e32 v13, vcc_lo, 0, v14, vcc_lo
	s_delay_alu instid0(VALU_DEP_2) | instskip(NEXT) | instid1(VALU_DEP_2)
	v_add_co_u32 v9, vcc_lo, v12, v9
	v_add_co_ci_u32_e32 v9, vcc_lo, v13, v15, vcc_lo
	v_add_co_ci_u32_e32 v12, vcc_lo, 0, v16, vcc_lo
	v_add_co_u32 v13, vcc_lo, v10, v17
	v_add_co_ci_u32_e32 v11, vcc_lo, v11, v17, vcc_lo
	s_delay_alu instid0(VALU_DEP_4) | instskip(NEXT) | instid1(VALU_DEP_4)
	v_add_co_u32 v7, vcc_lo, v9, v7
	v_add_co_ci_u32_e32 v9, vcc_lo, 0, v12, vcc_lo
	s_delay_alu instid0(VALU_DEP_4) | instskip(NEXT) | instid1(VALU_DEP_3)
	v_xor_b32_e32 v18, v13, v17
	v_add_co_u32 v3, vcc_lo, v3, v7
	s_delay_alu instid0(VALU_DEP_3) | instskip(SKIP_1) | instid1(VALU_DEP_3)
	v_add_co_ci_u32_e32 v5, vcc_lo, v5, v9, vcc_lo
	v_xor_b32_e32 v7, v11, v17
	v_mul_hi_u32 v9, v18, v3
	s_delay_alu instid0(VALU_DEP_3) | instskip(NEXT) | instid1(VALU_DEP_3)
	v_mad_u64_u32 v[11:12], null, v18, v5, 0
	v_mad_u64_u32 v[13:14], null, v7, v3, 0
	;; [unrolled: 1-line block ×3, first 2 shown]
	s_delay_alu instid0(VALU_DEP_3) | instskip(NEXT) | instid1(VALU_DEP_4)
	v_add_co_u32 v3, vcc_lo, v9, v11
	v_add_co_ci_u32_e32 v5, vcc_lo, 0, v12, vcc_lo
	s_delay_alu instid0(VALU_DEP_2) | instskip(NEXT) | instid1(VALU_DEP_2)
	v_add_co_u32 v3, vcc_lo, v3, v13
	v_add_co_ci_u32_e32 v3, vcc_lo, v5, v14, vcc_lo
	v_add_co_ci_u32_e32 v5, vcc_lo, 0, v16, vcc_lo
	s_delay_alu instid0(VALU_DEP_2) | instskip(NEXT) | instid1(VALU_DEP_2)
	v_add_co_u32 v3, vcc_lo, v3, v15
	v_add_co_ci_u32_e32 v5, vcc_lo, 0, v5, vcc_lo
	s_delay_alu instid0(VALU_DEP_2) | instskip(SKIP_1) | instid1(VALU_DEP_3)
	v_mul_lo_u32 v9, s23, v3
	v_mad_u64_u32 v[11:12], null, s22, v3, 0
	v_mul_lo_u32 v13, s22, v5
	s_delay_alu instid0(VALU_DEP_2) | instskip(NEXT) | instid1(VALU_DEP_2)
	v_sub_co_u32 v11, vcc_lo, v18, v11
	v_add3_u32 v9, v12, v13, v9
	s_delay_alu instid0(VALU_DEP_1) | instskip(NEXT) | instid1(VALU_DEP_1)
	v_sub_nc_u32_e32 v12, v7, v9
	v_subrev_co_ci_u32_e64 v12, s0, s23, v12, vcc_lo
	v_add_co_u32 v13, s0, v3, 2
	s_delay_alu instid0(VALU_DEP_1) | instskip(SKIP_3) | instid1(VALU_DEP_3)
	v_add_co_ci_u32_e64 v14, s0, 0, v5, s0
	v_sub_co_u32 v15, s0, v11, s22
	v_sub_co_ci_u32_e32 v7, vcc_lo, v7, v9, vcc_lo
	v_subrev_co_ci_u32_e64 v12, s0, 0, v12, s0
	v_cmp_le_u32_e32 vcc_lo, s22, v15
	s_delay_alu instid0(VALU_DEP_3) | instskip(SKIP_1) | instid1(VALU_DEP_4)
	v_cmp_eq_u32_e64 s0, s23, v7
	v_cndmask_b32_e64 v9, 0, -1, vcc_lo
	v_cmp_le_u32_e32 vcc_lo, s23, v12
	v_cndmask_b32_e64 v15, 0, -1, vcc_lo
	v_cmp_le_u32_e32 vcc_lo, s22, v11
	;; [unrolled: 2-line block ×3, first 2 shown]
	v_cndmask_b32_e64 v16, 0, -1, vcc_lo
	v_cmp_eq_u32_e32 vcc_lo, s23, v12
	s_delay_alu instid0(VALU_DEP_2) | instskip(SKIP_3) | instid1(VALU_DEP_3)
	v_cndmask_b32_e64 v7, v16, v11, s0
	v_cndmask_b32_e32 v9, v15, v9, vcc_lo
	v_add_co_u32 v12, vcc_lo, v3, 1
	v_add_co_ci_u32_e32 v15, vcc_lo, 0, v5, vcc_lo
	v_cmp_ne_u32_e32 vcc_lo, 0, v9
	s_delay_alu instid0(VALU_DEP_2) | instskip(NEXT) | instid1(VALU_DEP_4)
	v_cndmask_b32_e32 v9, v15, v14, vcc_lo
	v_cndmask_b32_e32 v11, v12, v13, vcc_lo
	v_cmp_ne_u32_e32 vcc_lo, 0, v7
	v_xor_b32_e32 v7, s20, v17
	s_delay_alu instid0(VALU_DEP_3) | instskip(SKIP_2) | instid1(VALU_DEP_3)
	v_cndmask_b32_e32 v3, v3, v11, vcc_lo
	v_cndmask_b32_e32 v5, v5, v9, vcc_lo
	v_xor_b32_e32 v9, s21, v17
	v_xor_b32_e32 v3, v3, v7
	s_delay_alu instid0(VALU_DEP_2) | instskip(NEXT) | instid1(VALU_DEP_2)
	v_xor_b32_e32 v5, v5, v9
	v_sub_co_u32 v12, vcc_lo, v3, v7
	s_delay_alu instid0(VALU_DEP_2)
	v_sub_co_ci_u32_e32 v13, vcc_lo, v5, v9, vcc_lo
.LBB96_34:                              ;   in Loop: Header=BB96_24 Depth=2
	s_and_not1_saveexec_b32 s0, s14
	s_cbranch_execz .LBB96_36
; %bb.35:                               ;   in Loop: Header=BB96_24 Depth=2
	v_cvt_f32_u32_e32 v3, s45
	s_sub_i32 s14, 0, s45
	v_mov_b32_e32 v13, v2
	s_delay_alu instid0(VALU_DEP_2) | instskip(SKIP_2) | instid1(VALU_DEP_1)
	v_rcp_iflag_f32_e32 v3, v3
	s_waitcnt_depctr 0xfff
	v_mul_f32_e32 v3, 0x4f7ffffe, v3
	v_cvt_u32_f32_e32 v3, v3
	s_delay_alu instid0(VALU_DEP_1) | instskip(NEXT) | instid1(VALU_DEP_1)
	v_mul_lo_u32 v5, s14, v3
	v_mul_hi_u32 v5, v3, v5
	s_delay_alu instid0(VALU_DEP_1) | instskip(NEXT) | instid1(VALU_DEP_1)
	v_add_nc_u32_e32 v3, v3, v5
	v_mul_hi_u32 v3, v10, v3
	s_delay_alu instid0(VALU_DEP_1) | instskip(SKIP_1) | instid1(VALU_DEP_2)
	v_mul_lo_u32 v5, v3, s45
	v_add_nc_u32_e32 v7, 1, v3
	v_sub_nc_u32_e32 v5, v10, v5
	s_delay_alu instid0(VALU_DEP_1) | instskip(SKIP_1) | instid1(VALU_DEP_4)
	v_cmp_le_u32_e32 vcc_lo, s45, v5
	v_subrev_nc_u32_e32 v9, s45, v5
	v_cndmask_b32_e32 v3, v3, v7, vcc_lo
	s_delay_alu instid0(VALU_DEP_1) | instskip(NEXT) | instid1(VALU_DEP_3)
	v_add_nc_u32_e32 v7, 1, v3
	v_cndmask_b32_e32 v5, v5, v9, vcc_lo
	s_delay_alu instid0(VALU_DEP_1) | instskip(NEXT) | instid1(VALU_DEP_3)
	v_cmp_le_u32_e32 vcc_lo, s45, v5
	v_cndmask_b32_e32 v12, v3, v7, vcc_lo
.LBB96_36:                              ;   in Loop: Header=BB96_24 Depth=2
	s_or_b32 exec_lo, exec_lo, s0
	s_add_u32 s20, s30, s18
	s_addc_u32 s21, s1, s19
	s_add_i32 s14, s16, 4
                                        ; implicit-def: $vgpr14_vgpr15
	s_delay_alu instid0(SALU_CYCLE_1)
	s_lshl_b64 s[18:19], s[14:15], 2
	s_mov_b32 s14, exec_lo
	s_add_u32 s22, s26, s18
	s_addc_u32 s23, s27, s19
	s_clause 0x1
	s_load_b32 s47, s[22:23], 0x0
	s_load_b32 s46, s[20:21], 0x0
	s_waitcnt lgkmcnt(0)
	s_ashr_i32 s0, s47, 31
	s_delay_alu instid0(SALU_CYCLE_1) | instskip(NEXT) | instid1(VALU_DEP_1)
	v_or_b32_e32 v3, s0, v13
	v_cmpx_ne_u64_e32 0, v[2:3]
	s_xor_b32 s14, exec_lo, s14
	s_cbranch_execz .LBB96_38
; %bb.37:                               ;   in Loop: Header=BB96_24 Depth=2
	s_add_u32 s22, s47, s0
	s_mov_b32 s20, s0
	s_mov_b32 s21, s0
	s_addc_u32 s23, s0, s0
	v_ashrrev_i32_e32 v19, 31, v13
	s_xor_b64 s[22:23], s[22:23], s[20:21]
	s_delay_alu instid0(SALU_CYCLE_1) | instskip(SKIP_3) | instid1(VALU_DEP_1)
	v_cvt_f32_u32_e32 v3, s22
	v_cvt_f32_u32_e32 v5, s23
	s_sub_u32 s0, 0, s22
	s_subb_u32 s17, 0, s23
	v_fmac_f32_e32 v3, 0x4f800000, v5
	s_delay_alu instid0(VALU_DEP_1) | instskip(SKIP_2) | instid1(VALU_DEP_1)
	v_rcp_f32_e32 v3, v3
	s_waitcnt_depctr 0xfff
	v_mul_f32_e32 v3, 0x5f7ffffc, v3
	v_mul_f32_e32 v5, 0x2f800000, v3
	s_delay_alu instid0(VALU_DEP_1) | instskip(NEXT) | instid1(VALU_DEP_1)
	v_trunc_f32_e32 v5, v5
	v_fmac_f32_e32 v3, 0xcf800000, v5
	v_cvt_u32_f32_e32 v5, v5
	s_delay_alu instid0(VALU_DEP_2) | instskip(NEXT) | instid1(VALU_DEP_2)
	v_cvt_u32_f32_e32 v3, v3
	v_mul_lo_u32 v7, s0, v5
	s_delay_alu instid0(VALU_DEP_2) | instskip(SKIP_1) | instid1(VALU_DEP_2)
	v_mul_hi_u32 v9, s0, v3
	v_mul_lo_u32 v11, s17, v3
	v_add_nc_u32_e32 v7, v9, v7
	v_mul_lo_u32 v9, s0, v3
	s_delay_alu instid0(VALU_DEP_2) | instskip(NEXT) | instid1(VALU_DEP_2)
	v_add_nc_u32_e32 v7, v7, v11
	v_mul_hi_u32 v11, v3, v9
	s_delay_alu instid0(VALU_DEP_2)
	v_mul_lo_u32 v14, v3, v7
	v_mul_hi_u32 v15, v3, v7
	v_mul_hi_u32 v16, v5, v9
	v_mul_lo_u32 v9, v5, v9
	v_mul_hi_u32 v17, v5, v7
	v_mul_lo_u32 v7, v5, v7
	v_add_co_u32 v11, vcc_lo, v11, v14
	v_add_co_ci_u32_e32 v14, vcc_lo, 0, v15, vcc_lo
	s_delay_alu instid0(VALU_DEP_2) | instskip(NEXT) | instid1(VALU_DEP_2)
	v_add_co_u32 v9, vcc_lo, v11, v9
	v_add_co_ci_u32_e32 v9, vcc_lo, v14, v16, vcc_lo
	v_add_co_ci_u32_e32 v11, vcc_lo, 0, v17, vcc_lo
	s_delay_alu instid0(VALU_DEP_2) | instskip(NEXT) | instid1(VALU_DEP_2)
	v_add_co_u32 v7, vcc_lo, v9, v7
	v_add_co_ci_u32_e32 v9, vcc_lo, 0, v11, vcc_lo
	s_delay_alu instid0(VALU_DEP_2) | instskip(NEXT) | instid1(VALU_DEP_2)
	v_add_co_u32 v3, vcc_lo, v3, v7
	v_add_co_ci_u32_e32 v5, vcc_lo, v5, v9, vcc_lo
	s_delay_alu instid0(VALU_DEP_2) | instskip(SKIP_1) | instid1(VALU_DEP_3)
	v_mul_hi_u32 v7, s0, v3
	v_mul_lo_u32 v11, s17, v3
	v_mul_lo_u32 v9, s0, v5
	s_delay_alu instid0(VALU_DEP_1) | instskip(SKIP_1) | instid1(VALU_DEP_2)
	v_add_nc_u32_e32 v7, v7, v9
	v_mul_lo_u32 v9, s0, v3
	v_add_nc_u32_e32 v7, v7, v11
	s_delay_alu instid0(VALU_DEP_2) | instskip(NEXT) | instid1(VALU_DEP_2)
	v_mul_hi_u32 v11, v3, v9
	v_mul_lo_u32 v14, v3, v7
	v_mul_hi_u32 v15, v3, v7
	v_mul_hi_u32 v16, v5, v9
	v_mul_lo_u32 v9, v5, v9
	v_mul_hi_u32 v17, v5, v7
	v_mul_lo_u32 v7, v5, v7
	v_add_co_u32 v11, vcc_lo, v11, v14
	v_add_co_ci_u32_e32 v14, vcc_lo, 0, v15, vcc_lo
	s_delay_alu instid0(VALU_DEP_2) | instskip(NEXT) | instid1(VALU_DEP_2)
	v_add_co_u32 v9, vcc_lo, v11, v9
	v_add_co_ci_u32_e32 v9, vcc_lo, v14, v16, vcc_lo
	v_add_co_ci_u32_e32 v11, vcc_lo, 0, v17, vcc_lo
	v_add_co_u32 v14, vcc_lo, v12, v19
	v_add_co_ci_u32_e32 v13, vcc_lo, v13, v19, vcc_lo
	s_delay_alu instid0(VALU_DEP_4) | instskip(NEXT) | instid1(VALU_DEP_4)
	v_add_co_u32 v7, vcc_lo, v9, v7
	v_add_co_ci_u32_e32 v9, vcc_lo, 0, v11, vcc_lo
	s_delay_alu instid0(VALU_DEP_4) | instskip(NEXT) | instid1(VALU_DEP_3)
	v_xor_b32_e32 v11, v14, v19
	v_add_co_u32 v3, vcc_lo, v3, v7
	s_delay_alu instid0(VALU_DEP_3) | instskip(SKIP_1) | instid1(VALU_DEP_3)
	v_add_co_ci_u32_e32 v5, vcc_lo, v5, v9, vcc_lo
	v_xor_b32_e32 v7, v13, v19
	v_mul_hi_u32 v9, v11, v3
	s_delay_alu instid0(VALU_DEP_3) | instskip(NEXT) | instid1(VALU_DEP_3)
	v_mad_u64_u32 v[13:14], null, v11, v5, 0
	v_mad_u64_u32 v[15:16], null, v7, v3, 0
	;; [unrolled: 1-line block ×3, first 2 shown]
	s_delay_alu instid0(VALU_DEP_3) | instskip(NEXT) | instid1(VALU_DEP_4)
	v_add_co_u32 v3, vcc_lo, v9, v13
	v_add_co_ci_u32_e32 v5, vcc_lo, 0, v14, vcc_lo
	s_delay_alu instid0(VALU_DEP_2) | instskip(NEXT) | instid1(VALU_DEP_2)
	v_add_co_u32 v3, vcc_lo, v3, v15
	v_add_co_ci_u32_e32 v3, vcc_lo, v5, v16, vcc_lo
	v_add_co_ci_u32_e32 v5, vcc_lo, 0, v18, vcc_lo
	s_delay_alu instid0(VALU_DEP_2) | instskip(NEXT) | instid1(VALU_DEP_2)
	v_add_co_u32 v3, vcc_lo, v3, v17
	v_add_co_ci_u32_e32 v5, vcc_lo, 0, v5, vcc_lo
	s_delay_alu instid0(VALU_DEP_2) | instskip(SKIP_1) | instid1(VALU_DEP_3)
	v_mul_lo_u32 v9, s23, v3
	v_mad_u64_u32 v[13:14], null, s22, v3, 0
	v_mul_lo_u32 v15, s22, v5
	s_delay_alu instid0(VALU_DEP_2) | instskip(NEXT) | instid1(VALU_DEP_2)
	v_sub_co_u32 v11, vcc_lo, v11, v13
	v_add3_u32 v9, v14, v15, v9
	s_delay_alu instid0(VALU_DEP_1) | instskip(NEXT) | instid1(VALU_DEP_1)
	v_sub_nc_u32_e32 v14, v7, v9
	v_subrev_co_ci_u32_e64 v13, s0, s23, v14, vcc_lo
	v_add_co_u32 v14, s0, v3, 2
	s_delay_alu instid0(VALU_DEP_1) | instskip(SKIP_3) | instid1(VALU_DEP_3)
	v_add_co_ci_u32_e64 v15, s0, 0, v5, s0
	v_sub_co_u32 v16, s0, v11, s22
	v_sub_co_ci_u32_e32 v7, vcc_lo, v7, v9, vcc_lo
	v_subrev_co_ci_u32_e64 v13, s0, 0, v13, s0
	v_cmp_le_u32_e32 vcc_lo, s22, v16
	s_delay_alu instid0(VALU_DEP_3) | instskip(SKIP_1) | instid1(VALU_DEP_4)
	v_cmp_eq_u32_e64 s0, s23, v7
	v_cndmask_b32_e64 v9, 0, -1, vcc_lo
	v_cmp_le_u32_e32 vcc_lo, s23, v13
	v_cndmask_b32_e64 v16, 0, -1, vcc_lo
	v_cmp_le_u32_e32 vcc_lo, s22, v11
	;; [unrolled: 2-line block ×3, first 2 shown]
	v_cndmask_b32_e64 v17, 0, -1, vcc_lo
	v_cmp_eq_u32_e32 vcc_lo, s23, v13
	s_delay_alu instid0(VALU_DEP_2) | instskip(SKIP_3) | instid1(VALU_DEP_3)
	v_cndmask_b32_e64 v7, v17, v11, s0
	v_cndmask_b32_e32 v9, v16, v9, vcc_lo
	v_add_co_u32 v13, vcc_lo, v3, 1
	v_add_co_ci_u32_e32 v16, vcc_lo, 0, v5, vcc_lo
	v_cmp_ne_u32_e32 vcc_lo, 0, v9
	s_delay_alu instid0(VALU_DEP_2) | instskip(NEXT) | instid1(VALU_DEP_4)
	v_cndmask_b32_e32 v9, v16, v15, vcc_lo
	v_cndmask_b32_e32 v11, v13, v14, vcc_lo
	v_cmp_ne_u32_e32 vcc_lo, 0, v7
	v_xor_b32_e32 v7, s20, v19
	s_delay_alu instid0(VALU_DEP_3) | instskip(SKIP_2) | instid1(VALU_DEP_3)
	v_cndmask_b32_e32 v3, v3, v11, vcc_lo
	v_cndmask_b32_e32 v5, v5, v9, vcc_lo
	v_xor_b32_e32 v9, s21, v19
	v_xor_b32_e32 v3, v3, v7
	s_delay_alu instid0(VALU_DEP_2) | instskip(NEXT) | instid1(VALU_DEP_2)
	v_xor_b32_e32 v5, v5, v9
	v_sub_co_u32 v14, vcc_lo, v3, v7
	s_delay_alu instid0(VALU_DEP_2)
	v_sub_co_ci_u32_e32 v15, vcc_lo, v5, v9, vcc_lo
.LBB96_38:                              ;   in Loop: Header=BB96_24 Depth=2
	s_and_not1_saveexec_b32 s0, s14
	s_cbranch_execz .LBB96_40
; %bb.39:                               ;   in Loop: Header=BB96_24 Depth=2
	v_cvt_f32_u32_e32 v3, s47
	s_sub_i32 s14, 0, s47
	v_mov_b32_e32 v15, v2
	s_delay_alu instid0(VALU_DEP_2) | instskip(SKIP_2) | instid1(VALU_DEP_1)
	v_rcp_iflag_f32_e32 v3, v3
	s_waitcnt_depctr 0xfff
	v_mul_f32_e32 v3, 0x4f7ffffe, v3
	v_cvt_u32_f32_e32 v3, v3
	s_delay_alu instid0(VALU_DEP_1) | instskip(NEXT) | instid1(VALU_DEP_1)
	v_mul_lo_u32 v5, s14, v3
	v_mul_hi_u32 v5, v3, v5
	s_delay_alu instid0(VALU_DEP_1) | instskip(NEXT) | instid1(VALU_DEP_1)
	v_add_nc_u32_e32 v3, v3, v5
	v_mul_hi_u32 v3, v12, v3
	s_delay_alu instid0(VALU_DEP_1) | instskip(SKIP_1) | instid1(VALU_DEP_2)
	v_mul_lo_u32 v5, v3, s47
	v_add_nc_u32_e32 v7, 1, v3
	v_sub_nc_u32_e32 v5, v12, v5
	s_delay_alu instid0(VALU_DEP_1) | instskip(SKIP_1) | instid1(VALU_DEP_4)
	v_cmp_le_u32_e32 vcc_lo, s47, v5
	v_subrev_nc_u32_e32 v9, s47, v5
	v_cndmask_b32_e32 v3, v3, v7, vcc_lo
	s_delay_alu instid0(VALU_DEP_1) | instskip(NEXT) | instid1(VALU_DEP_3)
	v_add_nc_u32_e32 v7, 1, v3
	v_cndmask_b32_e32 v5, v5, v9, vcc_lo
	s_delay_alu instid0(VALU_DEP_1) | instskip(NEXT) | instid1(VALU_DEP_3)
	v_cmp_le_u32_e32 vcc_lo, s47, v5
	v_cndmask_b32_e32 v14, v3, v7, vcc_lo
.LBB96_40:                              ;   in Loop: Header=BB96_24 Depth=2
	s_or_b32 exec_lo, exec_lo, s0
	s_add_u32 s20, s30, s18
	s_addc_u32 s21, s1, s19
	s_add_i32 s14, s16, 3
                                        ; implicit-def: $vgpr16_vgpr17
	s_delay_alu instid0(SALU_CYCLE_1)
	s_lshl_b64 s[18:19], s[14:15], 2
	s_mov_b32 s14, exec_lo
	s_add_u32 s22, s26, s18
	s_addc_u32 s23, s27, s19
	s_clause 0x1
	s_load_b32 s49, s[22:23], 0x0
	s_load_b32 s48, s[20:21], 0x0
	s_waitcnt lgkmcnt(0)
	s_ashr_i32 s0, s49, 31
	s_delay_alu instid0(SALU_CYCLE_1) | instskip(NEXT) | instid1(VALU_DEP_1)
	v_or_b32_e32 v3, s0, v15
	v_cmpx_ne_u64_e32 0, v[2:3]
	s_xor_b32 s14, exec_lo, s14
	s_cbranch_execz .LBB96_42
; %bb.41:                               ;   in Loop: Header=BB96_24 Depth=2
	s_add_u32 s22, s49, s0
	s_mov_b32 s20, s0
	s_mov_b32 s21, s0
	s_addc_u32 s23, s0, s0
	v_ashrrev_i32_e32 v21, 31, v15
	s_xor_b64 s[22:23], s[22:23], s[20:21]
	s_delay_alu instid0(SALU_CYCLE_1) | instskip(SKIP_3) | instid1(VALU_DEP_1)
	v_cvt_f32_u32_e32 v3, s22
	v_cvt_f32_u32_e32 v5, s23
	s_sub_u32 s0, 0, s22
	s_subb_u32 s17, 0, s23
	v_fmac_f32_e32 v3, 0x4f800000, v5
	s_delay_alu instid0(VALU_DEP_1) | instskip(SKIP_2) | instid1(VALU_DEP_1)
	v_rcp_f32_e32 v3, v3
	s_waitcnt_depctr 0xfff
	v_mul_f32_e32 v3, 0x5f7ffffc, v3
	v_mul_f32_e32 v5, 0x2f800000, v3
	s_delay_alu instid0(VALU_DEP_1) | instskip(NEXT) | instid1(VALU_DEP_1)
	v_trunc_f32_e32 v5, v5
	v_fmac_f32_e32 v3, 0xcf800000, v5
	v_cvt_u32_f32_e32 v5, v5
	s_delay_alu instid0(VALU_DEP_2) | instskip(NEXT) | instid1(VALU_DEP_2)
	v_cvt_u32_f32_e32 v3, v3
	v_mul_lo_u32 v7, s0, v5
	s_delay_alu instid0(VALU_DEP_2) | instskip(SKIP_1) | instid1(VALU_DEP_2)
	v_mul_hi_u32 v9, s0, v3
	v_mul_lo_u32 v11, s17, v3
	v_add_nc_u32_e32 v7, v9, v7
	v_mul_lo_u32 v9, s0, v3
	s_delay_alu instid0(VALU_DEP_2) | instskip(NEXT) | instid1(VALU_DEP_2)
	v_add_nc_u32_e32 v7, v7, v11
	v_mul_hi_u32 v11, v3, v9
	s_delay_alu instid0(VALU_DEP_2)
	v_mul_lo_u32 v13, v3, v7
	v_mul_hi_u32 v16, v3, v7
	v_mul_hi_u32 v17, v5, v9
	v_mul_lo_u32 v9, v5, v9
	v_mul_hi_u32 v18, v5, v7
	v_mul_lo_u32 v7, v5, v7
	v_add_co_u32 v11, vcc_lo, v11, v13
	v_add_co_ci_u32_e32 v13, vcc_lo, 0, v16, vcc_lo
	s_delay_alu instid0(VALU_DEP_2) | instskip(NEXT) | instid1(VALU_DEP_2)
	v_add_co_u32 v9, vcc_lo, v11, v9
	v_add_co_ci_u32_e32 v9, vcc_lo, v13, v17, vcc_lo
	v_add_co_ci_u32_e32 v11, vcc_lo, 0, v18, vcc_lo
	s_delay_alu instid0(VALU_DEP_2) | instskip(NEXT) | instid1(VALU_DEP_2)
	v_add_co_u32 v7, vcc_lo, v9, v7
	v_add_co_ci_u32_e32 v9, vcc_lo, 0, v11, vcc_lo
	s_delay_alu instid0(VALU_DEP_2) | instskip(NEXT) | instid1(VALU_DEP_2)
	v_add_co_u32 v3, vcc_lo, v3, v7
	v_add_co_ci_u32_e32 v5, vcc_lo, v5, v9, vcc_lo
	s_delay_alu instid0(VALU_DEP_2) | instskip(SKIP_1) | instid1(VALU_DEP_3)
	v_mul_hi_u32 v7, s0, v3
	v_mul_lo_u32 v11, s17, v3
	v_mul_lo_u32 v9, s0, v5
	s_delay_alu instid0(VALU_DEP_1) | instskip(SKIP_1) | instid1(VALU_DEP_2)
	v_add_nc_u32_e32 v7, v7, v9
	v_mul_lo_u32 v9, s0, v3
	v_add_nc_u32_e32 v7, v7, v11
	s_delay_alu instid0(VALU_DEP_2) | instskip(NEXT) | instid1(VALU_DEP_2)
	v_mul_hi_u32 v11, v3, v9
	v_mul_lo_u32 v13, v3, v7
	v_mul_hi_u32 v16, v3, v7
	v_mul_hi_u32 v17, v5, v9
	v_mul_lo_u32 v9, v5, v9
	v_mul_hi_u32 v18, v5, v7
	v_mul_lo_u32 v7, v5, v7
	v_add_co_u32 v11, vcc_lo, v11, v13
	v_add_co_ci_u32_e32 v13, vcc_lo, 0, v16, vcc_lo
	s_delay_alu instid0(VALU_DEP_2) | instskip(NEXT) | instid1(VALU_DEP_2)
	v_add_co_u32 v9, vcc_lo, v11, v9
	v_add_co_ci_u32_e32 v9, vcc_lo, v13, v17, vcc_lo
	v_add_co_ci_u32_e32 v11, vcc_lo, 0, v18, vcc_lo
	v_add_co_u32 v13, vcc_lo, v14, v21
	v_add_co_ci_u32_e32 v15, vcc_lo, v15, v21, vcc_lo
	s_delay_alu instid0(VALU_DEP_4) | instskip(NEXT) | instid1(VALU_DEP_4)
	v_add_co_u32 v7, vcc_lo, v9, v7
	v_add_co_ci_u32_e32 v9, vcc_lo, 0, v11, vcc_lo
	s_delay_alu instid0(VALU_DEP_4) | instskip(NEXT) | instid1(VALU_DEP_3)
	v_xor_b32_e32 v11, v13, v21
	v_add_co_u32 v3, vcc_lo, v3, v7
	s_delay_alu instid0(VALU_DEP_3) | instskip(SKIP_1) | instid1(VALU_DEP_3)
	v_add_co_ci_u32_e32 v5, vcc_lo, v5, v9, vcc_lo
	v_xor_b32_e32 v7, v15, v21
	v_mul_hi_u32 v9, v11, v3
	s_delay_alu instid0(VALU_DEP_3) | instskip(NEXT) | instid1(VALU_DEP_3)
	v_mad_u64_u32 v[15:16], null, v11, v5, 0
	v_mad_u64_u32 v[17:18], null, v7, v3, 0
	;; [unrolled: 1-line block ×3, first 2 shown]
	s_delay_alu instid0(VALU_DEP_3) | instskip(NEXT) | instid1(VALU_DEP_4)
	v_add_co_u32 v3, vcc_lo, v9, v15
	v_add_co_ci_u32_e32 v5, vcc_lo, 0, v16, vcc_lo
	s_delay_alu instid0(VALU_DEP_2) | instskip(NEXT) | instid1(VALU_DEP_2)
	v_add_co_u32 v3, vcc_lo, v3, v17
	v_add_co_ci_u32_e32 v3, vcc_lo, v5, v18, vcc_lo
	v_add_co_ci_u32_e32 v5, vcc_lo, 0, v20, vcc_lo
	s_delay_alu instid0(VALU_DEP_2) | instskip(NEXT) | instid1(VALU_DEP_2)
	v_add_co_u32 v3, vcc_lo, v3, v19
	v_add_co_ci_u32_e32 v5, vcc_lo, 0, v5, vcc_lo
	s_delay_alu instid0(VALU_DEP_2) | instskip(SKIP_1) | instid1(VALU_DEP_3)
	v_mul_lo_u32 v9, s23, v3
	v_mad_u64_u32 v[15:16], null, s22, v3, 0
	v_mul_lo_u32 v13, s22, v5
	s_delay_alu instid0(VALU_DEP_2) | instskip(NEXT) | instid1(VALU_DEP_2)
	v_sub_co_u32 v11, vcc_lo, v11, v15
	v_add3_u32 v9, v16, v13, v9
	s_delay_alu instid0(VALU_DEP_1) | instskip(NEXT) | instid1(VALU_DEP_1)
	v_sub_nc_u32_e32 v13, v7, v9
	v_subrev_co_ci_u32_e64 v13, s0, s23, v13, vcc_lo
	v_add_co_u32 v15, s0, v3, 2
	s_delay_alu instid0(VALU_DEP_1) | instskip(SKIP_3) | instid1(VALU_DEP_3)
	v_add_co_ci_u32_e64 v16, s0, 0, v5, s0
	v_sub_co_u32 v17, s0, v11, s22
	v_sub_co_ci_u32_e32 v7, vcc_lo, v7, v9, vcc_lo
	v_subrev_co_ci_u32_e64 v13, s0, 0, v13, s0
	v_cmp_le_u32_e32 vcc_lo, s22, v17
	s_delay_alu instid0(VALU_DEP_3) | instskip(SKIP_1) | instid1(VALU_DEP_4)
	v_cmp_eq_u32_e64 s0, s23, v7
	v_cndmask_b32_e64 v9, 0, -1, vcc_lo
	v_cmp_le_u32_e32 vcc_lo, s23, v13
	v_cndmask_b32_e64 v17, 0, -1, vcc_lo
	v_cmp_le_u32_e32 vcc_lo, s22, v11
	;; [unrolled: 2-line block ×3, first 2 shown]
	v_cndmask_b32_e64 v18, 0, -1, vcc_lo
	v_cmp_eq_u32_e32 vcc_lo, s23, v13
	s_delay_alu instid0(VALU_DEP_2) | instskip(SKIP_3) | instid1(VALU_DEP_3)
	v_cndmask_b32_e64 v7, v18, v11, s0
	v_cndmask_b32_e32 v9, v17, v9, vcc_lo
	v_add_co_u32 v13, vcc_lo, v3, 1
	v_add_co_ci_u32_e32 v17, vcc_lo, 0, v5, vcc_lo
	v_cmp_ne_u32_e32 vcc_lo, 0, v9
	s_delay_alu instid0(VALU_DEP_2) | instskip(NEXT) | instid1(VALU_DEP_4)
	v_cndmask_b32_e32 v9, v17, v16, vcc_lo
	v_cndmask_b32_e32 v11, v13, v15, vcc_lo
	v_cmp_ne_u32_e32 vcc_lo, 0, v7
	v_xor_b32_e32 v7, s20, v21
	s_delay_alu instid0(VALU_DEP_3) | instskip(SKIP_2) | instid1(VALU_DEP_3)
	v_cndmask_b32_e32 v3, v3, v11, vcc_lo
	v_cndmask_b32_e32 v5, v5, v9, vcc_lo
	v_xor_b32_e32 v9, s21, v21
	v_xor_b32_e32 v3, v3, v7
	s_delay_alu instid0(VALU_DEP_2) | instskip(NEXT) | instid1(VALU_DEP_2)
	v_xor_b32_e32 v5, v5, v9
	v_sub_co_u32 v16, vcc_lo, v3, v7
	s_delay_alu instid0(VALU_DEP_2)
	v_sub_co_ci_u32_e32 v17, vcc_lo, v5, v9, vcc_lo
.LBB96_42:                              ;   in Loop: Header=BB96_24 Depth=2
	s_and_not1_saveexec_b32 s0, s14
	s_cbranch_execz .LBB96_44
; %bb.43:                               ;   in Loop: Header=BB96_24 Depth=2
	v_cvt_f32_u32_e32 v3, s49
	s_sub_i32 s14, 0, s49
	v_mov_b32_e32 v17, v2
	s_delay_alu instid0(VALU_DEP_2) | instskip(SKIP_2) | instid1(VALU_DEP_1)
	v_rcp_iflag_f32_e32 v3, v3
	s_waitcnt_depctr 0xfff
	v_mul_f32_e32 v3, 0x4f7ffffe, v3
	v_cvt_u32_f32_e32 v3, v3
	s_delay_alu instid0(VALU_DEP_1) | instskip(NEXT) | instid1(VALU_DEP_1)
	v_mul_lo_u32 v5, s14, v3
	v_mul_hi_u32 v5, v3, v5
	s_delay_alu instid0(VALU_DEP_1) | instskip(NEXT) | instid1(VALU_DEP_1)
	v_add_nc_u32_e32 v3, v3, v5
	v_mul_hi_u32 v3, v14, v3
	s_delay_alu instid0(VALU_DEP_1) | instskip(SKIP_1) | instid1(VALU_DEP_2)
	v_mul_lo_u32 v5, v3, s49
	v_add_nc_u32_e32 v7, 1, v3
	v_sub_nc_u32_e32 v5, v14, v5
	s_delay_alu instid0(VALU_DEP_1) | instskip(SKIP_1) | instid1(VALU_DEP_4)
	v_cmp_le_u32_e32 vcc_lo, s49, v5
	v_subrev_nc_u32_e32 v9, s49, v5
	v_cndmask_b32_e32 v3, v3, v7, vcc_lo
	s_delay_alu instid0(VALU_DEP_1) | instskip(NEXT) | instid1(VALU_DEP_3)
	v_add_nc_u32_e32 v7, 1, v3
	v_cndmask_b32_e32 v5, v5, v9, vcc_lo
	s_delay_alu instid0(VALU_DEP_1) | instskip(NEXT) | instid1(VALU_DEP_3)
	v_cmp_le_u32_e32 vcc_lo, s49, v5
	v_cndmask_b32_e32 v16, v3, v7, vcc_lo
.LBB96_44:                              ;   in Loop: Header=BB96_24 Depth=2
	s_or_b32 exec_lo, exec_lo, s0
	s_add_u32 s20, s30, s18
	s_addc_u32 s21, s1, s19
	s_add_i32 s14, s16, 2
                                        ; implicit-def: $vgpr18_vgpr19
	s_delay_alu instid0(SALU_CYCLE_1)
	s_lshl_b64 s[18:19], s[14:15], 2
	s_mov_b32 s14, exec_lo
	s_add_u32 s22, s26, s18
	s_addc_u32 s23, s27, s19
	s_clause 0x1
	s_load_b32 s51, s[22:23], 0x0
	s_load_b32 s50, s[20:21], 0x0
	s_waitcnt lgkmcnt(0)
	s_ashr_i32 s0, s51, 31
	s_delay_alu instid0(SALU_CYCLE_1) | instskip(NEXT) | instid1(VALU_DEP_1)
	v_or_b32_e32 v3, s0, v17
	v_cmpx_ne_u64_e32 0, v[2:3]
	s_xor_b32 s14, exec_lo, s14
	s_cbranch_execz .LBB96_46
; %bb.45:                               ;   in Loop: Header=BB96_24 Depth=2
	s_add_u32 s22, s51, s0
	s_mov_b32 s20, s0
	s_mov_b32 s21, s0
	s_addc_u32 s23, s0, s0
	v_ashrrev_i32_e32 v23, 31, v17
	s_xor_b64 s[22:23], s[22:23], s[20:21]
	s_delay_alu instid0(SALU_CYCLE_1) | instskip(SKIP_3) | instid1(VALU_DEP_1)
	v_cvt_f32_u32_e32 v3, s22
	v_cvt_f32_u32_e32 v5, s23
	s_sub_u32 s0, 0, s22
	s_subb_u32 s17, 0, s23
	v_fmac_f32_e32 v3, 0x4f800000, v5
	s_delay_alu instid0(VALU_DEP_1) | instskip(SKIP_2) | instid1(VALU_DEP_1)
	v_rcp_f32_e32 v3, v3
	s_waitcnt_depctr 0xfff
	v_mul_f32_e32 v3, 0x5f7ffffc, v3
	v_mul_f32_e32 v5, 0x2f800000, v3
	s_delay_alu instid0(VALU_DEP_1) | instskip(NEXT) | instid1(VALU_DEP_1)
	v_trunc_f32_e32 v5, v5
	v_fmac_f32_e32 v3, 0xcf800000, v5
	v_cvt_u32_f32_e32 v5, v5
	s_delay_alu instid0(VALU_DEP_2) | instskip(NEXT) | instid1(VALU_DEP_2)
	v_cvt_u32_f32_e32 v3, v3
	v_mul_lo_u32 v7, s0, v5
	s_delay_alu instid0(VALU_DEP_2) | instskip(SKIP_1) | instid1(VALU_DEP_2)
	v_mul_hi_u32 v9, s0, v3
	v_mul_lo_u32 v11, s17, v3
	v_add_nc_u32_e32 v7, v9, v7
	v_mul_lo_u32 v9, s0, v3
	s_delay_alu instid0(VALU_DEP_2) | instskip(NEXT) | instid1(VALU_DEP_2)
	v_add_nc_u32_e32 v7, v7, v11
	v_mul_hi_u32 v11, v3, v9
	s_delay_alu instid0(VALU_DEP_2)
	v_mul_lo_u32 v13, v3, v7
	v_mul_hi_u32 v15, v3, v7
	v_mul_hi_u32 v18, v5, v9
	v_mul_lo_u32 v9, v5, v9
	v_mul_hi_u32 v19, v5, v7
	v_mul_lo_u32 v7, v5, v7
	v_add_co_u32 v11, vcc_lo, v11, v13
	v_add_co_ci_u32_e32 v13, vcc_lo, 0, v15, vcc_lo
	s_delay_alu instid0(VALU_DEP_2) | instskip(NEXT) | instid1(VALU_DEP_2)
	v_add_co_u32 v9, vcc_lo, v11, v9
	v_add_co_ci_u32_e32 v9, vcc_lo, v13, v18, vcc_lo
	v_add_co_ci_u32_e32 v11, vcc_lo, 0, v19, vcc_lo
	s_delay_alu instid0(VALU_DEP_2) | instskip(NEXT) | instid1(VALU_DEP_2)
	v_add_co_u32 v7, vcc_lo, v9, v7
	v_add_co_ci_u32_e32 v9, vcc_lo, 0, v11, vcc_lo
	s_delay_alu instid0(VALU_DEP_2) | instskip(NEXT) | instid1(VALU_DEP_2)
	v_add_co_u32 v3, vcc_lo, v3, v7
	v_add_co_ci_u32_e32 v5, vcc_lo, v5, v9, vcc_lo
	s_delay_alu instid0(VALU_DEP_2) | instskip(SKIP_1) | instid1(VALU_DEP_3)
	v_mul_hi_u32 v7, s0, v3
	v_mul_lo_u32 v11, s17, v3
	v_mul_lo_u32 v9, s0, v5
	s_delay_alu instid0(VALU_DEP_1) | instskip(SKIP_1) | instid1(VALU_DEP_2)
	v_add_nc_u32_e32 v7, v7, v9
	v_mul_lo_u32 v9, s0, v3
	v_add_nc_u32_e32 v7, v7, v11
	s_delay_alu instid0(VALU_DEP_2) | instskip(NEXT) | instid1(VALU_DEP_2)
	v_mul_hi_u32 v11, v3, v9
	v_mul_lo_u32 v13, v3, v7
	v_mul_hi_u32 v15, v3, v7
	v_mul_hi_u32 v18, v5, v9
	v_mul_lo_u32 v9, v5, v9
	v_mul_hi_u32 v19, v5, v7
	v_mul_lo_u32 v7, v5, v7
	v_add_co_u32 v11, vcc_lo, v11, v13
	v_add_co_ci_u32_e32 v13, vcc_lo, 0, v15, vcc_lo
	s_delay_alu instid0(VALU_DEP_2) | instskip(NEXT) | instid1(VALU_DEP_2)
	v_add_co_u32 v9, vcc_lo, v11, v9
	v_add_co_ci_u32_e32 v9, vcc_lo, v13, v18, vcc_lo
	v_add_co_ci_u32_e32 v11, vcc_lo, 0, v19, vcc_lo
	v_add_co_u32 v13, vcc_lo, v16, v23
	v_add_co_ci_u32_e32 v15, vcc_lo, v17, v23, vcc_lo
	s_delay_alu instid0(VALU_DEP_4) | instskip(NEXT) | instid1(VALU_DEP_4)
	v_add_co_u32 v7, vcc_lo, v9, v7
	v_add_co_ci_u32_e32 v9, vcc_lo, 0, v11, vcc_lo
	s_delay_alu instid0(VALU_DEP_4) | instskip(NEXT) | instid1(VALU_DEP_3)
	v_xor_b32_e32 v11, v13, v23
	v_add_co_u32 v3, vcc_lo, v3, v7
	s_delay_alu instid0(VALU_DEP_3) | instskip(SKIP_1) | instid1(VALU_DEP_3)
	v_add_co_ci_u32_e32 v5, vcc_lo, v5, v9, vcc_lo
	v_xor_b32_e32 v7, v15, v23
	v_mul_hi_u32 v9, v11, v3
	s_delay_alu instid0(VALU_DEP_3) | instskip(NEXT) | instid1(VALU_DEP_3)
	v_mad_u64_u32 v[17:18], null, v11, v5, 0
	v_mad_u64_u32 v[19:20], null, v7, v3, 0
	;; [unrolled: 1-line block ×3, first 2 shown]
	s_delay_alu instid0(VALU_DEP_3) | instskip(NEXT) | instid1(VALU_DEP_4)
	v_add_co_u32 v3, vcc_lo, v9, v17
	v_add_co_ci_u32_e32 v5, vcc_lo, 0, v18, vcc_lo
	s_delay_alu instid0(VALU_DEP_2) | instskip(NEXT) | instid1(VALU_DEP_2)
	v_add_co_u32 v3, vcc_lo, v3, v19
	v_add_co_ci_u32_e32 v3, vcc_lo, v5, v20, vcc_lo
	v_add_co_ci_u32_e32 v5, vcc_lo, 0, v22, vcc_lo
	s_delay_alu instid0(VALU_DEP_2) | instskip(NEXT) | instid1(VALU_DEP_2)
	v_add_co_u32 v3, vcc_lo, v3, v21
	v_add_co_ci_u32_e32 v5, vcc_lo, 0, v5, vcc_lo
	s_delay_alu instid0(VALU_DEP_2) | instskip(SKIP_1) | instid1(VALU_DEP_3)
	v_mul_lo_u32 v9, s23, v3
	v_mad_u64_u32 v[17:18], null, s22, v3, 0
	v_mul_lo_u32 v13, s22, v5
	s_delay_alu instid0(VALU_DEP_2) | instskip(NEXT) | instid1(VALU_DEP_2)
	v_sub_co_u32 v11, vcc_lo, v11, v17
	v_add3_u32 v9, v18, v13, v9
	s_delay_alu instid0(VALU_DEP_1) | instskip(NEXT) | instid1(VALU_DEP_1)
	v_sub_nc_u32_e32 v13, v7, v9
	v_subrev_co_ci_u32_e64 v13, s0, s23, v13, vcc_lo
	v_add_co_u32 v15, s0, v3, 2
	s_delay_alu instid0(VALU_DEP_1) | instskip(SKIP_3) | instid1(VALU_DEP_3)
	v_add_co_ci_u32_e64 v17, s0, 0, v5, s0
	v_sub_co_u32 v18, s0, v11, s22
	v_sub_co_ci_u32_e32 v7, vcc_lo, v7, v9, vcc_lo
	v_subrev_co_ci_u32_e64 v13, s0, 0, v13, s0
	v_cmp_le_u32_e32 vcc_lo, s22, v18
	s_delay_alu instid0(VALU_DEP_3) | instskip(SKIP_1) | instid1(VALU_DEP_4)
	v_cmp_eq_u32_e64 s0, s23, v7
	v_cndmask_b32_e64 v9, 0, -1, vcc_lo
	v_cmp_le_u32_e32 vcc_lo, s23, v13
	v_cndmask_b32_e64 v18, 0, -1, vcc_lo
	v_cmp_le_u32_e32 vcc_lo, s22, v11
	;; [unrolled: 2-line block ×3, first 2 shown]
	v_cndmask_b32_e64 v19, 0, -1, vcc_lo
	v_cmp_eq_u32_e32 vcc_lo, s23, v13
	s_delay_alu instid0(VALU_DEP_2) | instskip(SKIP_3) | instid1(VALU_DEP_3)
	v_cndmask_b32_e64 v7, v19, v11, s0
	v_cndmask_b32_e32 v9, v18, v9, vcc_lo
	v_add_co_u32 v13, vcc_lo, v3, 1
	v_add_co_ci_u32_e32 v18, vcc_lo, 0, v5, vcc_lo
	v_cmp_ne_u32_e32 vcc_lo, 0, v9
	s_delay_alu instid0(VALU_DEP_2) | instskip(NEXT) | instid1(VALU_DEP_4)
	v_cndmask_b32_e32 v9, v18, v17, vcc_lo
	v_cndmask_b32_e32 v11, v13, v15, vcc_lo
	v_cmp_ne_u32_e32 vcc_lo, 0, v7
	v_xor_b32_e32 v7, s20, v23
	s_delay_alu instid0(VALU_DEP_3) | instskip(SKIP_2) | instid1(VALU_DEP_3)
	v_cndmask_b32_e32 v3, v3, v11, vcc_lo
	v_cndmask_b32_e32 v5, v5, v9, vcc_lo
	v_xor_b32_e32 v9, s21, v23
	v_xor_b32_e32 v3, v3, v7
	s_delay_alu instid0(VALU_DEP_2) | instskip(NEXT) | instid1(VALU_DEP_2)
	v_xor_b32_e32 v5, v5, v9
	v_sub_co_u32 v18, vcc_lo, v3, v7
	s_delay_alu instid0(VALU_DEP_2)
	v_sub_co_ci_u32_e32 v19, vcc_lo, v5, v9, vcc_lo
.LBB96_46:                              ;   in Loop: Header=BB96_24 Depth=2
	s_and_not1_saveexec_b32 s0, s14
	s_cbranch_execz .LBB96_48
; %bb.47:                               ;   in Loop: Header=BB96_24 Depth=2
	v_cvt_f32_u32_e32 v3, s51
	s_sub_i32 s14, 0, s51
	v_mov_b32_e32 v19, v2
	s_delay_alu instid0(VALU_DEP_2) | instskip(SKIP_2) | instid1(VALU_DEP_1)
	v_rcp_iflag_f32_e32 v3, v3
	s_waitcnt_depctr 0xfff
	v_mul_f32_e32 v3, 0x4f7ffffe, v3
	v_cvt_u32_f32_e32 v3, v3
	s_delay_alu instid0(VALU_DEP_1) | instskip(NEXT) | instid1(VALU_DEP_1)
	v_mul_lo_u32 v5, s14, v3
	v_mul_hi_u32 v5, v3, v5
	s_delay_alu instid0(VALU_DEP_1) | instskip(NEXT) | instid1(VALU_DEP_1)
	v_add_nc_u32_e32 v3, v3, v5
	v_mul_hi_u32 v3, v16, v3
	s_delay_alu instid0(VALU_DEP_1) | instskip(SKIP_1) | instid1(VALU_DEP_2)
	v_mul_lo_u32 v5, v3, s51
	v_add_nc_u32_e32 v7, 1, v3
	v_sub_nc_u32_e32 v5, v16, v5
	s_delay_alu instid0(VALU_DEP_1) | instskip(SKIP_1) | instid1(VALU_DEP_4)
	v_cmp_le_u32_e32 vcc_lo, s51, v5
	v_subrev_nc_u32_e32 v9, s51, v5
	v_cndmask_b32_e32 v3, v3, v7, vcc_lo
	s_delay_alu instid0(VALU_DEP_1) | instskip(NEXT) | instid1(VALU_DEP_3)
	v_add_nc_u32_e32 v7, 1, v3
	v_cndmask_b32_e32 v5, v5, v9, vcc_lo
	s_delay_alu instid0(VALU_DEP_1) | instskip(NEXT) | instid1(VALU_DEP_3)
	v_cmp_le_u32_e32 vcc_lo, s51, v5
	v_cndmask_b32_e32 v18, v3, v7, vcc_lo
.LBB96_48:                              ;   in Loop: Header=BB96_24 Depth=2
	s_or_b32 exec_lo, exec_lo, s0
	s_add_u32 s20, s30, s18
	s_addc_u32 s21, s1, s19
	s_add_i32 s14, s16, 1
	s_mov_b32 s17, exec_lo
	s_lshl_b64 s[18:19], s[14:15], 2
                                        ; implicit-def: $vgpr20_vgpr21
	s_delay_alu instid0(SALU_CYCLE_1)
	s_add_u32 s22, s26, s18
	s_addc_u32 s23, s27, s19
	s_clause 0x1
	s_load_b32 s52, s[22:23], 0x0
	s_load_b32 s14, s[20:21], 0x0
	s_waitcnt lgkmcnt(0)
	s_ashr_i32 s0, s52, 31
	s_delay_alu instid0(SALU_CYCLE_1) | instskip(NEXT) | instid1(VALU_DEP_1)
	v_or_b32_e32 v3, s0, v19
	v_cmpx_ne_u64_e32 0, v[2:3]
	s_xor_b32 s17, exec_lo, s17
	s_cbranch_execz .LBB96_50
; %bb.49:                               ;   in Loop: Header=BB96_24 Depth=2
	s_add_u32 s22, s52, s0
	s_mov_b32 s20, s0
	s_mov_b32 s21, s0
	s_addc_u32 s23, s0, s0
	s_delay_alu instid0(SALU_CYCLE_1) | instskip(NEXT) | instid1(SALU_CYCLE_1)
	s_xor_b64 s[22:23], s[22:23], s[20:21]
	v_cvt_f32_u32_e32 v3, s22
	v_cvt_f32_u32_e32 v5, s23
	s_sub_u32 s0, 0, s22
	s_subb_u32 s53, 0, s23
	s_delay_alu instid0(VALU_DEP_1) | instskip(NEXT) | instid1(VALU_DEP_1)
	v_fmac_f32_e32 v3, 0x4f800000, v5
	v_rcp_f32_e32 v3, v3
	s_waitcnt_depctr 0xfff
	v_mul_f32_e32 v3, 0x5f7ffffc, v3
	s_delay_alu instid0(VALU_DEP_1) | instskip(NEXT) | instid1(VALU_DEP_1)
	v_mul_f32_e32 v5, 0x2f800000, v3
	v_trunc_f32_e32 v5, v5
	s_delay_alu instid0(VALU_DEP_1) | instskip(SKIP_1) | instid1(VALU_DEP_2)
	v_fmac_f32_e32 v3, 0xcf800000, v5
	v_cvt_u32_f32_e32 v5, v5
	v_cvt_u32_f32_e32 v3, v3
	s_delay_alu instid0(VALU_DEP_2) | instskip(NEXT) | instid1(VALU_DEP_2)
	v_mul_lo_u32 v7, s0, v5
	v_mul_hi_u32 v9, s0, v3
	v_mul_lo_u32 v11, s53, v3
	s_delay_alu instid0(VALU_DEP_2) | instskip(SKIP_1) | instid1(VALU_DEP_2)
	v_add_nc_u32_e32 v7, v9, v7
	v_mul_lo_u32 v9, s0, v3
	v_add_nc_u32_e32 v7, v7, v11
	s_delay_alu instid0(VALU_DEP_2) | instskip(NEXT) | instid1(VALU_DEP_2)
	v_mul_hi_u32 v11, v3, v9
	v_mul_lo_u32 v13, v3, v7
	v_mul_hi_u32 v15, v3, v7
	v_mul_hi_u32 v17, v5, v9
	v_mul_lo_u32 v9, v5, v9
	v_mul_hi_u32 v20, v5, v7
	v_mul_lo_u32 v7, v5, v7
	v_add_co_u32 v11, vcc_lo, v11, v13
	v_add_co_ci_u32_e32 v13, vcc_lo, 0, v15, vcc_lo
	s_delay_alu instid0(VALU_DEP_2) | instskip(NEXT) | instid1(VALU_DEP_2)
	v_add_co_u32 v9, vcc_lo, v11, v9
	v_add_co_ci_u32_e32 v9, vcc_lo, v13, v17, vcc_lo
	v_add_co_ci_u32_e32 v11, vcc_lo, 0, v20, vcc_lo
	v_ashrrev_i32_e32 v17, 31, v19
	s_delay_alu instid0(VALU_DEP_3) | instskip(NEXT) | instid1(VALU_DEP_3)
	v_add_co_u32 v7, vcc_lo, v9, v7
	v_add_co_ci_u32_e32 v9, vcc_lo, 0, v11, vcc_lo
	s_delay_alu instid0(VALU_DEP_2) | instskip(NEXT) | instid1(VALU_DEP_2)
	v_add_co_u32 v3, vcc_lo, v3, v7
	v_add_co_ci_u32_e32 v5, vcc_lo, v5, v9, vcc_lo
	s_delay_alu instid0(VALU_DEP_2) | instskip(SKIP_1) | instid1(VALU_DEP_3)
	v_mul_hi_u32 v7, s0, v3
	v_mul_lo_u32 v11, s53, v3
	v_mul_lo_u32 v9, s0, v5
	s_delay_alu instid0(VALU_DEP_1) | instskip(SKIP_1) | instid1(VALU_DEP_2)
	v_add_nc_u32_e32 v7, v7, v9
	v_mul_lo_u32 v9, s0, v3
	v_add_nc_u32_e32 v7, v7, v11
	s_delay_alu instid0(VALU_DEP_2) | instskip(NEXT) | instid1(VALU_DEP_2)
	v_mul_hi_u32 v11, v3, v9
	v_mul_lo_u32 v13, v3, v7
	v_mul_hi_u32 v15, v3, v7
	v_mul_hi_u32 v20, v5, v9
	v_mul_lo_u32 v9, v5, v9
	v_mul_hi_u32 v21, v5, v7
	v_mul_lo_u32 v7, v5, v7
	v_add_co_u32 v11, vcc_lo, v11, v13
	v_add_co_ci_u32_e32 v13, vcc_lo, 0, v15, vcc_lo
	s_delay_alu instid0(VALU_DEP_2) | instskip(NEXT) | instid1(VALU_DEP_2)
	v_add_co_u32 v9, vcc_lo, v11, v9
	v_add_co_ci_u32_e32 v9, vcc_lo, v13, v20, vcc_lo
	v_add_co_ci_u32_e32 v11, vcc_lo, 0, v21, vcc_lo
	v_add_co_u32 v13, vcc_lo, v18, v17
	v_add_co_ci_u32_e32 v15, vcc_lo, v19, v17, vcc_lo
	s_delay_alu instid0(VALU_DEP_4) | instskip(NEXT) | instid1(VALU_DEP_4)
	v_add_co_u32 v7, vcc_lo, v9, v7
	v_add_co_ci_u32_e32 v9, vcc_lo, 0, v11, vcc_lo
	s_delay_alu instid0(VALU_DEP_4) | instskip(NEXT) | instid1(VALU_DEP_3)
	v_xor_b32_e32 v11, v13, v17
	v_add_co_u32 v3, vcc_lo, v3, v7
	s_delay_alu instid0(VALU_DEP_3) | instskip(SKIP_1) | instid1(VALU_DEP_3)
	v_add_co_ci_u32_e32 v5, vcc_lo, v5, v9, vcc_lo
	v_xor_b32_e32 v7, v15, v17
	v_mul_hi_u32 v9, v11, v3
	s_delay_alu instid0(VALU_DEP_3) | instskip(NEXT) | instid1(VALU_DEP_3)
	v_mad_u64_u32 v[19:20], null, v11, v5, 0
	v_mad_u64_u32 v[21:22], null, v7, v3, 0
	;; [unrolled: 1-line block ×3, first 2 shown]
	s_delay_alu instid0(VALU_DEP_3) | instskip(NEXT) | instid1(VALU_DEP_4)
	v_add_co_u32 v3, vcc_lo, v9, v19
	v_add_co_ci_u32_e32 v5, vcc_lo, 0, v20, vcc_lo
	s_delay_alu instid0(VALU_DEP_2) | instskip(NEXT) | instid1(VALU_DEP_2)
	v_add_co_u32 v3, vcc_lo, v3, v21
	v_add_co_ci_u32_e32 v3, vcc_lo, v5, v22, vcc_lo
	v_add_co_ci_u32_e32 v5, vcc_lo, 0, v28, vcc_lo
	s_delay_alu instid0(VALU_DEP_2) | instskip(NEXT) | instid1(VALU_DEP_2)
	v_add_co_u32 v3, vcc_lo, v3, v27
	v_add_co_ci_u32_e32 v5, vcc_lo, 0, v5, vcc_lo
	s_delay_alu instid0(VALU_DEP_2) | instskip(SKIP_1) | instid1(VALU_DEP_3)
	v_mul_lo_u32 v9, s23, v3
	v_mad_u64_u32 v[19:20], null, s22, v3, 0
	v_mul_lo_u32 v13, s22, v5
	s_delay_alu instid0(VALU_DEP_2) | instskip(NEXT) | instid1(VALU_DEP_2)
	v_sub_co_u32 v11, vcc_lo, v11, v19
	v_add3_u32 v9, v20, v13, v9
	s_delay_alu instid0(VALU_DEP_1) | instskip(NEXT) | instid1(VALU_DEP_1)
	v_sub_nc_u32_e32 v13, v7, v9
	v_subrev_co_ci_u32_e64 v13, s0, s23, v13, vcc_lo
	v_add_co_u32 v15, s0, v3, 2
	s_delay_alu instid0(VALU_DEP_1) | instskip(SKIP_3) | instid1(VALU_DEP_3)
	v_add_co_ci_u32_e64 v19, s0, 0, v5, s0
	v_sub_co_u32 v20, s0, v11, s22
	v_sub_co_ci_u32_e32 v7, vcc_lo, v7, v9, vcc_lo
	v_subrev_co_ci_u32_e64 v13, s0, 0, v13, s0
	v_cmp_le_u32_e32 vcc_lo, s22, v20
	s_delay_alu instid0(VALU_DEP_3) | instskip(SKIP_1) | instid1(VALU_DEP_4)
	v_cmp_eq_u32_e64 s0, s23, v7
	v_cndmask_b32_e64 v9, 0, -1, vcc_lo
	v_cmp_le_u32_e32 vcc_lo, s23, v13
	v_cndmask_b32_e64 v20, 0, -1, vcc_lo
	v_cmp_le_u32_e32 vcc_lo, s22, v11
	;; [unrolled: 2-line block ×3, first 2 shown]
	v_cndmask_b32_e64 v21, 0, -1, vcc_lo
	v_cmp_eq_u32_e32 vcc_lo, s23, v13
	s_delay_alu instid0(VALU_DEP_2) | instskip(SKIP_3) | instid1(VALU_DEP_3)
	v_cndmask_b32_e64 v7, v21, v11, s0
	v_cndmask_b32_e32 v9, v20, v9, vcc_lo
	v_add_co_u32 v13, vcc_lo, v3, 1
	v_add_co_ci_u32_e32 v20, vcc_lo, 0, v5, vcc_lo
	v_cmp_ne_u32_e32 vcc_lo, 0, v9
	s_delay_alu instid0(VALU_DEP_2) | instskip(NEXT) | instid1(VALU_DEP_4)
	v_cndmask_b32_e32 v9, v20, v19, vcc_lo
	v_cndmask_b32_e32 v11, v13, v15, vcc_lo
	v_cmp_ne_u32_e32 vcc_lo, 0, v7
	v_xor_b32_e32 v7, s20, v17
	s_delay_alu instid0(VALU_DEP_3) | instskip(SKIP_2) | instid1(VALU_DEP_3)
	v_cndmask_b32_e32 v3, v3, v11, vcc_lo
	v_cndmask_b32_e32 v5, v5, v9, vcc_lo
	v_xor_b32_e32 v9, s21, v17
	v_xor_b32_e32 v3, v3, v7
	s_delay_alu instid0(VALU_DEP_2) | instskip(NEXT) | instid1(VALU_DEP_2)
	v_xor_b32_e32 v5, v5, v9
	v_sub_co_u32 v20, vcc_lo, v3, v7
	s_delay_alu instid0(VALU_DEP_2)
	v_sub_co_ci_u32_e32 v21, vcc_lo, v5, v9, vcc_lo
.LBB96_50:                              ;   in Loop: Header=BB96_24 Depth=2
	s_and_not1_saveexec_b32 s0, s17
	s_cbranch_execz .LBB96_52
; %bb.51:                               ;   in Loop: Header=BB96_24 Depth=2
	v_cvt_f32_u32_e32 v3, s52
	s_sub_i32 s17, 0, s52
	v_mov_b32_e32 v21, v2
	s_delay_alu instid0(VALU_DEP_2) | instskip(SKIP_2) | instid1(VALU_DEP_1)
	v_rcp_iflag_f32_e32 v3, v3
	s_waitcnt_depctr 0xfff
	v_mul_f32_e32 v3, 0x4f7ffffe, v3
	v_cvt_u32_f32_e32 v3, v3
	s_delay_alu instid0(VALU_DEP_1) | instskip(NEXT) | instid1(VALU_DEP_1)
	v_mul_lo_u32 v5, s17, v3
	v_mul_hi_u32 v5, v3, v5
	s_delay_alu instid0(VALU_DEP_1) | instskip(NEXT) | instid1(VALU_DEP_1)
	v_add_nc_u32_e32 v3, v3, v5
	v_mul_hi_u32 v3, v18, v3
	s_delay_alu instid0(VALU_DEP_1) | instskip(SKIP_1) | instid1(VALU_DEP_2)
	v_mul_lo_u32 v5, v3, s52
	v_add_nc_u32_e32 v7, 1, v3
	v_sub_nc_u32_e32 v5, v18, v5
	s_delay_alu instid0(VALU_DEP_1) | instskip(SKIP_1) | instid1(VALU_DEP_4)
	v_cmp_le_u32_e32 vcc_lo, s52, v5
	v_subrev_nc_u32_e32 v9, s52, v5
	v_cndmask_b32_e32 v3, v3, v7, vcc_lo
	s_delay_alu instid0(VALU_DEP_1) | instskip(NEXT) | instid1(VALU_DEP_3)
	v_add_nc_u32_e32 v7, 1, v3
	v_cndmask_b32_e32 v5, v5, v9, vcc_lo
	s_delay_alu instid0(VALU_DEP_1) | instskip(NEXT) | instid1(VALU_DEP_3)
	v_cmp_le_u32_e32 vcc_lo, s52, v5
	v_cndmask_b32_e32 v20, v3, v7, vcc_lo
.LBB96_52:                              ;   in Loop: Header=BB96_24 Depth=2
	s_or_b32 exec_lo, exec_lo, s0
	s_mov_b32 s17, s15
	s_add_u32 s20, s30, s18
	s_addc_u32 s21, s1, s19
	s_lshl_b64 s[18:19], s[16:17], 2
                                        ; implicit-def: $vgpr22_vgpr23
	s_delay_alu instid0(SALU_CYCLE_1)
	s_add_u32 s22, s26, s18
	s_addc_u32 s23, s27, s19
	s_clause 0x1
	s_load_b32 s53, s[22:23], 0x0
	s_load_b32 s17, s[20:21], 0x0
	s_mov_b32 s20, exec_lo
	s_waitcnt lgkmcnt(0)
	s_ashr_i32 s0, s53, 31
	s_delay_alu instid0(SALU_CYCLE_1) | instskip(NEXT) | instid1(VALU_DEP_1)
	v_or_b32_e32 v3, s0, v21
	v_cmpx_ne_u64_e32 0, v[2:3]
	s_xor_b32 s54, exec_lo, s20
	s_cbranch_execz .LBB96_54
; %bb.53:                               ;   in Loop: Header=BB96_24 Depth=2
	s_add_u32 s22, s53, s0
	s_mov_b32 s20, s0
	s_mov_b32 s21, s0
	s_addc_u32 s23, s0, s0
	s_delay_alu instid0(SALU_CYCLE_1) | instskip(NEXT) | instid1(SALU_CYCLE_1)
	s_xor_b64 s[22:23], s[22:23], s[20:21]
	v_cvt_f32_u32_e32 v3, s22
	v_cvt_f32_u32_e32 v5, s23
	s_sub_u32 s0, 0, s22
	s_subb_u32 s55, 0, s23
	s_delay_alu instid0(VALU_DEP_1) | instskip(NEXT) | instid1(VALU_DEP_1)
	v_fmac_f32_e32 v3, 0x4f800000, v5
	v_rcp_f32_e32 v3, v3
	s_waitcnt_depctr 0xfff
	v_mul_f32_e32 v3, 0x5f7ffffc, v3
	s_delay_alu instid0(VALU_DEP_1) | instskip(NEXT) | instid1(VALU_DEP_1)
	v_mul_f32_e32 v5, 0x2f800000, v3
	v_trunc_f32_e32 v5, v5
	s_delay_alu instid0(VALU_DEP_1) | instskip(SKIP_1) | instid1(VALU_DEP_2)
	v_fmac_f32_e32 v3, 0xcf800000, v5
	v_cvt_u32_f32_e32 v5, v5
	v_cvt_u32_f32_e32 v3, v3
	s_delay_alu instid0(VALU_DEP_2) | instskip(NEXT) | instid1(VALU_DEP_2)
	v_mul_lo_u32 v7, s0, v5
	v_mul_hi_u32 v9, s0, v3
	v_mul_lo_u32 v11, s55, v3
	s_delay_alu instid0(VALU_DEP_2) | instskip(SKIP_1) | instid1(VALU_DEP_2)
	v_add_nc_u32_e32 v7, v9, v7
	v_mul_lo_u32 v9, s0, v3
	v_add_nc_u32_e32 v7, v7, v11
	s_delay_alu instid0(VALU_DEP_2) | instskip(NEXT) | instid1(VALU_DEP_2)
	v_mul_hi_u32 v11, v3, v9
	v_mul_lo_u32 v13, v3, v7
	v_mul_hi_u32 v15, v3, v7
	v_mul_hi_u32 v17, v5, v9
	v_mul_lo_u32 v9, v5, v9
	v_mul_hi_u32 v19, v5, v7
	v_mul_lo_u32 v7, v5, v7
	v_add_co_u32 v11, vcc_lo, v11, v13
	v_add_co_ci_u32_e32 v13, vcc_lo, 0, v15, vcc_lo
	s_delay_alu instid0(VALU_DEP_2) | instskip(NEXT) | instid1(VALU_DEP_2)
	v_add_co_u32 v9, vcc_lo, v11, v9
	v_add_co_ci_u32_e32 v9, vcc_lo, v13, v17, vcc_lo
	v_add_co_ci_u32_e32 v11, vcc_lo, 0, v19, vcc_lo
	v_ashrrev_i32_e32 v17, 31, v21
	s_delay_alu instid0(VALU_DEP_3) | instskip(NEXT) | instid1(VALU_DEP_3)
	v_add_co_u32 v7, vcc_lo, v9, v7
	v_add_co_ci_u32_e32 v9, vcc_lo, 0, v11, vcc_lo
	s_delay_alu instid0(VALU_DEP_2) | instskip(NEXT) | instid1(VALU_DEP_2)
	v_add_co_u32 v3, vcc_lo, v3, v7
	v_add_co_ci_u32_e32 v5, vcc_lo, v5, v9, vcc_lo
	s_delay_alu instid0(VALU_DEP_2) | instskip(SKIP_1) | instid1(VALU_DEP_3)
	v_mul_hi_u32 v7, s0, v3
	v_mul_lo_u32 v11, s55, v3
	v_mul_lo_u32 v9, s0, v5
	s_delay_alu instid0(VALU_DEP_1) | instskip(SKIP_1) | instid1(VALU_DEP_2)
	v_add_nc_u32_e32 v7, v7, v9
	v_mul_lo_u32 v9, s0, v3
	v_add_nc_u32_e32 v7, v7, v11
	s_delay_alu instid0(VALU_DEP_2) | instskip(NEXT) | instid1(VALU_DEP_2)
	v_mul_hi_u32 v11, v3, v9
	v_mul_lo_u32 v13, v3, v7
	v_mul_hi_u32 v15, v3, v7
	v_mul_hi_u32 v19, v5, v9
	v_mul_lo_u32 v9, v5, v9
	v_mul_hi_u32 v22, v5, v7
	v_mul_lo_u32 v7, v5, v7
	v_add_co_u32 v11, vcc_lo, v11, v13
	v_add_co_ci_u32_e32 v13, vcc_lo, 0, v15, vcc_lo
	s_delay_alu instid0(VALU_DEP_2) | instskip(NEXT) | instid1(VALU_DEP_2)
	v_add_co_u32 v9, vcc_lo, v11, v9
	v_add_co_ci_u32_e32 v9, vcc_lo, v13, v19, vcc_lo
	v_add_co_ci_u32_e32 v11, vcc_lo, 0, v22, vcc_lo
	v_add_co_u32 v13, vcc_lo, v20, v17
	v_add_co_ci_u32_e32 v15, vcc_lo, v21, v17, vcc_lo
	s_delay_alu instid0(VALU_DEP_4) | instskip(NEXT) | instid1(VALU_DEP_4)
	v_add_co_u32 v7, vcc_lo, v9, v7
	v_add_co_ci_u32_e32 v9, vcc_lo, 0, v11, vcc_lo
	s_delay_alu instid0(VALU_DEP_4) | instskip(NEXT) | instid1(VALU_DEP_3)
	v_xor_b32_e32 v11, v13, v17
	v_add_co_u32 v3, vcc_lo, v3, v7
	s_delay_alu instid0(VALU_DEP_3) | instskip(SKIP_1) | instid1(VALU_DEP_3)
	v_add_co_ci_u32_e32 v5, vcc_lo, v5, v9, vcc_lo
	v_xor_b32_e32 v7, v15, v17
	v_mul_hi_u32 v9, v11, v3
	s_delay_alu instid0(VALU_DEP_3) | instskip(NEXT) | instid1(VALU_DEP_3)
	v_mad_u64_u32 v[21:22], null, v11, v5, 0
	v_mad_u64_u32 v[27:28], null, v7, v3, 0
	;; [unrolled: 1-line block ×3, first 2 shown]
	s_delay_alu instid0(VALU_DEP_3) | instskip(NEXT) | instid1(VALU_DEP_4)
	v_add_co_u32 v3, vcc_lo, v9, v21
	v_add_co_ci_u32_e32 v5, vcc_lo, 0, v22, vcc_lo
	s_delay_alu instid0(VALU_DEP_2) | instskip(NEXT) | instid1(VALU_DEP_2)
	v_add_co_u32 v3, vcc_lo, v3, v27
	v_add_co_ci_u32_e32 v3, vcc_lo, v5, v28, vcc_lo
	v_add_co_ci_u32_e32 v5, vcc_lo, 0, v30, vcc_lo
	s_delay_alu instid0(VALU_DEP_2) | instskip(NEXT) | instid1(VALU_DEP_2)
	v_add_co_u32 v3, vcc_lo, v3, v29
	v_add_co_ci_u32_e32 v5, vcc_lo, 0, v5, vcc_lo
	s_delay_alu instid0(VALU_DEP_2) | instskip(SKIP_1) | instid1(VALU_DEP_3)
	v_mul_lo_u32 v9, s23, v3
	v_mad_u64_u32 v[21:22], null, s22, v3, 0
	v_mul_lo_u32 v13, s22, v5
	s_delay_alu instid0(VALU_DEP_2) | instskip(NEXT) | instid1(VALU_DEP_2)
	v_sub_co_u32 v11, vcc_lo, v11, v21
	v_add3_u32 v9, v22, v13, v9
	s_delay_alu instid0(VALU_DEP_1) | instskip(NEXT) | instid1(VALU_DEP_1)
	v_sub_nc_u32_e32 v13, v7, v9
	v_subrev_co_ci_u32_e64 v13, s0, s23, v13, vcc_lo
	v_add_co_u32 v15, s0, v3, 2
	s_delay_alu instid0(VALU_DEP_1) | instskip(SKIP_3) | instid1(VALU_DEP_3)
	v_add_co_ci_u32_e64 v19, s0, 0, v5, s0
	v_sub_co_u32 v21, s0, v11, s22
	v_sub_co_ci_u32_e32 v7, vcc_lo, v7, v9, vcc_lo
	v_subrev_co_ci_u32_e64 v13, s0, 0, v13, s0
	v_cmp_le_u32_e32 vcc_lo, s22, v21
	s_delay_alu instid0(VALU_DEP_3) | instskip(SKIP_1) | instid1(VALU_DEP_4)
	v_cmp_eq_u32_e64 s0, s23, v7
	v_cndmask_b32_e64 v9, 0, -1, vcc_lo
	v_cmp_le_u32_e32 vcc_lo, s23, v13
	v_cndmask_b32_e64 v21, 0, -1, vcc_lo
	v_cmp_le_u32_e32 vcc_lo, s22, v11
	;; [unrolled: 2-line block ×3, first 2 shown]
	v_cndmask_b32_e64 v22, 0, -1, vcc_lo
	v_cmp_eq_u32_e32 vcc_lo, s23, v13
	s_delay_alu instid0(VALU_DEP_2) | instskip(SKIP_3) | instid1(VALU_DEP_3)
	v_cndmask_b32_e64 v7, v22, v11, s0
	v_cndmask_b32_e32 v9, v21, v9, vcc_lo
	v_add_co_u32 v13, vcc_lo, v3, 1
	v_add_co_ci_u32_e32 v21, vcc_lo, 0, v5, vcc_lo
	v_cmp_ne_u32_e32 vcc_lo, 0, v9
	s_delay_alu instid0(VALU_DEP_2) | instskip(NEXT) | instid1(VALU_DEP_4)
	v_cndmask_b32_e32 v9, v21, v19, vcc_lo
	v_cndmask_b32_e32 v11, v13, v15, vcc_lo
	v_cmp_ne_u32_e32 vcc_lo, 0, v7
	v_xor_b32_e32 v7, s20, v17
	s_delay_alu instid0(VALU_DEP_3) | instskip(SKIP_2) | instid1(VALU_DEP_3)
	v_cndmask_b32_e32 v3, v3, v11, vcc_lo
	v_cndmask_b32_e32 v5, v5, v9, vcc_lo
	v_xor_b32_e32 v9, s21, v17
	v_xor_b32_e32 v3, v3, v7
	s_delay_alu instid0(VALU_DEP_2) | instskip(NEXT) | instid1(VALU_DEP_2)
	v_xor_b32_e32 v5, v5, v9
	v_sub_co_u32 v22, vcc_lo, v3, v7
	s_delay_alu instid0(VALU_DEP_2)
	v_sub_co_ci_u32_e32 v23, vcc_lo, v5, v9, vcc_lo
.LBB96_54:                              ;   in Loop: Header=BB96_24 Depth=2
	s_and_not1_saveexec_b32 s0, s54
	s_cbranch_execz .LBB96_56
; %bb.55:                               ;   in Loop: Header=BB96_24 Depth=2
	v_cvt_f32_u32_e32 v3, s53
	s_sub_i32 s20, 0, s53
	v_mov_b32_e32 v23, v2
	s_delay_alu instid0(VALU_DEP_2) | instskip(SKIP_2) | instid1(VALU_DEP_1)
	v_rcp_iflag_f32_e32 v3, v3
	s_waitcnt_depctr 0xfff
	v_mul_f32_e32 v3, 0x4f7ffffe, v3
	v_cvt_u32_f32_e32 v3, v3
	s_delay_alu instid0(VALU_DEP_1) | instskip(NEXT) | instid1(VALU_DEP_1)
	v_mul_lo_u32 v5, s20, v3
	v_mul_hi_u32 v5, v3, v5
	s_delay_alu instid0(VALU_DEP_1) | instskip(NEXT) | instid1(VALU_DEP_1)
	v_add_nc_u32_e32 v3, v3, v5
	v_mul_hi_u32 v3, v20, v3
	s_delay_alu instid0(VALU_DEP_1) | instskip(SKIP_1) | instid1(VALU_DEP_2)
	v_mul_lo_u32 v5, v3, s53
	v_add_nc_u32_e32 v7, 1, v3
	v_sub_nc_u32_e32 v5, v20, v5
	s_delay_alu instid0(VALU_DEP_1) | instskip(SKIP_1) | instid1(VALU_DEP_4)
	v_cmp_le_u32_e32 vcc_lo, s53, v5
	v_subrev_nc_u32_e32 v9, s53, v5
	v_cndmask_b32_e32 v3, v3, v7, vcc_lo
	s_delay_alu instid0(VALU_DEP_1) | instskip(NEXT) | instid1(VALU_DEP_3)
	v_add_nc_u32_e32 v7, 1, v3
	v_cndmask_b32_e32 v5, v5, v9, vcc_lo
	s_delay_alu instid0(VALU_DEP_1) | instskip(NEXT) | instid1(VALU_DEP_3)
	v_cmp_le_u32_e32 vcc_lo, s53, v5
	v_cndmask_b32_e32 v22, v3, v7, vcc_lo
.LBB96_56:                              ;   in Loop: Header=BB96_24 Depth=2
	s_or_b32 exec_lo, exec_lo, s0
	v_mul_lo_u32 v3, v8, s41
	v_mul_lo_u32 v5, v10, s43
	;; [unrolled: 1-line block ×4, first 2 shown]
	s_add_u32 s18, s30, s18
	s_addc_u32 s19, s1, s19
	v_mul_lo_u32 v11, v16, s49
	s_load_b32 s0, s[18:19], 0x0
	v_sub_nc_u32_e32 v3, v6, v3
	v_sub_nc_u32_e32 v5, v8, v5
	v_mul_lo_u32 v6, v18, s51
	v_sub_nc_u32_e32 v7, v10, v7
	v_sub_nc_u32_e32 v9, v12, v9
	v_mul_lo_u32 v3, s42, v3
	v_mul_lo_u32 v5, s44, v5
	;; [unrolled: 1-line block ×4, first 2 shown]
	v_sub_nc_u32_e32 v11, v14, v11
	v_sub_nc_u32_e32 v6, v16, v6
	v_mul_lo_u32 v7, s46, v7
	v_mul_lo_u32 v9, s48, v9
	s_add_i32 s16, s16, -8
	v_add3_u32 v3, v3, v4, v5
	v_mul_lo_u32 v4, s50, v11
	v_sub_nc_u32_e32 v5, v18, v8
	v_sub_nc_u32_e32 v8, v20, v10
	v_mul_lo_u32 v6, s14, v6
	s_cmp_eq_u32 s16, -8
	v_add3_u32 v3, v7, v3, v9
	v_mul_lo_u32 v5, s17, v5
	s_waitcnt lgkmcnt(0)
	v_mul_lo_u32 v7, s0, v8
	s_delay_alu instid0(VALU_DEP_3) | instskip(NEXT) | instid1(VALU_DEP_1)
	v_add3_u32 v3, v4, v3, v6
	v_add3_u32 v4, v5, v3, v7
	s_cbranch_scc1 .LBB96_58
; %bb.57:                               ;   in Loop: Header=BB96_24 Depth=2
	v_dual_mov_b32 v6, v22 :: v_dual_mov_b32 v7, v23
	s_branch .LBB96_24
.LBB96_58:                              ;   in Loop: Header=BB96_3 Depth=1
	s_load_b32 s0, s[12:13], 0x0
	s_waitcnt lgkmcnt(0)
	v_cmp_gt_i32_e32 vcc_lo, s0, v26
	s_and_b32 exec_lo, exec_lo, vcc_lo
	s_cbranch_execz .LBB96_2
; %bb.59:                               ;   in Loop: Header=BB96_3 Depth=1
	s_delay_alu instid0(VALU_DEP_2) | instskip(SKIP_1) | instid1(VALU_DEP_2)
	v_ashrrev_i32_e32 v5, 31, v4
	v_add_nc_u32_e32 v3, 1, v26
	v_lshlrev_b64 v[5:6], 1, v[4:5]
	s_delay_alu instid0(VALU_DEP_1) | instskip(NEXT) | instid1(VALU_DEP_2)
	v_add_co_u32 v5, vcc_lo, s2, v5
	v_add_co_ci_u32_e32 v6, vcc_lo, s3, v6, vcc_lo
	s_delay_alu instid0(VALU_DEP_4)
	v_cmp_gt_i32_e32 vcc_lo, s0, v3
	global_store_b16 v[5:6], v2, off
	s_and_b32 exec_lo, exec_lo, vcc_lo
	s_cbranch_execz .LBB96_2
; %bb.60:                               ;   in Loop: Header=BB96_3 Depth=1
	v_sub_nc_u32_e32 v5, v3, v25
	s_mov_b32 s14, exec_lo
	s_delay_alu instid0(VALU_DEP_1) | instskip(NEXT) | instid1(VALU_DEP_1)
	v_ashrrev_i32_e32 v6, 31, v5
	v_cmpx_gt_i64_e64 s[4:5], v[5:6]
	s_cbranch_execz .LBB96_62
; %bb.61:                               ;   in Loop: Header=BB96_3 Depth=1
	v_add_nc_u32_e32 v5, s40, v4
	s_delay_alu instid0(VALU_DEP_1) | instskip(NEXT) | instid1(VALU_DEP_1)
	v_ashrrev_i32_e32 v6, 31, v5
	v_lshlrev_b64 v[5:6], 1, v[5:6]
	s_delay_alu instid0(VALU_DEP_1) | instskip(NEXT) | instid1(VALU_DEP_2)
	v_add_co_u32 v5, vcc_lo, s2, v5
	v_add_co_ci_u32_e32 v6, vcc_lo, s3, v6, vcc_lo
	global_store_b16 v[5:6], v2, off
.LBB96_62:                              ;   in Loop: Header=BB96_3 Depth=1
	s_or_b32 exec_lo, exec_lo, s14
	v_add_nc_u32_e32 v3, 2, v26
	s_delay_alu instid0(VALU_DEP_1)
	v_cmp_gt_i32_e32 vcc_lo, s0, v3
	s_and_b32 exec_lo, exec_lo, vcc_lo
	s_cbranch_execz .LBB96_2
; %bb.63:                               ;   in Loop: Header=BB96_3 Depth=1
	v_sub_nc_u32_e32 v5, v3, v25
	s_mov_b32 s14, exec_lo
	s_delay_alu instid0(VALU_DEP_1) | instskip(NEXT) | instid1(VALU_DEP_1)
	v_ashrrev_i32_e32 v6, 31, v5
	v_cmpx_gt_i64_e64 s[4:5], v[5:6]
	s_cbranch_execz .LBB96_65
; %bb.64:                               ;   in Loop: Header=BB96_3 Depth=1
	v_lshl_add_u32 v5, s40, 1, v4
	s_delay_alu instid0(VALU_DEP_1) | instskip(NEXT) | instid1(VALU_DEP_1)
	v_ashrrev_i32_e32 v6, 31, v5
	v_lshlrev_b64 v[5:6], 1, v[5:6]
	s_delay_alu instid0(VALU_DEP_1) | instskip(NEXT) | instid1(VALU_DEP_2)
	v_add_co_u32 v5, vcc_lo, s2, v5
	v_add_co_ci_u32_e32 v6, vcc_lo, s3, v6, vcc_lo
	global_store_b16 v[5:6], v2, off
.LBB96_65:                              ;   in Loop: Header=BB96_3 Depth=1
	s_or_b32 exec_lo, exec_lo, s14
	v_add_nc_u32_e32 v3, 3, v26
	s_delay_alu instid0(VALU_DEP_1)
	v_cmp_gt_i32_e32 vcc_lo, s0, v3
	s_and_b32 exec_lo, exec_lo, vcc_lo
	s_cbranch_execz .LBB96_2
; %bb.66:                               ;   in Loop: Header=BB96_3 Depth=1
	v_sub_nc_u32_e32 v5, v3, v25
	s_delay_alu instid0(VALU_DEP_1) | instskip(NEXT) | instid1(VALU_DEP_1)
	v_ashrrev_i32_e32 v6, 31, v5
	v_cmp_gt_i64_e32 vcc_lo, s[4:5], v[5:6]
	s_and_b32 exec_lo, exec_lo, vcc_lo
	s_cbranch_execz .LBB96_2
; %bb.67:                               ;   in Loop: Header=BB96_3 Depth=1
	v_mad_u64_u32 v[5:6], null, s40, 3, v[4:5]
	s_delay_alu instid0(VALU_DEP_1) | instskip(NEXT) | instid1(VALU_DEP_1)
	v_ashrrev_i32_e32 v6, 31, v5
	v_lshlrev_b64 v[3:4], 1, v[5:6]
	s_delay_alu instid0(VALU_DEP_1) | instskip(NEXT) | instid1(VALU_DEP_2)
	v_add_co_u32 v3, vcc_lo, s2, v3
	v_add_co_ci_u32_e32 v4, vcc_lo, s3, v4, vcc_lo
	global_store_b16 v[3:4], v2, off
	s_branch .LBB96_2
.LBB96_68:
	s_nop 0
	s_sendmsg sendmsg(MSG_DEALLOC_VGPRS)
	s_endpgm
	.section	.rodata,"a",@progbits
	.p2align	6, 0x0
	.amdhsa_kernel _ZN2at6native16triu_tril_kernelIN3c108BFloat16EiLb1ELi4ELb1EEEvNS_4cuda6detail10TensorInfoIT_T0_EENS6_IKS7_S8_EEllS8_
		.amdhsa_group_segment_fixed_size 0
		.amdhsa_private_segment_fixed_size 0
		.amdhsa_kernarg_size 712
		.amdhsa_user_sgpr_count 15
		.amdhsa_user_sgpr_dispatch_ptr 0
		.amdhsa_user_sgpr_queue_ptr 0
		.amdhsa_user_sgpr_kernarg_segment_ptr 1
		.amdhsa_user_sgpr_dispatch_id 0
		.amdhsa_user_sgpr_private_segment_size 0
		.amdhsa_wavefront_size32 1
		.amdhsa_uses_dynamic_stack 0
		.amdhsa_enable_private_segment 0
		.amdhsa_system_sgpr_workgroup_id_x 1
		.amdhsa_system_sgpr_workgroup_id_y 0
		.amdhsa_system_sgpr_workgroup_id_z 0
		.amdhsa_system_sgpr_workgroup_info 0
		.amdhsa_system_vgpr_workitem_id 0
		.amdhsa_next_free_vgpr 31
		.amdhsa_next_free_sgpr 56
		.amdhsa_reserve_vcc 1
		.amdhsa_float_round_mode_32 0
		.amdhsa_float_round_mode_16_64 0
		.amdhsa_float_denorm_mode_32 3
		.amdhsa_float_denorm_mode_16_64 3
		.amdhsa_dx10_clamp 1
		.amdhsa_ieee_mode 1
		.amdhsa_fp16_overflow 0
		.amdhsa_workgroup_processor_mode 1
		.amdhsa_memory_ordered 1
		.amdhsa_forward_progress 0
		.amdhsa_shared_vgpr_count 0
		.amdhsa_exception_fp_ieee_invalid_op 0
		.amdhsa_exception_fp_denorm_src 0
		.amdhsa_exception_fp_ieee_div_zero 0
		.amdhsa_exception_fp_ieee_overflow 0
		.amdhsa_exception_fp_ieee_underflow 0
		.amdhsa_exception_fp_ieee_inexact 0
		.amdhsa_exception_int_div_zero 0
	.end_amdhsa_kernel
	.section	.text._ZN2at6native16triu_tril_kernelIN3c108BFloat16EiLb1ELi4ELb1EEEvNS_4cuda6detail10TensorInfoIT_T0_EENS6_IKS7_S8_EEllS8_,"axG",@progbits,_ZN2at6native16triu_tril_kernelIN3c108BFloat16EiLb1ELi4ELb1EEEvNS_4cuda6detail10TensorInfoIT_T0_EENS6_IKS7_S8_EEllS8_,comdat
.Lfunc_end96:
	.size	_ZN2at6native16triu_tril_kernelIN3c108BFloat16EiLb1ELi4ELb1EEEvNS_4cuda6detail10TensorInfoIT_T0_EENS6_IKS7_S8_EEllS8_, .Lfunc_end96-_ZN2at6native16triu_tril_kernelIN3c108BFloat16EiLb1ELi4ELb1EEEvNS_4cuda6detail10TensorInfoIT_T0_EENS6_IKS7_S8_EEllS8_
                                        ; -- End function
	.section	.AMDGPU.csdata,"",@progbits
; Kernel info:
; codeLenInByte = 12580
; NumSgprs: 58
; NumVgprs: 31
; ScratchSize: 0
; MemoryBound: 0
; FloatMode: 240
; IeeeMode: 1
; LDSByteSize: 0 bytes/workgroup (compile time only)
; SGPRBlocks: 7
; VGPRBlocks: 3
; NumSGPRsForWavesPerEU: 58
; NumVGPRsForWavesPerEU: 31
; Occupancy: 16
; WaveLimiterHint : 0
; COMPUTE_PGM_RSRC2:SCRATCH_EN: 0
; COMPUTE_PGM_RSRC2:USER_SGPR: 15
; COMPUTE_PGM_RSRC2:TRAP_HANDLER: 0
; COMPUTE_PGM_RSRC2:TGID_X_EN: 1
; COMPUTE_PGM_RSRC2:TGID_Y_EN: 0
; COMPUTE_PGM_RSRC2:TGID_Z_EN: 0
; COMPUTE_PGM_RSRC2:TIDIG_COMP_CNT: 0
	.section	.text._ZN2at6native16triu_tril_kernelIN3c108BFloat16EiLb1ELi4ELb0EEEvNS_4cuda6detail10TensorInfoIT_T0_EENS6_IKS7_S8_EEllS8_,"axG",@progbits,_ZN2at6native16triu_tril_kernelIN3c108BFloat16EiLb1ELi4ELb0EEEvNS_4cuda6detail10TensorInfoIT_T0_EENS6_IKS7_S8_EEllS8_,comdat
	.protected	_ZN2at6native16triu_tril_kernelIN3c108BFloat16EiLb1ELi4ELb0EEEvNS_4cuda6detail10TensorInfoIT_T0_EENS6_IKS7_S8_EEllS8_ ; -- Begin function _ZN2at6native16triu_tril_kernelIN3c108BFloat16EiLb1ELi4ELb0EEEvNS_4cuda6detail10TensorInfoIT_T0_EENS6_IKS7_S8_EEllS8_
	.globl	_ZN2at6native16triu_tril_kernelIN3c108BFloat16EiLb1ELi4ELb0EEEvNS_4cuda6detail10TensorInfoIT_T0_EENS6_IKS7_S8_EEllS8_
	.p2align	8
	.type	_ZN2at6native16triu_tril_kernelIN3c108BFloat16EiLb1ELi4ELb0EEEvNS_4cuda6detail10TensorInfoIT_T0_EENS6_IKS7_S8_EEllS8_,@function
_ZN2at6native16triu_tril_kernelIN3c108BFloat16EiLb1ELi4ELb0EEEvNS_4cuda6detail10TensorInfoIT_T0_EENS6_IKS7_S8_EEllS8_: ; @_ZN2at6native16triu_tril_kernelIN3c108BFloat16EiLb1ELi4ELb0EEEvNS_4cuda6detail10TensorInfoIT_T0_EENS6_IKS7_S8_EEllS8_
; %bb.0:
	s_clause 0x1
	s_load_b32 s2, s[0:1], 0x1d4
	s_load_b128 s[4:7], s[0:1], 0x1b0
	v_mov_b32_e32 v2, 0
	s_add_u32 s8, s0, 0x1c8
	s_addc_u32 s9, s1, 0
	s_delay_alu instid0(VALU_DEP_1) | instskip(SKIP_3) | instid1(VALU_DEP_1)
	v_mov_b32_e32 v1, v2
	s_waitcnt lgkmcnt(0)
	s_and_b32 s10, s2, 0xffff
	s_mov_b32 s2, exec_lo
	v_mad_u64_u32 v[3:4], null, s10, s15, v[0:1]
	s_delay_alu instid0(VALU_DEP_1) | instskip(NEXT) | instid1(VALU_DEP_1)
	v_lshlrev_b64 v[0:1], 2, v[3:4]
	v_cmpx_gt_i64_e64 s[6:7], v[0:1]
	s_cbranch_execz .LBB97_55
; %bb.1:
	s_clause 0x1
	s_load_b32 s16, s[0:1], 0x1a8
	s_load_b32 s30, s[0:1], 0x1c0
	s_add_u32 s31, s0, 0xd8
	s_addc_u32 s33, s1, 0
	s_load_b32 s11, s[8:9], 0x0
	s_load_b64 s[2:3], s[0:1], 0xd8
	s_waitcnt lgkmcnt(0)
	s_ashr_i32 s17, s16, 31
	s_ashr_i32 s34, s30, 31
	s_lshl_b64 s[8:9], s[16:17], 2
	v_cvt_f32_u32_e32 v3, s30
	s_add_u32 s14, s8, -8
	s_addc_u32 s15, s9, -1
	s_add_u32 s12, s31, s14
	s_addc_u32 s13, s33, s15
	v_rcp_iflag_f32_e32 v3, v3
	s_load_b64 s[8:9], s[12:13], 0x8
	s_mul_i32 s18, s11, s10
	s_load_b64 s[10:11], s[12:13], 0x6c
	s_waitcnt_depctr 0xfff
	v_mul_f32_e32 v3, 0x4f7ffffe, v3
	s_delay_alu instid0(VALU_DEP_1)
	v_cvt_u32_f32_e32 v3, v3
	s_waitcnt lgkmcnt(0)
	s_ashr_i32 s35, s8, 31
	s_add_u32 s36, s0, 0x6c
	s_addc_u32 s37, s1, 0
	s_add_u32 s12, s36, s14
	s_addc_u32 s13, s37, s15
	s_and_b32 s39, s16, 3
	s_add_i32 s38, s16, -3
	s_lshl_b32 s40, s18, 2
	s_cmp_lg_u32 s39, 2
	s_load_b64 s[12:13], s[12:13], 0x0
	s_cselect_b32 s41, -1, 0
	s_cmp_gt_u32 s38, 2
	s_mov_b32 s18, s11
	s_cselect_b32 s42, -1, 0
	s_sub_i32 s14, 0, s30
	s_ashr_i32 s19, s11, 31
	v_mul_lo_u32 v4, s14, v3
	s_load_b64 s[14:15], s[0:1], 0x0
	v_cmp_gt_i64_e64 s1, s[16:17], 2
	s_mov_b32 s17, 0
	s_mov_b32 s11, 0
	s_delay_alu instid0(VALU_DEP_2) | instskip(SKIP_3) | instid1(VALU_DEP_1)
	v_mul_hi_u32 v4, v3, v4
	s_waitcnt lgkmcnt(0)
	s_ashr_i32 s21, s13, 31
	s_mov_b32 s20, s13
	v_add_nc_u32_e32 v18, v3, v4
	s_branch .LBB97_3
.LBB97_2:                               ;   in Loop: Header=BB97_3 Depth=1
	s_or_b32 exec_lo, exec_lo, s0
	v_add_co_u32 v0, vcc_lo, v0, s40
	v_add_co_ci_u32_e32 v1, vcc_lo, 0, v1, vcc_lo
	s_delay_alu instid0(VALU_DEP_1) | instskip(SKIP_1) | instid1(SALU_CYCLE_1)
	v_cmp_le_i64_e32 vcc_lo, s[6:7], v[0:1]
	s_or_b32 s11, vcc_lo, s11
	s_and_not1_b32 exec_lo, exec_lo, s11
	s_cbranch_execz .LBB97_55
.LBB97_3:                               ; =>This Loop Header: Depth=1
                                        ;     Child Loop BB97_14 Depth 2
                                        ;     Child Loop BB97_22 Depth 2
	v_or_b32_e32 v3, s34, v1
                                        ; implicit-def: $vgpr4_vgpr5
	s_mov_b32 s0, exec_lo
	s_delay_alu instid0(VALU_DEP_1)
	v_cmpx_ne_u64_e32 0, v[2:3]
	s_xor_b32 s13, exec_lo, s0
	s_cbranch_execz .LBB97_5
; %bb.4:                                ;   in Loop: Header=BB97_3 Depth=1
	s_add_u32 s24, s30, s34
	s_mov_b32 s22, s34
	s_mov_b32 s23, s34
	s_addc_u32 s25, s34, s34
	s_delay_alu instid0(SALU_CYCLE_1) | instskip(NEXT) | instid1(SALU_CYCLE_1)
	s_xor_b64 s[24:25], s[24:25], s[22:23]
	v_cvt_f32_u32_e32 v3, s24
	v_cvt_f32_u32_e32 v4, s25
	s_sub_u32 s0, 0, s24
	s_subb_u32 s16, 0, s25
	s_delay_alu instid0(VALU_DEP_1) | instskip(NEXT) | instid1(VALU_DEP_1)
	v_fmac_f32_e32 v3, 0x4f800000, v4
	v_rcp_f32_e32 v3, v3
	s_waitcnt_depctr 0xfff
	v_mul_f32_e32 v3, 0x5f7ffffc, v3
	s_delay_alu instid0(VALU_DEP_1) | instskip(NEXT) | instid1(VALU_DEP_1)
	v_mul_f32_e32 v4, 0x2f800000, v3
	v_trunc_f32_e32 v4, v4
	s_delay_alu instid0(VALU_DEP_1) | instskip(SKIP_1) | instid1(VALU_DEP_2)
	v_fmac_f32_e32 v3, 0xcf800000, v4
	v_cvt_u32_f32_e32 v4, v4
	v_cvt_u32_f32_e32 v3, v3
	s_delay_alu instid0(VALU_DEP_2) | instskip(NEXT) | instid1(VALU_DEP_2)
	v_mul_lo_u32 v5, s0, v4
	v_mul_hi_u32 v6, s0, v3
	v_mul_lo_u32 v7, s16, v3
	s_delay_alu instid0(VALU_DEP_2) | instskip(SKIP_1) | instid1(VALU_DEP_2)
	v_add_nc_u32_e32 v5, v6, v5
	v_mul_lo_u32 v6, s0, v3
	v_add_nc_u32_e32 v5, v5, v7
	s_delay_alu instid0(VALU_DEP_2) | instskip(NEXT) | instid1(VALU_DEP_2)
	v_mul_hi_u32 v7, v3, v6
	v_mul_lo_u32 v8, v3, v5
	v_mul_hi_u32 v9, v3, v5
	v_mul_hi_u32 v10, v4, v6
	v_mul_lo_u32 v6, v4, v6
	v_mul_hi_u32 v11, v4, v5
	v_mul_lo_u32 v5, v4, v5
	v_add_co_u32 v7, vcc_lo, v7, v8
	v_add_co_ci_u32_e32 v8, vcc_lo, 0, v9, vcc_lo
	s_delay_alu instid0(VALU_DEP_2) | instskip(NEXT) | instid1(VALU_DEP_2)
	v_add_co_u32 v6, vcc_lo, v7, v6
	v_add_co_ci_u32_e32 v6, vcc_lo, v8, v10, vcc_lo
	v_add_co_ci_u32_e32 v7, vcc_lo, 0, v11, vcc_lo
	v_ashrrev_i32_e32 v10, 31, v1
	s_delay_alu instid0(VALU_DEP_3) | instskip(NEXT) | instid1(VALU_DEP_3)
	v_add_co_u32 v5, vcc_lo, v6, v5
	v_add_co_ci_u32_e32 v6, vcc_lo, 0, v7, vcc_lo
	s_delay_alu instid0(VALU_DEP_2) | instskip(NEXT) | instid1(VALU_DEP_2)
	v_add_co_u32 v3, vcc_lo, v3, v5
	v_add_co_ci_u32_e32 v4, vcc_lo, v4, v6, vcc_lo
	s_delay_alu instid0(VALU_DEP_2) | instskip(SKIP_1) | instid1(VALU_DEP_3)
	v_mul_hi_u32 v5, s0, v3
	v_mul_lo_u32 v7, s16, v3
	v_mul_lo_u32 v6, s0, v4
	s_delay_alu instid0(VALU_DEP_1) | instskip(SKIP_1) | instid1(VALU_DEP_2)
	v_add_nc_u32_e32 v5, v5, v6
	v_mul_lo_u32 v6, s0, v3
	v_add_nc_u32_e32 v5, v5, v7
	s_delay_alu instid0(VALU_DEP_2) | instskip(NEXT) | instid1(VALU_DEP_2)
	v_mul_hi_u32 v7, v3, v6
	v_mul_lo_u32 v8, v3, v5
	v_mul_hi_u32 v9, v3, v5
	v_mul_hi_u32 v11, v4, v6
	v_mul_lo_u32 v6, v4, v6
	v_mul_hi_u32 v12, v4, v5
	v_mul_lo_u32 v5, v4, v5
	v_add_co_u32 v7, vcc_lo, v7, v8
	v_add_co_ci_u32_e32 v8, vcc_lo, 0, v9, vcc_lo
	s_delay_alu instid0(VALU_DEP_2) | instskip(NEXT) | instid1(VALU_DEP_2)
	v_add_co_u32 v6, vcc_lo, v7, v6
	v_add_co_ci_u32_e32 v6, vcc_lo, v8, v11, vcc_lo
	v_add_co_ci_u32_e32 v7, vcc_lo, 0, v12, vcc_lo
	v_add_co_u32 v8, vcc_lo, v0, v10
	v_add_co_ci_u32_e32 v9, vcc_lo, v1, v10, vcc_lo
	s_delay_alu instid0(VALU_DEP_4) | instskip(NEXT) | instid1(VALU_DEP_4)
	v_add_co_u32 v5, vcc_lo, v6, v5
	v_add_co_ci_u32_e32 v6, vcc_lo, 0, v7, vcc_lo
	s_delay_alu instid0(VALU_DEP_4) | instskip(NEXT) | instid1(VALU_DEP_3)
	v_xor_b32_e32 v11, v8, v10
	v_add_co_u32 v7, vcc_lo, v3, v5
	s_delay_alu instid0(VALU_DEP_3) | instskip(SKIP_1) | instid1(VALU_DEP_3)
	v_add_co_ci_u32_e32 v12, vcc_lo, v4, v6, vcc_lo
	v_xor_b32_e32 v9, v9, v10
	v_mul_hi_u32 v13, v11, v7
	s_delay_alu instid0(VALU_DEP_3) | instskip(NEXT) | instid1(VALU_DEP_3)
	v_mad_u64_u32 v[3:4], null, v11, v12, 0
	v_mad_u64_u32 v[5:6], null, v9, v7, 0
	;; [unrolled: 1-line block ×3, first 2 shown]
	s_delay_alu instid0(VALU_DEP_3) | instskip(NEXT) | instid1(VALU_DEP_4)
	v_add_co_u32 v3, vcc_lo, v13, v3
	v_add_co_ci_u32_e32 v4, vcc_lo, 0, v4, vcc_lo
	s_delay_alu instid0(VALU_DEP_2) | instskip(NEXT) | instid1(VALU_DEP_2)
	v_add_co_u32 v3, vcc_lo, v3, v5
	v_add_co_ci_u32_e32 v3, vcc_lo, v4, v6, vcc_lo
	v_add_co_ci_u32_e32 v4, vcc_lo, 0, v8, vcc_lo
	s_delay_alu instid0(VALU_DEP_2) | instskip(NEXT) | instid1(VALU_DEP_2)
	v_add_co_u32 v5, vcc_lo, v3, v7
	v_add_co_ci_u32_e32 v6, vcc_lo, 0, v4, vcc_lo
	s_delay_alu instid0(VALU_DEP_2) | instskip(SKIP_1) | instid1(VALU_DEP_3)
	v_mul_lo_u32 v7, s25, v5
	v_mad_u64_u32 v[3:4], null, s24, v5, 0
	v_mul_lo_u32 v8, s24, v6
	s_delay_alu instid0(VALU_DEP_2) | instskip(NEXT) | instid1(VALU_DEP_2)
	v_sub_co_u32 v3, vcc_lo, v11, v3
	v_add3_u32 v4, v4, v8, v7
	s_delay_alu instid0(VALU_DEP_1) | instskip(NEXT) | instid1(VALU_DEP_1)
	v_sub_nc_u32_e32 v7, v9, v4
	v_subrev_co_ci_u32_e64 v7, s0, s25, v7, vcc_lo
	v_add_co_u32 v8, s0, v5, 2
	s_delay_alu instid0(VALU_DEP_1) | instskip(SKIP_3) | instid1(VALU_DEP_3)
	v_add_co_ci_u32_e64 v11, s0, 0, v6, s0
	v_sub_co_u32 v12, s0, v3, s24
	v_sub_co_ci_u32_e32 v4, vcc_lo, v9, v4, vcc_lo
	v_subrev_co_ci_u32_e64 v7, s0, 0, v7, s0
	v_cmp_le_u32_e32 vcc_lo, s24, v12
	s_delay_alu instid0(VALU_DEP_3) | instskip(SKIP_1) | instid1(VALU_DEP_4)
	v_cmp_eq_u32_e64 s0, s25, v4
	v_cndmask_b32_e64 v9, 0, -1, vcc_lo
	v_cmp_le_u32_e32 vcc_lo, s25, v7
	v_cndmask_b32_e64 v12, 0, -1, vcc_lo
	v_cmp_le_u32_e32 vcc_lo, s24, v3
	;; [unrolled: 2-line block ×3, first 2 shown]
	v_cndmask_b32_e64 v13, 0, -1, vcc_lo
	v_cmp_eq_u32_e32 vcc_lo, s25, v7
	s_delay_alu instid0(VALU_DEP_2) | instskip(SKIP_3) | instid1(VALU_DEP_3)
	v_cndmask_b32_e64 v3, v13, v3, s0
	v_cndmask_b32_e32 v7, v12, v9, vcc_lo
	v_add_co_u32 v9, vcc_lo, v5, 1
	v_add_co_ci_u32_e32 v12, vcc_lo, 0, v6, vcc_lo
	v_cmp_ne_u32_e32 vcc_lo, 0, v7
	s_delay_alu instid0(VALU_DEP_2) | instskip(SKIP_2) | instid1(VALU_DEP_3)
	v_dual_cndmask_b32 v4, v12, v11 :: v_dual_cndmask_b32 v7, v9, v8
	v_cmp_ne_u32_e32 vcc_lo, 0, v3
	v_xor_b32_e32 v3, s22, v10
	v_dual_cndmask_b32 v5, v5, v7 :: v_dual_cndmask_b32 v4, v6, v4
	v_xor_b32_e32 v6, s23, v10
	s_delay_alu instid0(VALU_DEP_2) | instskip(NEXT) | instid1(VALU_DEP_2)
	v_xor_b32_e32 v5, v5, v3
	v_xor_b32_e32 v7, v4, v6
	s_delay_alu instid0(VALU_DEP_2) | instskip(NEXT) | instid1(VALU_DEP_2)
	v_sub_co_u32 v4, vcc_lo, v5, v3
	v_sub_co_ci_u32_e32 v5, vcc_lo, v7, v6, vcc_lo
.LBB97_5:                               ;   in Loop: Header=BB97_3 Depth=1
	s_and_not1_saveexec_b32 s0, s13
; %bb.6:                                ;   in Loop: Header=BB97_3 Depth=1
	v_mul_hi_u32 v3, v0, v18
	s_delay_alu instid0(VALU_DEP_1) | instskip(NEXT) | instid1(VALU_DEP_1)
	v_mul_lo_u32 v4, v3, s30
	v_sub_nc_u32_e32 v4, v0, v4
	s_delay_alu instid0(VALU_DEP_1) | instskip(SKIP_1) | instid1(VALU_DEP_2)
	v_subrev_nc_u32_e32 v6, s30, v4
	v_cmp_le_u32_e32 vcc_lo, s30, v4
	v_dual_cndmask_b32 v4, v4, v6 :: v_dual_add_nc_u32 v5, 1, v3
	s_delay_alu instid0(VALU_DEP_1) | instskip(NEXT) | instid1(VALU_DEP_2)
	v_cndmask_b32_e32 v3, v3, v5, vcc_lo
	v_cmp_le_u32_e32 vcc_lo, s30, v4
	s_delay_alu instid0(VALU_DEP_2) | instskip(NEXT) | instid1(VALU_DEP_1)
	v_add_nc_u32_e32 v5, 1, v3
	v_dual_cndmask_b32 v4, v3, v5 :: v_dual_mov_b32 v5, v2
; %bb.7:                                ;   in Loop: Header=BB97_3 Depth=1
	s_or_b32 exec_lo, exec_lo, s0
	s_delay_alu instid0(VALU_DEP_1) | instskip(SKIP_1) | instid1(VALU_DEP_1)
	v_or_b32_e32 v3, s35, v5
                                        ; implicit-def: $vgpr8_vgpr9
	s_mov_b32 s0, exec_lo
	v_cmpx_ne_u64_e32 0, v[2:3]
	s_xor_b32 s13, exec_lo, s0
	s_cbranch_execz .LBB97_9
; %bb.8:                                ;   in Loop: Header=BB97_3 Depth=1
	s_add_u32 s24, s8, s35
	s_mov_b32 s22, s35
	s_mov_b32 s23, s35
	s_addc_u32 s25, s35, s35
	s_delay_alu instid0(SALU_CYCLE_1) | instskip(NEXT) | instid1(SALU_CYCLE_1)
	s_xor_b64 s[24:25], s[24:25], s[22:23]
	v_cvt_f32_u32_e32 v3, s24
	v_cvt_f32_u32_e32 v6, s25
	s_sub_u32 s0, 0, s24
	s_subb_u32 s16, 0, s25
	s_delay_alu instid0(VALU_DEP_1) | instskip(NEXT) | instid1(VALU_DEP_1)
	v_fmac_f32_e32 v3, 0x4f800000, v6
	v_rcp_f32_e32 v3, v3
	s_waitcnt_depctr 0xfff
	v_mul_f32_e32 v3, 0x5f7ffffc, v3
	s_delay_alu instid0(VALU_DEP_1) | instskip(NEXT) | instid1(VALU_DEP_1)
	v_mul_f32_e32 v6, 0x2f800000, v3
	v_trunc_f32_e32 v6, v6
	s_delay_alu instid0(VALU_DEP_1) | instskip(SKIP_1) | instid1(VALU_DEP_2)
	v_fmac_f32_e32 v3, 0xcf800000, v6
	v_cvt_u32_f32_e32 v6, v6
	v_cvt_u32_f32_e32 v3, v3
	s_delay_alu instid0(VALU_DEP_2) | instskip(NEXT) | instid1(VALU_DEP_2)
	v_mul_lo_u32 v7, s0, v6
	v_mul_hi_u32 v8, s0, v3
	v_mul_lo_u32 v9, s16, v3
	s_delay_alu instid0(VALU_DEP_2) | instskip(SKIP_1) | instid1(VALU_DEP_2)
	v_add_nc_u32_e32 v7, v8, v7
	v_mul_lo_u32 v8, s0, v3
	v_add_nc_u32_e32 v7, v7, v9
	s_delay_alu instid0(VALU_DEP_2) | instskip(NEXT) | instid1(VALU_DEP_2)
	v_mul_hi_u32 v9, v3, v8
	v_mul_lo_u32 v10, v3, v7
	v_mul_hi_u32 v11, v3, v7
	v_mul_hi_u32 v12, v6, v8
	v_mul_lo_u32 v8, v6, v8
	v_mul_hi_u32 v13, v6, v7
	v_mul_lo_u32 v7, v6, v7
	v_add_co_u32 v9, vcc_lo, v9, v10
	v_add_co_ci_u32_e32 v10, vcc_lo, 0, v11, vcc_lo
	s_delay_alu instid0(VALU_DEP_2) | instskip(NEXT) | instid1(VALU_DEP_2)
	v_add_co_u32 v8, vcc_lo, v9, v8
	v_add_co_ci_u32_e32 v8, vcc_lo, v10, v12, vcc_lo
	v_add_co_ci_u32_e32 v9, vcc_lo, 0, v13, vcc_lo
	v_ashrrev_i32_e32 v12, 31, v5
	s_delay_alu instid0(VALU_DEP_3) | instskip(NEXT) | instid1(VALU_DEP_3)
	v_add_co_u32 v7, vcc_lo, v8, v7
	v_add_co_ci_u32_e32 v8, vcc_lo, 0, v9, vcc_lo
	s_delay_alu instid0(VALU_DEP_2) | instskip(NEXT) | instid1(VALU_DEP_2)
	v_add_co_u32 v3, vcc_lo, v3, v7
	v_add_co_ci_u32_e32 v6, vcc_lo, v6, v8, vcc_lo
	s_delay_alu instid0(VALU_DEP_2) | instskip(SKIP_1) | instid1(VALU_DEP_3)
	v_mul_hi_u32 v7, s0, v3
	v_mul_lo_u32 v9, s16, v3
	v_mul_lo_u32 v8, s0, v6
	s_delay_alu instid0(VALU_DEP_1) | instskip(SKIP_1) | instid1(VALU_DEP_2)
	v_add_nc_u32_e32 v7, v7, v8
	v_mul_lo_u32 v8, s0, v3
	v_add_nc_u32_e32 v7, v7, v9
	s_delay_alu instid0(VALU_DEP_2) | instskip(NEXT) | instid1(VALU_DEP_2)
	v_mul_hi_u32 v9, v3, v8
	v_mul_lo_u32 v10, v3, v7
	v_mul_hi_u32 v11, v3, v7
	v_mul_hi_u32 v13, v6, v8
	v_mul_lo_u32 v8, v6, v8
	v_mul_hi_u32 v14, v6, v7
	v_mul_lo_u32 v7, v6, v7
	v_add_co_u32 v9, vcc_lo, v9, v10
	v_add_co_ci_u32_e32 v10, vcc_lo, 0, v11, vcc_lo
	s_delay_alu instid0(VALU_DEP_2) | instskip(NEXT) | instid1(VALU_DEP_2)
	v_add_co_u32 v8, vcc_lo, v9, v8
	v_add_co_ci_u32_e32 v8, vcc_lo, v10, v13, vcc_lo
	v_add_co_ci_u32_e32 v9, vcc_lo, 0, v14, vcc_lo
	v_add_co_u32 v10, vcc_lo, v4, v12
	v_add_co_ci_u32_e32 v5, vcc_lo, v5, v12, vcc_lo
	s_delay_alu instid0(VALU_DEP_4) | instskip(NEXT) | instid1(VALU_DEP_4)
	v_add_co_u32 v7, vcc_lo, v8, v7
	v_add_co_ci_u32_e32 v8, vcc_lo, 0, v9, vcc_lo
	s_delay_alu instid0(VALU_DEP_4) | instskip(NEXT) | instid1(VALU_DEP_3)
	v_xor_b32_e32 v11, v10, v12
	v_add_co_u32 v3, vcc_lo, v3, v7
	s_delay_alu instid0(VALU_DEP_3) | instskip(SKIP_1) | instid1(VALU_DEP_3)
	v_add_co_ci_u32_e32 v13, vcc_lo, v6, v8, vcc_lo
	v_xor_b32_e32 v14, v5, v12
	v_mul_hi_u32 v15, v11, v3
	s_delay_alu instid0(VALU_DEP_3) | instskip(NEXT) | instid1(VALU_DEP_3)
	v_mad_u64_u32 v[5:6], null, v11, v13, 0
	v_mad_u64_u32 v[7:8], null, v14, v3, 0
	;; [unrolled: 1-line block ×3, first 2 shown]
	s_delay_alu instid0(VALU_DEP_3) | instskip(NEXT) | instid1(VALU_DEP_4)
	v_add_co_u32 v3, vcc_lo, v15, v5
	v_add_co_ci_u32_e32 v5, vcc_lo, 0, v6, vcc_lo
	s_delay_alu instid0(VALU_DEP_2) | instskip(NEXT) | instid1(VALU_DEP_2)
	v_add_co_u32 v3, vcc_lo, v3, v7
	v_add_co_ci_u32_e32 v3, vcc_lo, v5, v8, vcc_lo
	v_add_co_ci_u32_e32 v5, vcc_lo, 0, v10, vcc_lo
	s_delay_alu instid0(VALU_DEP_2) | instskip(NEXT) | instid1(VALU_DEP_2)
	v_add_co_u32 v3, vcc_lo, v3, v9
	v_add_co_ci_u32_e32 v7, vcc_lo, 0, v5, vcc_lo
	s_delay_alu instid0(VALU_DEP_2) | instskip(SKIP_1) | instid1(VALU_DEP_3)
	v_mul_lo_u32 v8, s25, v3
	v_mad_u64_u32 v[5:6], null, s24, v3, 0
	v_mul_lo_u32 v9, s24, v7
	s_delay_alu instid0(VALU_DEP_2) | instskip(NEXT) | instid1(VALU_DEP_2)
	v_sub_co_u32 v5, vcc_lo, v11, v5
	v_add3_u32 v6, v6, v9, v8
	s_delay_alu instid0(VALU_DEP_1) | instskip(NEXT) | instid1(VALU_DEP_1)
	v_sub_nc_u32_e32 v8, v14, v6
	v_subrev_co_ci_u32_e64 v8, s0, s25, v8, vcc_lo
	v_add_co_u32 v9, s0, v3, 2
	s_delay_alu instid0(VALU_DEP_1) | instskip(SKIP_3) | instid1(VALU_DEP_3)
	v_add_co_ci_u32_e64 v10, s0, 0, v7, s0
	v_sub_co_u32 v11, s0, v5, s24
	v_sub_co_ci_u32_e32 v6, vcc_lo, v14, v6, vcc_lo
	v_subrev_co_ci_u32_e64 v8, s0, 0, v8, s0
	v_cmp_le_u32_e32 vcc_lo, s24, v11
	s_delay_alu instid0(VALU_DEP_3) | instskip(SKIP_1) | instid1(VALU_DEP_4)
	v_cmp_eq_u32_e64 s0, s25, v6
	v_cndmask_b32_e64 v11, 0, -1, vcc_lo
	v_cmp_le_u32_e32 vcc_lo, s25, v8
	v_cndmask_b32_e64 v13, 0, -1, vcc_lo
	v_cmp_le_u32_e32 vcc_lo, s24, v5
	;; [unrolled: 2-line block ×3, first 2 shown]
	v_cndmask_b32_e64 v14, 0, -1, vcc_lo
	v_cmp_eq_u32_e32 vcc_lo, s25, v8
	s_delay_alu instid0(VALU_DEP_2) | instskip(SKIP_3) | instid1(VALU_DEP_3)
	v_cndmask_b32_e64 v5, v14, v5, s0
	v_cndmask_b32_e32 v8, v13, v11, vcc_lo
	v_add_co_u32 v11, vcc_lo, v3, 1
	v_add_co_ci_u32_e32 v13, vcc_lo, 0, v7, vcc_lo
	v_cmp_ne_u32_e32 vcc_lo, 0, v8
	s_delay_alu instid0(VALU_DEP_3) | instskip(NEXT) | instid1(VALU_DEP_3)
	v_cndmask_b32_e32 v8, v11, v9, vcc_lo
	v_cndmask_b32_e32 v6, v13, v10, vcc_lo
	v_cmp_ne_u32_e32 vcc_lo, 0, v5
	v_xor_b32_e32 v5, s22, v12
	s_delay_alu instid0(VALU_DEP_4) | instskip(NEXT) | instid1(VALU_DEP_4)
	v_cndmask_b32_e32 v3, v3, v8, vcc_lo
	v_cndmask_b32_e32 v6, v7, v6, vcc_lo
	v_xor_b32_e32 v7, s23, v12
	s_delay_alu instid0(VALU_DEP_3) | instskip(NEXT) | instid1(VALU_DEP_2)
	v_xor_b32_e32 v3, v3, v5
	v_xor_b32_e32 v6, v6, v7
	s_delay_alu instid0(VALU_DEP_2) | instskip(NEXT) | instid1(VALU_DEP_2)
	v_sub_co_u32 v8, vcc_lo, v3, v5
	v_sub_co_ci_u32_e32 v9, vcc_lo, v6, v7, vcc_lo
.LBB97_9:                               ;   in Loop: Header=BB97_3 Depth=1
	s_and_not1_saveexec_b32 s0, s13
	s_cbranch_execz .LBB97_11
; %bb.10:                               ;   in Loop: Header=BB97_3 Depth=1
	v_cvt_f32_u32_e32 v3, s8
	s_sub_i32 s13, 0, s8
	v_mov_b32_e32 v9, v2
	s_delay_alu instid0(VALU_DEP_2) | instskip(SKIP_2) | instid1(VALU_DEP_1)
	v_rcp_iflag_f32_e32 v3, v3
	s_waitcnt_depctr 0xfff
	v_mul_f32_e32 v3, 0x4f7ffffe, v3
	v_cvt_u32_f32_e32 v3, v3
	s_delay_alu instid0(VALU_DEP_1) | instskip(NEXT) | instid1(VALU_DEP_1)
	v_mul_lo_u32 v5, s13, v3
	v_mul_hi_u32 v5, v3, v5
	s_delay_alu instid0(VALU_DEP_1) | instskip(NEXT) | instid1(VALU_DEP_1)
	v_add_nc_u32_e32 v3, v3, v5
	v_mul_hi_u32 v3, v4, v3
	s_delay_alu instid0(VALU_DEP_1) | instskip(SKIP_1) | instid1(VALU_DEP_2)
	v_mul_lo_u32 v5, v3, s8
	v_add_nc_u32_e32 v6, 1, v3
	v_sub_nc_u32_e32 v5, v4, v5
	s_delay_alu instid0(VALU_DEP_1) | instskip(SKIP_1) | instid1(VALU_DEP_4)
	v_cmp_le_u32_e32 vcc_lo, s8, v5
	v_subrev_nc_u32_e32 v7, s8, v5
	v_cndmask_b32_e32 v3, v3, v6, vcc_lo
	s_delay_alu instid0(VALU_DEP_1) | instskip(NEXT) | instid1(VALU_DEP_3)
	v_add_nc_u32_e32 v6, 1, v3
	v_cndmask_b32_e32 v5, v5, v7, vcc_lo
	s_delay_alu instid0(VALU_DEP_1) | instskip(NEXT) | instid1(VALU_DEP_3)
	v_cmp_le_u32_e32 vcc_lo, s8, v5
	v_cndmask_b32_e32 v8, v3, v6, vcc_lo
.LBB97_11:                              ;   in Loop: Header=BB97_3 Depth=1
	s_or_b32 exec_lo, exec_lo, s0
	v_mad_u64_u32 v[5:6], null, v4, s30, 0
	s_delay_alu instid0(VALU_DEP_2) | instskip(SKIP_1) | instid1(VALU_DEP_2)
	v_mad_u64_u32 v[6:7], null, v8, s8, 0
	s_and_not1_b32 vcc_lo, exec_lo, s1
	v_sub_co_u32 v19, null, v0, v5
	s_delay_alu instid0(VALU_DEP_2) | instskip(NEXT) | instid1(VALU_DEP_2)
	v_sub_co_u32 v20, null, v4, v6
	v_mul_lo_u32 v3, s18, v19
	v_mul_lo_u32 v10, s20, v19
	s_delay_alu instid0(VALU_DEP_2) | instskip(NEXT) | instid1(VALU_DEP_2)
	v_mad_u64_u32 v[6:7], null, s10, v20, v[3:4]
	v_mad_u64_u32 v[4:5], null, s12, v20, v[10:11]
	s_cbranch_vccnz .LBB97_40
; %bb.12:                               ;   in Loop: Header=BB97_3 Depth=1
	s_and_not1_b32 vcc_lo, exec_lo, s41
	s_mov_b32 s13, 1
	s_cbranch_vccnz .LBB97_20
; %bb.13:                               ;   in Loop: Header=BB97_3 Depth=1
	v_dual_mov_b32 v11, v9 :: v_dual_mov_b32 v10, v8
	s_mov_b32 s16, s38
.LBB97_14:                              ;   Parent Loop BB97_3 Depth=1
                                        ; =>  This Inner Loop Header: Depth=2
	s_delay_alu instid0(SALU_CYCLE_1)
	s_lshl_b64 s[24:25], s[16:17], 2
                                        ; implicit-def: $vgpr8_vgpr9
	s_mov_b32 s26, exec_lo
	s_add_u32 s22, s31, s24
	s_addc_u32 s23, s33, s25
	s_load_b32 s43, s[22:23], 0x8
	s_waitcnt lgkmcnt(0)
	s_ashr_i32 s0, s43, 31
	s_delay_alu instid0(SALU_CYCLE_1) | instskip(NEXT) | instid1(VALU_DEP_1)
	v_or_b32_e32 v3, s0, v11
	v_cmpx_ne_u64_e32 0, v[2:3]
	s_xor_b32 s44, exec_lo, s26
	s_cbranch_execz .LBB97_16
; %bb.15:                               ;   in Loop: Header=BB97_14 Depth=2
	s_add_u32 s28, s43, s0
	s_mov_b32 s26, s0
	s_mov_b32 s27, s0
	s_addc_u32 s29, s0, s0
	s_delay_alu instid0(SALU_CYCLE_1) | instskip(NEXT) | instid1(SALU_CYCLE_1)
	s_xor_b64 s[28:29], s[28:29], s[26:27]
	v_cvt_f32_u32_e32 v3, s28
	v_cvt_f32_u32_e32 v5, s29
	s_sub_u32 s0, 0, s28
	s_subb_u32 s45, 0, s29
	s_delay_alu instid0(VALU_DEP_1) | instskip(NEXT) | instid1(VALU_DEP_1)
	v_fmac_f32_e32 v3, 0x4f800000, v5
	v_rcp_f32_e32 v3, v3
	s_waitcnt_depctr 0xfff
	v_mul_f32_e32 v3, 0x5f7ffffc, v3
	s_delay_alu instid0(VALU_DEP_1) | instskip(NEXT) | instid1(VALU_DEP_1)
	v_mul_f32_e32 v5, 0x2f800000, v3
	v_trunc_f32_e32 v5, v5
	s_delay_alu instid0(VALU_DEP_1) | instskip(SKIP_1) | instid1(VALU_DEP_2)
	v_fmac_f32_e32 v3, 0xcf800000, v5
	v_cvt_u32_f32_e32 v5, v5
	v_cvt_u32_f32_e32 v3, v3
	s_delay_alu instid0(VALU_DEP_2) | instskip(NEXT) | instid1(VALU_DEP_2)
	v_mul_lo_u32 v7, s0, v5
	v_mul_hi_u32 v8, s0, v3
	v_mul_lo_u32 v9, s45, v3
	s_delay_alu instid0(VALU_DEP_2) | instskip(SKIP_1) | instid1(VALU_DEP_2)
	v_add_nc_u32_e32 v7, v8, v7
	v_mul_lo_u32 v8, s0, v3
	v_add_nc_u32_e32 v7, v7, v9
	s_delay_alu instid0(VALU_DEP_2) | instskip(NEXT) | instid1(VALU_DEP_2)
	v_mul_hi_u32 v9, v3, v8
	v_mul_lo_u32 v12, v3, v7
	v_mul_hi_u32 v13, v3, v7
	v_mul_hi_u32 v14, v5, v8
	v_mul_lo_u32 v8, v5, v8
	v_mul_hi_u32 v15, v5, v7
	v_mul_lo_u32 v7, v5, v7
	v_add_co_u32 v9, vcc_lo, v9, v12
	v_add_co_ci_u32_e32 v12, vcc_lo, 0, v13, vcc_lo
	s_delay_alu instid0(VALU_DEP_2) | instskip(NEXT) | instid1(VALU_DEP_2)
	v_add_co_u32 v8, vcc_lo, v9, v8
	v_add_co_ci_u32_e32 v8, vcc_lo, v12, v14, vcc_lo
	v_add_co_ci_u32_e32 v9, vcc_lo, 0, v15, vcc_lo
	v_ashrrev_i32_e32 v15, 31, v11
	s_delay_alu instid0(VALU_DEP_3) | instskip(NEXT) | instid1(VALU_DEP_3)
	v_add_co_u32 v7, vcc_lo, v8, v7
	v_add_co_ci_u32_e32 v8, vcc_lo, 0, v9, vcc_lo
	s_delay_alu instid0(VALU_DEP_2) | instskip(NEXT) | instid1(VALU_DEP_2)
	v_add_co_u32 v3, vcc_lo, v3, v7
	v_add_co_ci_u32_e32 v5, vcc_lo, v5, v8, vcc_lo
	s_delay_alu instid0(VALU_DEP_2) | instskip(SKIP_1) | instid1(VALU_DEP_3)
	v_mul_hi_u32 v7, s0, v3
	v_mul_lo_u32 v9, s45, v3
	v_mul_lo_u32 v8, s0, v5
	s_delay_alu instid0(VALU_DEP_1) | instskip(SKIP_1) | instid1(VALU_DEP_2)
	v_add_nc_u32_e32 v7, v7, v8
	v_mul_lo_u32 v8, s0, v3
	v_add_nc_u32_e32 v7, v7, v9
	s_delay_alu instid0(VALU_DEP_2) | instskip(NEXT) | instid1(VALU_DEP_2)
	v_mul_hi_u32 v9, v3, v8
	v_mul_lo_u32 v12, v3, v7
	v_mul_hi_u32 v13, v3, v7
	v_mul_hi_u32 v14, v5, v8
	v_mul_lo_u32 v8, v5, v8
	v_mul_hi_u32 v16, v5, v7
	v_mul_lo_u32 v7, v5, v7
	v_add_co_u32 v9, vcc_lo, v9, v12
	v_add_co_ci_u32_e32 v12, vcc_lo, 0, v13, vcc_lo
	s_delay_alu instid0(VALU_DEP_2) | instskip(NEXT) | instid1(VALU_DEP_2)
	v_add_co_u32 v8, vcc_lo, v9, v8
	v_add_co_ci_u32_e32 v8, vcc_lo, v12, v14, vcc_lo
	v_add_co_ci_u32_e32 v9, vcc_lo, 0, v16, vcc_lo
	v_add_co_u32 v12, vcc_lo, v10, v15
	v_add_co_ci_u32_e32 v11, vcc_lo, v11, v15, vcc_lo
	s_delay_alu instid0(VALU_DEP_4) | instskip(NEXT) | instid1(VALU_DEP_4)
	v_add_co_u32 v7, vcc_lo, v8, v7
	v_add_co_ci_u32_e32 v8, vcc_lo, 0, v9, vcc_lo
	s_delay_alu instid0(VALU_DEP_4) | instskip(NEXT) | instid1(VALU_DEP_3)
	v_xor_b32_e32 v9, v12, v15
	v_add_co_u32 v3, vcc_lo, v3, v7
	s_delay_alu instid0(VALU_DEP_3) | instskip(SKIP_1) | instid1(VALU_DEP_3)
	v_add_co_ci_u32_e32 v5, vcc_lo, v5, v8, vcc_lo
	v_xor_b32_e32 v16, v11, v15
	v_mul_hi_u32 v17, v9, v3
	s_delay_alu instid0(VALU_DEP_3) | instskip(NEXT) | instid1(VALU_DEP_3)
	v_mad_u64_u32 v[7:8], null, v9, v5, 0
	v_mad_u64_u32 v[11:12], null, v16, v3, 0
	;; [unrolled: 1-line block ×3, first 2 shown]
	s_delay_alu instid0(VALU_DEP_3) | instskip(NEXT) | instid1(VALU_DEP_4)
	v_add_co_u32 v3, vcc_lo, v17, v7
	v_add_co_ci_u32_e32 v5, vcc_lo, 0, v8, vcc_lo
	s_delay_alu instid0(VALU_DEP_2) | instskip(NEXT) | instid1(VALU_DEP_2)
	v_add_co_u32 v3, vcc_lo, v3, v11
	v_add_co_ci_u32_e32 v3, vcc_lo, v5, v12, vcc_lo
	v_add_co_ci_u32_e32 v5, vcc_lo, 0, v14, vcc_lo
	s_delay_alu instid0(VALU_DEP_2) | instskip(NEXT) | instid1(VALU_DEP_2)
	v_add_co_u32 v3, vcc_lo, v3, v13
	v_add_co_ci_u32_e32 v5, vcc_lo, 0, v5, vcc_lo
	s_delay_alu instid0(VALU_DEP_2) | instskip(SKIP_1) | instid1(VALU_DEP_3)
	v_mul_lo_u32 v11, s29, v3
	v_mad_u64_u32 v[7:8], null, s28, v3, 0
	v_mul_lo_u32 v12, s28, v5
	s_delay_alu instid0(VALU_DEP_2) | instskip(NEXT) | instid1(VALU_DEP_2)
	v_sub_co_u32 v7, vcc_lo, v9, v7
	v_add3_u32 v8, v8, v12, v11
	s_delay_alu instid0(VALU_DEP_1) | instskip(NEXT) | instid1(VALU_DEP_1)
	v_sub_nc_u32_e32 v11, v16, v8
	v_subrev_co_ci_u32_e64 v9, s0, s29, v11, vcc_lo
	v_add_co_u32 v11, s0, v3, 2
	s_delay_alu instid0(VALU_DEP_1) | instskip(SKIP_3) | instid1(VALU_DEP_3)
	v_add_co_ci_u32_e64 v12, s0, 0, v5, s0
	v_sub_co_u32 v13, s0, v7, s28
	v_sub_co_ci_u32_e32 v8, vcc_lo, v16, v8, vcc_lo
	v_subrev_co_ci_u32_e64 v9, s0, 0, v9, s0
	v_cmp_le_u32_e32 vcc_lo, s28, v13
	s_delay_alu instid0(VALU_DEP_3) | instskip(SKIP_1) | instid1(VALU_DEP_4)
	v_cmp_eq_u32_e64 s0, s29, v8
	v_cndmask_b32_e64 v13, 0, -1, vcc_lo
	v_cmp_le_u32_e32 vcc_lo, s29, v9
	v_cndmask_b32_e64 v14, 0, -1, vcc_lo
	v_cmp_le_u32_e32 vcc_lo, s28, v7
	;; [unrolled: 2-line block ×3, first 2 shown]
	v_cndmask_b32_e64 v16, 0, -1, vcc_lo
	v_cmp_eq_u32_e32 vcc_lo, s29, v9
	s_delay_alu instid0(VALU_DEP_2) | instskip(SKIP_3) | instid1(VALU_DEP_3)
	v_cndmask_b32_e64 v7, v16, v7, s0
	v_cndmask_b32_e32 v9, v14, v13, vcc_lo
	v_add_co_u32 v13, vcc_lo, v3, 1
	v_add_co_ci_u32_e32 v14, vcc_lo, 0, v5, vcc_lo
	v_cmp_ne_u32_e32 vcc_lo, 0, v9
	s_delay_alu instid0(VALU_DEP_2) | instskip(SKIP_2) | instid1(VALU_DEP_3)
	v_dual_cndmask_b32 v8, v14, v12 :: v_dual_cndmask_b32 v9, v13, v11
	v_cmp_ne_u32_e32 vcc_lo, 0, v7
	v_xor_b32_e32 v7, s26, v15
	v_cndmask_b32_e32 v3, v3, v9, vcc_lo
	s_delay_alu instid0(VALU_DEP_4) | instskip(SKIP_1) | instid1(VALU_DEP_3)
	v_cndmask_b32_e32 v5, v5, v8, vcc_lo
	v_xor_b32_e32 v9, s27, v15
	v_xor_b32_e32 v3, v3, v7
	s_delay_alu instid0(VALU_DEP_2) | instskip(NEXT) | instid1(VALU_DEP_2)
	v_xor_b32_e32 v5, v5, v9
	v_sub_co_u32 v8, vcc_lo, v3, v7
	s_delay_alu instid0(VALU_DEP_2)
	v_sub_co_ci_u32_e32 v9, vcc_lo, v5, v9, vcc_lo
.LBB97_16:                              ;   in Loop: Header=BB97_14 Depth=2
	s_and_not1_saveexec_b32 s0, s44
	s_cbranch_execz .LBB97_18
; %bb.17:                               ;   in Loop: Header=BB97_14 Depth=2
	v_cvt_f32_u32_e32 v3, s43
	s_sub_i32 s26, 0, s43
	v_mov_b32_e32 v9, v2
	s_delay_alu instid0(VALU_DEP_2) | instskip(SKIP_2) | instid1(VALU_DEP_1)
	v_rcp_iflag_f32_e32 v3, v3
	s_waitcnt_depctr 0xfff
	v_mul_f32_e32 v3, 0x4f7ffffe, v3
	v_cvt_u32_f32_e32 v3, v3
	s_delay_alu instid0(VALU_DEP_1) | instskip(NEXT) | instid1(VALU_DEP_1)
	v_mul_lo_u32 v5, s26, v3
	v_mul_hi_u32 v5, v3, v5
	s_delay_alu instid0(VALU_DEP_1) | instskip(NEXT) | instid1(VALU_DEP_1)
	v_add_nc_u32_e32 v3, v3, v5
	v_mul_hi_u32 v3, v10, v3
	s_delay_alu instid0(VALU_DEP_1) | instskip(SKIP_1) | instid1(VALU_DEP_2)
	v_mul_lo_u32 v5, v3, s43
	v_add_nc_u32_e32 v7, 1, v3
	v_sub_nc_u32_e32 v5, v10, v5
	s_delay_alu instid0(VALU_DEP_1) | instskip(SKIP_1) | instid1(VALU_DEP_4)
	v_cmp_le_u32_e32 vcc_lo, s43, v5
	v_subrev_nc_u32_e32 v8, s43, v5
	v_cndmask_b32_e32 v3, v3, v7, vcc_lo
	s_delay_alu instid0(VALU_DEP_1) | instskip(NEXT) | instid1(VALU_DEP_3)
	v_add_nc_u32_e32 v7, 1, v3
	v_cndmask_b32_e32 v5, v5, v8, vcc_lo
	s_delay_alu instid0(VALU_DEP_1) | instskip(NEXT) | instid1(VALU_DEP_3)
	v_cmp_le_u32_e32 vcc_lo, s43, v5
	v_cndmask_b32_e32 v8, v3, v7, vcc_lo
.LBB97_18:                              ;   in Loop: Header=BB97_14 Depth=2
	s_or_b32 exec_lo, exec_lo, s0
	s_add_u32 s24, s36, s24
	s_addc_u32 s25, s37, s25
	s_clause 0x1
	s_load_b32 s0, s[22:23], 0x6c
	s_load_b32 s22, s[24:25], 0x0
	v_mul_lo_u32 v3, v8, s43
	s_add_i32 s16, s16, -1
	s_delay_alu instid0(VALU_DEP_1) | instskip(SKIP_1) | instid1(VALU_DEP_1)
	v_sub_nc_u32_e32 v3, v10, v3
	s_waitcnt lgkmcnt(0)
	v_mad_u64_u32 v[10:11], null, s0, v3, v[6:7]
	v_mad_u64_u32 v[5:6], null, s22, v3, v[4:5]
	s_xor_b32 s0, s39, s13
	s_add_i32 s13, s13, 1
	s_cmp_lg_u32 s0, 2
	s_delay_alu instid0(VALU_DEP_2) | instskip(NEXT) | instid1(VALU_DEP_2)
	v_mov_b32_e32 v6, v10
	v_mov_b32_e32 v4, v5
	s_cbranch_scc0 .LBB97_21
; %bb.19:                               ;   in Loop: Header=BB97_14 Depth=2
	v_dual_mov_b32 v11, v9 :: v_dual_mov_b32 v10, v8
	s_branch .LBB97_14
.LBB97_20:                              ;   in Loop: Header=BB97_3 Depth=1
	s_mov_b32 s16, s38
.LBB97_21:                              ;   in Loop: Header=BB97_3 Depth=1
	s_and_b32 vcc_lo, exec_lo, s42
	s_cbranch_vccz .LBB97_40
.LBB97_22:                              ;   Parent Loop BB97_3 Depth=1
                                        ; =>  This Inner Loop Header: Depth=2
	s_lshl_b64 s[22:23], s[16:17], 2
                                        ; implicit-def: $vgpr10_vgpr11
	s_mov_b32 s26, exec_lo
	s_add_u32 s24, s31, s22
	s_addc_u32 s25, s33, s23
	s_load_b32 s13, s[24:25], 0x8
	s_waitcnt lgkmcnt(0)
	s_ashr_i32 s0, s13, 31
	s_delay_alu instid0(SALU_CYCLE_1) | instskip(NEXT) | instid1(VALU_DEP_1)
	v_or_b32_e32 v3, s0, v9
	v_cmpx_ne_u64_e32 0, v[2:3]
	s_xor_b32 s43, exec_lo, s26
	s_cbranch_execz .LBB97_24
; %bb.23:                               ;   in Loop: Header=BB97_22 Depth=2
	s_add_u32 s28, s13, s0
	s_mov_b32 s26, s0
	s_mov_b32 s27, s0
	s_addc_u32 s29, s0, s0
	s_delay_alu instid0(SALU_CYCLE_1) | instskip(NEXT) | instid1(SALU_CYCLE_1)
	s_xor_b64 s[28:29], s[28:29], s[26:27]
	v_cvt_f32_u32_e32 v3, s28
	v_cvt_f32_u32_e32 v5, s29
	s_sub_u32 s0, 0, s28
	s_subb_u32 s44, 0, s29
	s_delay_alu instid0(VALU_DEP_1) | instskip(NEXT) | instid1(VALU_DEP_1)
	v_fmac_f32_e32 v3, 0x4f800000, v5
	v_rcp_f32_e32 v3, v3
	s_waitcnt_depctr 0xfff
	v_mul_f32_e32 v3, 0x5f7ffffc, v3
	s_delay_alu instid0(VALU_DEP_1) | instskip(NEXT) | instid1(VALU_DEP_1)
	v_mul_f32_e32 v5, 0x2f800000, v3
	v_trunc_f32_e32 v5, v5
	s_delay_alu instid0(VALU_DEP_1) | instskip(SKIP_1) | instid1(VALU_DEP_2)
	v_fmac_f32_e32 v3, 0xcf800000, v5
	v_cvt_u32_f32_e32 v5, v5
	v_cvt_u32_f32_e32 v3, v3
	s_delay_alu instid0(VALU_DEP_2) | instskip(NEXT) | instid1(VALU_DEP_2)
	v_mul_lo_u32 v7, s0, v5
	v_mul_hi_u32 v10, s0, v3
	v_mul_lo_u32 v11, s44, v3
	s_delay_alu instid0(VALU_DEP_2) | instskip(SKIP_1) | instid1(VALU_DEP_2)
	v_add_nc_u32_e32 v7, v10, v7
	v_mul_lo_u32 v10, s0, v3
	v_add_nc_u32_e32 v7, v7, v11
	s_delay_alu instid0(VALU_DEP_2) | instskip(NEXT) | instid1(VALU_DEP_2)
	v_mul_hi_u32 v11, v3, v10
	v_mul_lo_u32 v12, v3, v7
	v_mul_hi_u32 v13, v3, v7
	v_mul_hi_u32 v14, v5, v10
	v_mul_lo_u32 v10, v5, v10
	v_mul_hi_u32 v15, v5, v7
	v_mul_lo_u32 v7, v5, v7
	v_add_co_u32 v11, vcc_lo, v11, v12
	v_add_co_ci_u32_e32 v12, vcc_lo, 0, v13, vcc_lo
	s_delay_alu instid0(VALU_DEP_2) | instskip(NEXT) | instid1(VALU_DEP_2)
	v_add_co_u32 v10, vcc_lo, v11, v10
	v_add_co_ci_u32_e32 v10, vcc_lo, v12, v14, vcc_lo
	v_add_co_ci_u32_e32 v11, vcc_lo, 0, v15, vcc_lo
	v_ashrrev_i32_e32 v15, 31, v9
	s_delay_alu instid0(VALU_DEP_3) | instskip(NEXT) | instid1(VALU_DEP_3)
	v_add_co_u32 v7, vcc_lo, v10, v7
	v_add_co_ci_u32_e32 v10, vcc_lo, 0, v11, vcc_lo
	s_delay_alu instid0(VALU_DEP_2) | instskip(NEXT) | instid1(VALU_DEP_2)
	v_add_co_u32 v3, vcc_lo, v3, v7
	v_add_co_ci_u32_e32 v5, vcc_lo, v5, v10, vcc_lo
	s_delay_alu instid0(VALU_DEP_2) | instskip(SKIP_1) | instid1(VALU_DEP_3)
	v_mul_hi_u32 v7, s0, v3
	v_mul_lo_u32 v11, s44, v3
	v_mul_lo_u32 v10, s0, v5
	s_delay_alu instid0(VALU_DEP_1) | instskip(SKIP_1) | instid1(VALU_DEP_2)
	v_add_nc_u32_e32 v7, v7, v10
	v_mul_lo_u32 v10, s0, v3
	v_add_nc_u32_e32 v7, v7, v11
	s_delay_alu instid0(VALU_DEP_2) | instskip(NEXT) | instid1(VALU_DEP_2)
	v_mul_hi_u32 v11, v3, v10
	v_mul_lo_u32 v12, v3, v7
	v_mul_hi_u32 v13, v3, v7
	v_mul_hi_u32 v14, v5, v10
	v_mul_lo_u32 v10, v5, v10
	v_mul_hi_u32 v16, v5, v7
	v_mul_lo_u32 v7, v5, v7
	v_add_co_u32 v11, vcc_lo, v11, v12
	v_add_co_ci_u32_e32 v12, vcc_lo, 0, v13, vcc_lo
	s_delay_alu instid0(VALU_DEP_2) | instskip(NEXT) | instid1(VALU_DEP_2)
	v_add_co_u32 v10, vcc_lo, v11, v10
	v_add_co_ci_u32_e32 v10, vcc_lo, v12, v14, vcc_lo
	v_add_co_ci_u32_e32 v11, vcc_lo, 0, v16, vcc_lo
	v_add_co_u32 v12, vcc_lo, v8, v15
	v_add_co_ci_u32_e32 v9, vcc_lo, v9, v15, vcc_lo
	s_delay_alu instid0(VALU_DEP_4) | instskip(NEXT) | instid1(VALU_DEP_4)
	v_add_co_u32 v7, vcc_lo, v10, v7
	v_add_co_ci_u32_e32 v10, vcc_lo, 0, v11, vcc_lo
	s_delay_alu instid0(VALU_DEP_4) | instskip(NEXT) | instid1(VALU_DEP_3)
	v_xor_b32_e32 v16, v12, v15
	v_add_co_u32 v3, vcc_lo, v3, v7
	s_delay_alu instid0(VALU_DEP_3) | instskip(SKIP_1) | instid1(VALU_DEP_3)
	v_add_co_ci_u32_e32 v5, vcc_lo, v5, v10, vcc_lo
	v_xor_b32_e32 v7, v9, v15
	v_mul_hi_u32 v17, v16, v3
	s_delay_alu instid0(VALU_DEP_3) | instskip(NEXT) | instid1(VALU_DEP_3)
	v_mad_u64_u32 v[9:10], null, v16, v5, 0
	v_mad_u64_u32 v[11:12], null, v7, v3, 0
	;; [unrolled: 1-line block ×3, first 2 shown]
	s_delay_alu instid0(VALU_DEP_3) | instskip(NEXT) | instid1(VALU_DEP_4)
	v_add_co_u32 v3, vcc_lo, v17, v9
	v_add_co_ci_u32_e32 v5, vcc_lo, 0, v10, vcc_lo
	s_delay_alu instid0(VALU_DEP_2) | instskip(NEXT) | instid1(VALU_DEP_2)
	v_add_co_u32 v3, vcc_lo, v3, v11
	v_add_co_ci_u32_e32 v3, vcc_lo, v5, v12, vcc_lo
	v_add_co_ci_u32_e32 v5, vcc_lo, 0, v14, vcc_lo
	s_delay_alu instid0(VALU_DEP_2) | instskip(NEXT) | instid1(VALU_DEP_2)
	v_add_co_u32 v3, vcc_lo, v3, v13
	v_add_co_ci_u32_e32 v5, vcc_lo, 0, v5, vcc_lo
	s_delay_alu instid0(VALU_DEP_2) | instskip(SKIP_1) | instid1(VALU_DEP_3)
	v_mul_lo_u32 v11, s29, v3
	v_mad_u64_u32 v[9:10], null, s28, v3, 0
	v_mul_lo_u32 v12, s28, v5
	s_delay_alu instid0(VALU_DEP_2) | instskip(NEXT) | instid1(VALU_DEP_2)
	v_sub_co_u32 v9, vcc_lo, v16, v9
	v_add3_u32 v10, v10, v12, v11
	s_delay_alu instid0(VALU_DEP_1) | instskip(NEXT) | instid1(VALU_DEP_1)
	v_sub_nc_u32_e32 v11, v7, v10
	v_subrev_co_ci_u32_e64 v11, s0, s29, v11, vcc_lo
	v_add_co_u32 v12, s0, v3, 2
	s_delay_alu instid0(VALU_DEP_1) | instskip(SKIP_3) | instid1(VALU_DEP_3)
	v_add_co_ci_u32_e64 v13, s0, 0, v5, s0
	v_sub_co_u32 v14, s0, v9, s28
	v_sub_co_ci_u32_e32 v7, vcc_lo, v7, v10, vcc_lo
	v_subrev_co_ci_u32_e64 v11, s0, 0, v11, s0
	v_cmp_le_u32_e32 vcc_lo, s28, v14
	s_delay_alu instid0(VALU_DEP_3) | instskip(SKIP_1) | instid1(VALU_DEP_4)
	v_cmp_eq_u32_e64 s0, s29, v7
	v_cndmask_b32_e64 v10, 0, -1, vcc_lo
	v_cmp_le_u32_e32 vcc_lo, s29, v11
	v_cndmask_b32_e64 v14, 0, -1, vcc_lo
	v_cmp_le_u32_e32 vcc_lo, s28, v9
	;; [unrolled: 2-line block ×3, first 2 shown]
	v_cndmask_b32_e64 v16, 0, -1, vcc_lo
	v_cmp_eq_u32_e32 vcc_lo, s29, v11
	s_delay_alu instid0(VALU_DEP_2) | instskip(SKIP_3) | instid1(VALU_DEP_3)
	v_cndmask_b32_e64 v7, v16, v9, s0
	v_cndmask_b32_e32 v10, v14, v10, vcc_lo
	v_add_co_u32 v11, vcc_lo, v3, 1
	v_add_co_ci_u32_e32 v14, vcc_lo, 0, v5, vcc_lo
	v_cmp_ne_u32_e32 vcc_lo, 0, v10
	s_delay_alu instid0(VALU_DEP_2) | instskip(SKIP_2) | instid1(VALU_DEP_3)
	v_dual_cndmask_b32 v10, v11, v12 :: v_dual_cndmask_b32 v9, v14, v13
	v_cmp_ne_u32_e32 vcc_lo, 0, v7
	v_xor_b32_e32 v7, s26, v15
	v_cndmask_b32_e32 v3, v3, v10, vcc_lo
	s_delay_alu instid0(VALU_DEP_4) | instskip(SKIP_1) | instid1(VALU_DEP_3)
	v_cndmask_b32_e32 v5, v5, v9, vcc_lo
	v_xor_b32_e32 v9, s27, v15
	v_xor_b32_e32 v3, v3, v7
	s_delay_alu instid0(VALU_DEP_2) | instskip(NEXT) | instid1(VALU_DEP_2)
	v_xor_b32_e32 v5, v5, v9
	v_sub_co_u32 v10, vcc_lo, v3, v7
	s_delay_alu instid0(VALU_DEP_2)
	v_sub_co_ci_u32_e32 v11, vcc_lo, v5, v9, vcc_lo
.LBB97_24:                              ;   in Loop: Header=BB97_22 Depth=2
	s_and_not1_saveexec_b32 s0, s43
	s_cbranch_execz .LBB97_26
; %bb.25:                               ;   in Loop: Header=BB97_22 Depth=2
	v_cvt_f32_u32_e32 v3, s13
	s_sub_i32 s26, 0, s13
	v_mov_b32_e32 v11, v2
	s_delay_alu instid0(VALU_DEP_2) | instskip(SKIP_2) | instid1(VALU_DEP_1)
	v_rcp_iflag_f32_e32 v3, v3
	s_waitcnt_depctr 0xfff
	v_mul_f32_e32 v3, 0x4f7ffffe, v3
	v_cvt_u32_f32_e32 v3, v3
	s_delay_alu instid0(VALU_DEP_1) | instskip(NEXT) | instid1(VALU_DEP_1)
	v_mul_lo_u32 v5, s26, v3
	v_mul_hi_u32 v5, v3, v5
	s_delay_alu instid0(VALU_DEP_1) | instskip(NEXT) | instid1(VALU_DEP_1)
	v_add_nc_u32_e32 v3, v3, v5
	v_mul_hi_u32 v3, v8, v3
	s_delay_alu instid0(VALU_DEP_1) | instskip(SKIP_1) | instid1(VALU_DEP_2)
	v_mul_lo_u32 v5, v3, s13
	v_add_nc_u32_e32 v7, 1, v3
	v_sub_nc_u32_e32 v5, v8, v5
	s_delay_alu instid0(VALU_DEP_1) | instskip(SKIP_1) | instid1(VALU_DEP_4)
	v_cmp_le_u32_e32 vcc_lo, s13, v5
	v_subrev_nc_u32_e32 v9, s13, v5
	v_cndmask_b32_e32 v3, v3, v7, vcc_lo
	s_delay_alu instid0(VALU_DEP_1) | instskip(NEXT) | instid1(VALU_DEP_3)
	v_add_nc_u32_e32 v7, 1, v3
	v_cndmask_b32_e32 v5, v5, v9, vcc_lo
	s_delay_alu instid0(VALU_DEP_1) | instskip(NEXT) | instid1(VALU_DEP_3)
	v_cmp_le_u32_e32 vcc_lo, s13, v5
	v_cndmask_b32_e32 v10, v3, v7, vcc_lo
.LBB97_26:                              ;   in Loop: Header=BB97_22 Depth=2
	s_or_b32 exec_lo, exec_lo, s0
	s_add_u32 s28, s36, s22
	s_addc_u32 s29, s37, s23
	s_add_i32 s22, s16, -1
	s_mov_b32 s23, s17
                                        ; implicit-def: $vgpr12_vgpr13
	s_delay_alu instid0(SALU_CYCLE_1) | instskip(NEXT) | instid1(SALU_CYCLE_1)
	s_lshl_b64 s[26:27], s[22:23], 2
	s_add_u32 s22, s31, s26
	s_addc_u32 s23, s33, s27
	s_clause 0x2
	s_load_b32 s45, s[22:23], 0x8
	s_load_b32 s43, s[24:25], 0x6c
	;; [unrolled: 1-line block ×3, first 2 shown]
	s_mov_b32 s24, exec_lo
	s_waitcnt lgkmcnt(0)
	s_ashr_i32 s0, s45, 31
	s_delay_alu instid0(SALU_CYCLE_1) | instskip(NEXT) | instid1(VALU_DEP_1)
	v_or_b32_e32 v3, s0, v11
	v_cmpx_ne_u64_e32 0, v[2:3]
	s_xor_b32 s46, exec_lo, s24
	s_cbranch_execz .LBB97_28
; %bb.27:                               ;   in Loop: Header=BB97_22 Depth=2
	s_add_u32 s28, s45, s0
	s_mov_b32 s24, s0
	s_mov_b32 s25, s0
	s_addc_u32 s29, s0, s0
	v_ashrrev_i32_e32 v17, 31, v11
	s_xor_b64 s[28:29], s[28:29], s[24:25]
	s_delay_alu instid0(SALU_CYCLE_1) | instskip(SKIP_3) | instid1(VALU_DEP_1)
	v_cvt_f32_u32_e32 v3, s28
	v_cvt_f32_u32_e32 v5, s29
	s_sub_u32 s0, 0, s28
	s_subb_u32 s47, 0, s29
	v_fmac_f32_e32 v3, 0x4f800000, v5
	s_delay_alu instid0(VALU_DEP_1) | instskip(SKIP_2) | instid1(VALU_DEP_1)
	v_rcp_f32_e32 v3, v3
	s_waitcnt_depctr 0xfff
	v_mul_f32_e32 v3, 0x5f7ffffc, v3
	v_mul_f32_e32 v5, 0x2f800000, v3
	s_delay_alu instid0(VALU_DEP_1) | instskip(NEXT) | instid1(VALU_DEP_1)
	v_trunc_f32_e32 v5, v5
	v_fmac_f32_e32 v3, 0xcf800000, v5
	v_cvt_u32_f32_e32 v5, v5
	s_delay_alu instid0(VALU_DEP_2) | instskip(NEXT) | instid1(VALU_DEP_2)
	v_cvt_u32_f32_e32 v3, v3
	v_mul_lo_u32 v7, s0, v5
	s_delay_alu instid0(VALU_DEP_2) | instskip(SKIP_1) | instid1(VALU_DEP_2)
	v_mul_hi_u32 v9, s0, v3
	v_mul_lo_u32 v12, s47, v3
	v_add_nc_u32_e32 v7, v9, v7
	v_mul_lo_u32 v9, s0, v3
	s_delay_alu instid0(VALU_DEP_2) | instskip(NEXT) | instid1(VALU_DEP_2)
	v_add_nc_u32_e32 v7, v7, v12
	v_mul_hi_u32 v12, v3, v9
	s_delay_alu instid0(VALU_DEP_2)
	v_mul_lo_u32 v13, v3, v7
	v_mul_hi_u32 v14, v3, v7
	v_mul_hi_u32 v15, v5, v9
	v_mul_lo_u32 v9, v5, v9
	v_mul_hi_u32 v16, v5, v7
	v_mul_lo_u32 v7, v5, v7
	v_add_co_u32 v12, vcc_lo, v12, v13
	v_add_co_ci_u32_e32 v13, vcc_lo, 0, v14, vcc_lo
	s_delay_alu instid0(VALU_DEP_2) | instskip(NEXT) | instid1(VALU_DEP_2)
	v_add_co_u32 v9, vcc_lo, v12, v9
	v_add_co_ci_u32_e32 v9, vcc_lo, v13, v15, vcc_lo
	v_add_co_ci_u32_e32 v12, vcc_lo, 0, v16, vcc_lo
	s_delay_alu instid0(VALU_DEP_2) | instskip(NEXT) | instid1(VALU_DEP_2)
	v_add_co_u32 v7, vcc_lo, v9, v7
	v_add_co_ci_u32_e32 v9, vcc_lo, 0, v12, vcc_lo
	s_delay_alu instid0(VALU_DEP_2) | instskip(NEXT) | instid1(VALU_DEP_2)
	v_add_co_u32 v3, vcc_lo, v3, v7
	v_add_co_ci_u32_e32 v5, vcc_lo, v5, v9, vcc_lo
	s_delay_alu instid0(VALU_DEP_2) | instskip(SKIP_1) | instid1(VALU_DEP_3)
	v_mul_hi_u32 v7, s0, v3
	v_mul_lo_u32 v12, s47, v3
	v_mul_lo_u32 v9, s0, v5
	s_delay_alu instid0(VALU_DEP_1) | instskip(SKIP_1) | instid1(VALU_DEP_2)
	v_add_nc_u32_e32 v7, v7, v9
	v_mul_lo_u32 v9, s0, v3
	v_add_nc_u32_e32 v7, v7, v12
	s_delay_alu instid0(VALU_DEP_2) | instskip(NEXT) | instid1(VALU_DEP_2)
	v_mul_hi_u32 v12, v3, v9
	v_mul_lo_u32 v13, v3, v7
	v_mul_hi_u32 v14, v3, v7
	v_mul_hi_u32 v15, v5, v9
	v_mul_lo_u32 v9, v5, v9
	v_mul_hi_u32 v16, v5, v7
	v_mul_lo_u32 v7, v5, v7
	v_add_co_u32 v12, vcc_lo, v12, v13
	v_add_co_ci_u32_e32 v13, vcc_lo, 0, v14, vcc_lo
	s_delay_alu instid0(VALU_DEP_2) | instskip(NEXT) | instid1(VALU_DEP_2)
	v_add_co_u32 v9, vcc_lo, v12, v9
	v_add_co_ci_u32_e32 v9, vcc_lo, v13, v15, vcc_lo
	v_add_co_ci_u32_e32 v12, vcc_lo, 0, v16, vcc_lo
	v_add_co_u32 v13, vcc_lo, v10, v17
	v_add_co_ci_u32_e32 v11, vcc_lo, v11, v17, vcc_lo
	s_delay_alu instid0(VALU_DEP_4) | instskip(NEXT) | instid1(VALU_DEP_4)
	v_add_co_u32 v7, vcc_lo, v9, v7
	v_add_co_ci_u32_e32 v9, vcc_lo, 0, v12, vcc_lo
	s_delay_alu instid0(VALU_DEP_4) | instskip(NEXT) | instid1(VALU_DEP_3)
	v_xor_b32_e32 v21, v13, v17
	v_add_co_u32 v3, vcc_lo, v3, v7
	s_delay_alu instid0(VALU_DEP_3) | instskip(SKIP_1) | instid1(VALU_DEP_3)
	v_add_co_ci_u32_e32 v5, vcc_lo, v5, v9, vcc_lo
	v_xor_b32_e32 v7, v11, v17
	v_mul_hi_u32 v9, v21, v3
	s_delay_alu instid0(VALU_DEP_3) | instskip(NEXT) | instid1(VALU_DEP_3)
	v_mad_u64_u32 v[11:12], null, v21, v5, 0
	v_mad_u64_u32 v[13:14], null, v7, v3, 0
	v_mad_u64_u32 v[15:16], null, v7, v5, 0
	s_delay_alu instid0(VALU_DEP_3) | instskip(NEXT) | instid1(VALU_DEP_4)
	v_add_co_u32 v3, vcc_lo, v9, v11
	v_add_co_ci_u32_e32 v5, vcc_lo, 0, v12, vcc_lo
	s_delay_alu instid0(VALU_DEP_2) | instskip(NEXT) | instid1(VALU_DEP_2)
	v_add_co_u32 v3, vcc_lo, v3, v13
	v_add_co_ci_u32_e32 v3, vcc_lo, v5, v14, vcc_lo
	v_add_co_ci_u32_e32 v5, vcc_lo, 0, v16, vcc_lo
	s_delay_alu instid0(VALU_DEP_2) | instskip(NEXT) | instid1(VALU_DEP_2)
	v_add_co_u32 v3, vcc_lo, v3, v15
	v_add_co_ci_u32_e32 v5, vcc_lo, 0, v5, vcc_lo
	s_delay_alu instid0(VALU_DEP_2) | instskip(SKIP_1) | instid1(VALU_DEP_3)
	v_mul_lo_u32 v9, s29, v3
	v_mad_u64_u32 v[11:12], null, s28, v3, 0
	v_mul_lo_u32 v13, s28, v5
	s_delay_alu instid0(VALU_DEP_2) | instskip(NEXT) | instid1(VALU_DEP_2)
	v_sub_co_u32 v11, vcc_lo, v21, v11
	v_add3_u32 v9, v12, v13, v9
	s_delay_alu instid0(VALU_DEP_1) | instskip(NEXT) | instid1(VALU_DEP_1)
	v_sub_nc_u32_e32 v12, v7, v9
	v_subrev_co_ci_u32_e64 v12, s0, s29, v12, vcc_lo
	v_add_co_u32 v13, s0, v3, 2
	s_delay_alu instid0(VALU_DEP_1) | instskip(SKIP_3) | instid1(VALU_DEP_3)
	v_add_co_ci_u32_e64 v14, s0, 0, v5, s0
	v_sub_co_u32 v15, s0, v11, s28
	v_sub_co_ci_u32_e32 v7, vcc_lo, v7, v9, vcc_lo
	v_subrev_co_ci_u32_e64 v12, s0, 0, v12, s0
	v_cmp_le_u32_e32 vcc_lo, s28, v15
	s_delay_alu instid0(VALU_DEP_3) | instskip(SKIP_1) | instid1(VALU_DEP_4)
	v_cmp_eq_u32_e64 s0, s29, v7
	v_cndmask_b32_e64 v9, 0, -1, vcc_lo
	v_cmp_le_u32_e32 vcc_lo, s29, v12
	v_cndmask_b32_e64 v15, 0, -1, vcc_lo
	v_cmp_le_u32_e32 vcc_lo, s28, v11
	;; [unrolled: 2-line block ×3, first 2 shown]
	v_cndmask_b32_e64 v16, 0, -1, vcc_lo
	v_cmp_eq_u32_e32 vcc_lo, s29, v12
	s_delay_alu instid0(VALU_DEP_2) | instskip(SKIP_3) | instid1(VALU_DEP_3)
	v_cndmask_b32_e64 v7, v16, v11, s0
	v_cndmask_b32_e32 v9, v15, v9, vcc_lo
	v_add_co_u32 v12, vcc_lo, v3, 1
	v_add_co_ci_u32_e32 v15, vcc_lo, 0, v5, vcc_lo
	v_cmp_ne_u32_e32 vcc_lo, 0, v9
	s_delay_alu instid0(VALU_DEP_2) | instskip(NEXT) | instid1(VALU_DEP_4)
	v_cndmask_b32_e32 v9, v15, v14, vcc_lo
	v_cndmask_b32_e32 v11, v12, v13, vcc_lo
	v_cmp_ne_u32_e32 vcc_lo, 0, v7
	v_xor_b32_e32 v7, s24, v17
	s_delay_alu instid0(VALU_DEP_3) | instskip(SKIP_2) | instid1(VALU_DEP_3)
	v_cndmask_b32_e32 v3, v3, v11, vcc_lo
	v_cndmask_b32_e32 v5, v5, v9, vcc_lo
	v_xor_b32_e32 v9, s25, v17
	v_xor_b32_e32 v3, v3, v7
	s_delay_alu instid0(VALU_DEP_2) | instskip(NEXT) | instid1(VALU_DEP_2)
	v_xor_b32_e32 v5, v5, v9
	v_sub_co_u32 v12, vcc_lo, v3, v7
	s_delay_alu instid0(VALU_DEP_2)
	v_sub_co_ci_u32_e32 v13, vcc_lo, v5, v9, vcc_lo
.LBB97_28:                              ;   in Loop: Header=BB97_22 Depth=2
	s_and_not1_saveexec_b32 s0, s46
	s_cbranch_execz .LBB97_30
; %bb.29:                               ;   in Loop: Header=BB97_22 Depth=2
	v_cvt_f32_u32_e32 v3, s45
	s_sub_i32 s24, 0, s45
	v_mov_b32_e32 v13, v2
	s_delay_alu instid0(VALU_DEP_2) | instskip(SKIP_2) | instid1(VALU_DEP_1)
	v_rcp_iflag_f32_e32 v3, v3
	s_waitcnt_depctr 0xfff
	v_mul_f32_e32 v3, 0x4f7ffffe, v3
	v_cvt_u32_f32_e32 v3, v3
	s_delay_alu instid0(VALU_DEP_1) | instskip(NEXT) | instid1(VALU_DEP_1)
	v_mul_lo_u32 v5, s24, v3
	v_mul_hi_u32 v5, v3, v5
	s_delay_alu instid0(VALU_DEP_1) | instskip(NEXT) | instid1(VALU_DEP_1)
	v_add_nc_u32_e32 v3, v3, v5
	v_mul_hi_u32 v3, v10, v3
	s_delay_alu instid0(VALU_DEP_1) | instskip(SKIP_1) | instid1(VALU_DEP_2)
	v_mul_lo_u32 v5, v3, s45
	v_add_nc_u32_e32 v7, 1, v3
	v_sub_nc_u32_e32 v5, v10, v5
	s_delay_alu instid0(VALU_DEP_1) | instskip(SKIP_1) | instid1(VALU_DEP_4)
	v_cmp_le_u32_e32 vcc_lo, s45, v5
	v_subrev_nc_u32_e32 v9, s45, v5
	v_cndmask_b32_e32 v3, v3, v7, vcc_lo
	s_delay_alu instid0(VALU_DEP_1) | instskip(NEXT) | instid1(VALU_DEP_3)
	v_add_nc_u32_e32 v7, 1, v3
	v_cndmask_b32_e32 v5, v5, v9, vcc_lo
	s_delay_alu instid0(VALU_DEP_1) | instskip(NEXT) | instid1(VALU_DEP_3)
	v_cmp_le_u32_e32 vcc_lo, s45, v5
	v_cndmask_b32_e32 v12, v3, v7, vcc_lo
.LBB97_30:                              ;   in Loop: Header=BB97_22 Depth=2
	s_or_b32 exec_lo, exec_lo, s0
	s_add_u32 s28, s36, s26
	s_addc_u32 s29, s37, s27
	s_add_i32 s24, s16, -2
	s_mov_b32 s25, s17
                                        ; implicit-def: $vgpr14_vgpr15
	s_delay_alu instid0(SALU_CYCLE_1) | instskip(NEXT) | instid1(SALU_CYCLE_1)
	s_lshl_b64 s[24:25], s[24:25], 2
	s_add_u32 s26, s31, s24
	s_addc_u32 s27, s33, s25
	s_clause 0x2
	s_load_b32 s48, s[26:27], 0x8
	s_load_b32 s46, s[22:23], 0x6c
	;; [unrolled: 1-line block ×3, first 2 shown]
	s_mov_b32 s22, exec_lo
	s_waitcnt lgkmcnt(0)
	s_ashr_i32 s0, s48, 31
	s_delay_alu instid0(SALU_CYCLE_1) | instskip(NEXT) | instid1(VALU_DEP_1)
	v_or_b32_e32 v3, s0, v13
	v_cmpx_ne_u64_e32 0, v[2:3]
	s_xor_b32 s49, exec_lo, s22
	s_cbranch_execz .LBB97_32
; %bb.31:                               ;   in Loop: Header=BB97_22 Depth=2
	s_add_u32 s28, s48, s0
	s_mov_b32 s22, s0
	s_mov_b32 s23, s0
	s_addc_u32 s29, s0, s0
	s_delay_alu instid0(SALU_CYCLE_1) | instskip(NEXT) | instid1(SALU_CYCLE_1)
	s_xor_b64 s[28:29], s[28:29], s[22:23]
	v_cvt_f32_u32_e32 v3, s28
	v_cvt_f32_u32_e32 v5, s29
	s_sub_u32 s0, 0, s28
	s_subb_u32 s50, 0, s29
	s_delay_alu instid0(VALU_DEP_1) | instskip(NEXT) | instid1(VALU_DEP_1)
	v_fmac_f32_e32 v3, 0x4f800000, v5
	v_rcp_f32_e32 v3, v3
	s_waitcnt_depctr 0xfff
	v_mul_f32_e32 v3, 0x5f7ffffc, v3
	s_delay_alu instid0(VALU_DEP_1) | instskip(NEXT) | instid1(VALU_DEP_1)
	v_mul_f32_e32 v5, 0x2f800000, v3
	v_trunc_f32_e32 v5, v5
	s_delay_alu instid0(VALU_DEP_1) | instskip(SKIP_1) | instid1(VALU_DEP_2)
	v_fmac_f32_e32 v3, 0xcf800000, v5
	v_cvt_u32_f32_e32 v5, v5
	v_cvt_u32_f32_e32 v3, v3
	s_delay_alu instid0(VALU_DEP_2) | instskip(NEXT) | instid1(VALU_DEP_2)
	v_mul_lo_u32 v7, s0, v5
	v_mul_hi_u32 v9, s0, v3
	v_mul_lo_u32 v11, s50, v3
	s_delay_alu instid0(VALU_DEP_2) | instskip(SKIP_1) | instid1(VALU_DEP_2)
	v_add_nc_u32_e32 v7, v9, v7
	v_mul_lo_u32 v9, s0, v3
	v_add_nc_u32_e32 v7, v7, v11
	s_delay_alu instid0(VALU_DEP_2) | instskip(NEXT) | instid1(VALU_DEP_2)
	v_mul_hi_u32 v11, v3, v9
	v_mul_lo_u32 v14, v3, v7
	v_mul_hi_u32 v15, v3, v7
	v_mul_hi_u32 v16, v5, v9
	v_mul_lo_u32 v9, v5, v9
	v_mul_hi_u32 v17, v5, v7
	v_mul_lo_u32 v7, v5, v7
	v_add_co_u32 v11, vcc_lo, v11, v14
	v_add_co_ci_u32_e32 v14, vcc_lo, 0, v15, vcc_lo
	s_delay_alu instid0(VALU_DEP_2) | instskip(NEXT) | instid1(VALU_DEP_2)
	v_add_co_u32 v9, vcc_lo, v11, v9
	v_add_co_ci_u32_e32 v9, vcc_lo, v14, v16, vcc_lo
	v_add_co_ci_u32_e32 v11, vcc_lo, 0, v17, vcc_lo
	v_ashrrev_i32_e32 v17, 31, v13
	s_delay_alu instid0(VALU_DEP_3) | instskip(NEXT) | instid1(VALU_DEP_3)
	v_add_co_u32 v7, vcc_lo, v9, v7
	v_add_co_ci_u32_e32 v9, vcc_lo, 0, v11, vcc_lo
	s_delay_alu instid0(VALU_DEP_2) | instskip(NEXT) | instid1(VALU_DEP_2)
	v_add_co_u32 v3, vcc_lo, v3, v7
	v_add_co_ci_u32_e32 v5, vcc_lo, v5, v9, vcc_lo
	s_delay_alu instid0(VALU_DEP_2) | instskip(SKIP_1) | instid1(VALU_DEP_3)
	v_mul_hi_u32 v7, s0, v3
	v_mul_lo_u32 v11, s50, v3
	v_mul_lo_u32 v9, s0, v5
	s_delay_alu instid0(VALU_DEP_1) | instskip(SKIP_1) | instid1(VALU_DEP_2)
	v_add_nc_u32_e32 v7, v7, v9
	v_mul_lo_u32 v9, s0, v3
	v_add_nc_u32_e32 v7, v7, v11
	s_delay_alu instid0(VALU_DEP_2) | instskip(NEXT) | instid1(VALU_DEP_2)
	v_mul_hi_u32 v11, v3, v9
	v_mul_lo_u32 v14, v3, v7
	v_mul_hi_u32 v15, v3, v7
	v_mul_hi_u32 v16, v5, v9
	v_mul_lo_u32 v9, v5, v9
	v_mul_hi_u32 v21, v5, v7
	v_mul_lo_u32 v7, v5, v7
	v_add_co_u32 v11, vcc_lo, v11, v14
	v_add_co_ci_u32_e32 v14, vcc_lo, 0, v15, vcc_lo
	s_delay_alu instid0(VALU_DEP_2) | instskip(NEXT) | instid1(VALU_DEP_2)
	v_add_co_u32 v9, vcc_lo, v11, v9
	v_add_co_ci_u32_e32 v9, vcc_lo, v14, v16, vcc_lo
	v_add_co_ci_u32_e32 v11, vcc_lo, 0, v21, vcc_lo
	v_add_co_u32 v14, vcc_lo, v12, v17
	v_add_co_ci_u32_e32 v13, vcc_lo, v13, v17, vcc_lo
	s_delay_alu instid0(VALU_DEP_4) | instskip(NEXT) | instid1(VALU_DEP_4)
	v_add_co_u32 v7, vcc_lo, v9, v7
	v_add_co_ci_u32_e32 v9, vcc_lo, 0, v11, vcc_lo
	s_delay_alu instid0(VALU_DEP_4) | instskip(NEXT) | instid1(VALU_DEP_3)
	v_xor_b32_e32 v11, v14, v17
	v_add_co_u32 v3, vcc_lo, v3, v7
	s_delay_alu instid0(VALU_DEP_3) | instskip(SKIP_1) | instid1(VALU_DEP_3)
	v_add_co_ci_u32_e32 v5, vcc_lo, v5, v9, vcc_lo
	v_xor_b32_e32 v7, v13, v17
	v_mul_hi_u32 v9, v11, v3
	s_delay_alu instid0(VALU_DEP_3) | instskip(NEXT) | instid1(VALU_DEP_3)
	v_mad_u64_u32 v[13:14], null, v11, v5, 0
	v_mad_u64_u32 v[15:16], null, v7, v3, 0
	;; [unrolled: 1-line block ×3, first 2 shown]
	s_delay_alu instid0(VALU_DEP_3) | instskip(NEXT) | instid1(VALU_DEP_4)
	v_add_co_u32 v3, vcc_lo, v9, v13
	v_add_co_ci_u32_e32 v5, vcc_lo, 0, v14, vcc_lo
	s_delay_alu instid0(VALU_DEP_2) | instskip(NEXT) | instid1(VALU_DEP_2)
	v_add_co_u32 v3, vcc_lo, v3, v15
	v_add_co_ci_u32_e32 v3, vcc_lo, v5, v16, vcc_lo
	v_add_co_ci_u32_e32 v5, vcc_lo, 0, v22, vcc_lo
	s_delay_alu instid0(VALU_DEP_2) | instskip(NEXT) | instid1(VALU_DEP_2)
	v_add_co_u32 v3, vcc_lo, v3, v21
	v_add_co_ci_u32_e32 v5, vcc_lo, 0, v5, vcc_lo
	s_delay_alu instid0(VALU_DEP_2) | instskip(SKIP_1) | instid1(VALU_DEP_3)
	v_mul_lo_u32 v9, s29, v3
	v_mad_u64_u32 v[13:14], null, s28, v3, 0
	v_mul_lo_u32 v15, s28, v5
	s_delay_alu instid0(VALU_DEP_2) | instskip(NEXT) | instid1(VALU_DEP_2)
	v_sub_co_u32 v11, vcc_lo, v11, v13
	v_add3_u32 v9, v14, v15, v9
	s_delay_alu instid0(VALU_DEP_1) | instskip(NEXT) | instid1(VALU_DEP_1)
	v_sub_nc_u32_e32 v14, v7, v9
	v_subrev_co_ci_u32_e64 v13, s0, s29, v14, vcc_lo
	v_add_co_u32 v14, s0, v3, 2
	s_delay_alu instid0(VALU_DEP_1) | instskip(SKIP_3) | instid1(VALU_DEP_3)
	v_add_co_ci_u32_e64 v15, s0, 0, v5, s0
	v_sub_co_u32 v16, s0, v11, s28
	v_sub_co_ci_u32_e32 v7, vcc_lo, v7, v9, vcc_lo
	v_subrev_co_ci_u32_e64 v13, s0, 0, v13, s0
	v_cmp_le_u32_e32 vcc_lo, s28, v16
	s_delay_alu instid0(VALU_DEP_3) | instskip(SKIP_1) | instid1(VALU_DEP_4)
	v_cmp_eq_u32_e64 s0, s29, v7
	v_cndmask_b32_e64 v9, 0, -1, vcc_lo
	v_cmp_le_u32_e32 vcc_lo, s29, v13
	v_cndmask_b32_e64 v16, 0, -1, vcc_lo
	v_cmp_le_u32_e32 vcc_lo, s28, v11
	v_cndmask_b32_e64 v11, 0, -1, vcc_lo
	v_cmp_le_u32_e32 vcc_lo, s29, v7
	v_cndmask_b32_e64 v21, 0, -1, vcc_lo
	v_cmp_eq_u32_e32 vcc_lo, s29, v13
	s_delay_alu instid0(VALU_DEP_2) | instskip(SKIP_3) | instid1(VALU_DEP_3)
	v_cndmask_b32_e64 v7, v21, v11, s0
	v_cndmask_b32_e32 v9, v16, v9, vcc_lo
	v_add_co_u32 v13, vcc_lo, v3, 1
	v_add_co_ci_u32_e32 v16, vcc_lo, 0, v5, vcc_lo
	v_cmp_ne_u32_e32 vcc_lo, 0, v9
	s_delay_alu instid0(VALU_DEP_2) | instskip(NEXT) | instid1(VALU_DEP_4)
	v_cndmask_b32_e32 v9, v16, v15, vcc_lo
	v_cndmask_b32_e32 v11, v13, v14, vcc_lo
	v_cmp_ne_u32_e32 vcc_lo, 0, v7
	v_xor_b32_e32 v7, s22, v17
	s_delay_alu instid0(VALU_DEP_3) | instskip(SKIP_2) | instid1(VALU_DEP_3)
	v_cndmask_b32_e32 v3, v3, v11, vcc_lo
	v_cndmask_b32_e32 v5, v5, v9, vcc_lo
	v_xor_b32_e32 v9, s23, v17
	v_xor_b32_e32 v3, v3, v7
	s_delay_alu instid0(VALU_DEP_2) | instskip(NEXT) | instid1(VALU_DEP_2)
	v_xor_b32_e32 v5, v5, v9
	v_sub_co_u32 v14, vcc_lo, v3, v7
	s_delay_alu instid0(VALU_DEP_2)
	v_sub_co_ci_u32_e32 v15, vcc_lo, v5, v9, vcc_lo
.LBB97_32:                              ;   in Loop: Header=BB97_22 Depth=2
	s_and_not1_saveexec_b32 s0, s49
	s_cbranch_execz .LBB97_34
; %bb.33:                               ;   in Loop: Header=BB97_22 Depth=2
	v_cvt_f32_u32_e32 v3, s48
	s_sub_i32 s22, 0, s48
	v_mov_b32_e32 v15, v2
	s_delay_alu instid0(VALU_DEP_2) | instskip(SKIP_2) | instid1(VALU_DEP_1)
	v_rcp_iflag_f32_e32 v3, v3
	s_waitcnt_depctr 0xfff
	v_mul_f32_e32 v3, 0x4f7ffffe, v3
	v_cvt_u32_f32_e32 v3, v3
	s_delay_alu instid0(VALU_DEP_1) | instskip(NEXT) | instid1(VALU_DEP_1)
	v_mul_lo_u32 v5, s22, v3
	v_mul_hi_u32 v5, v3, v5
	s_delay_alu instid0(VALU_DEP_1) | instskip(NEXT) | instid1(VALU_DEP_1)
	v_add_nc_u32_e32 v3, v3, v5
	v_mul_hi_u32 v3, v12, v3
	s_delay_alu instid0(VALU_DEP_1) | instskip(SKIP_1) | instid1(VALU_DEP_2)
	v_mul_lo_u32 v5, v3, s48
	v_add_nc_u32_e32 v7, 1, v3
	v_sub_nc_u32_e32 v5, v12, v5
	s_delay_alu instid0(VALU_DEP_1) | instskip(SKIP_1) | instid1(VALU_DEP_4)
	v_cmp_le_u32_e32 vcc_lo, s48, v5
	v_subrev_nc_u32_e32 v9, s48, v5
	v_cndmask_b32_e32 v3, v3, v7, vcc_lo
	s_delay_alu instid0(VALU_DEP_1) | instskip(NEXT) | instid1(VALU_DEP_3)
	v_add_nc_u32_e32 v7, 1, v3
	v_cndmask_b32_e32 v5, v5, v9, vcc_lo
	s_delay_alu instid0(VALU_DEP_1) | instskip(NEXT) | instid1(VALU_DEP_3)
	v_cmp_le_u32_e32 vcc_lo, s48, v5
	v_cndmask_b32_e32 v14, v3, v7, vcc_lo
.LBB97_34:                              ;   in Loop: Header=BB97_22 Depth=2
	s_or_b32 exec_lo, exec_lo, s0
	s_add_u32 s28, s36, s24
	s_addc_u32 s29, s37, s25
	s_add_i32 s22, s16, -3
	s_mov_b32 s23, s17
                                        ; implicit-def: $vgpr16_vgpr17
	s_delay_alu instid0(SALU_CYCLE_1) | instskip(NEXT) | instid1(SALU_CYCLE_1)
	s_lshl_b64 s[24:25], s[22:23], 2
	s_add_u32 s22, s31, s24
	s_addc_u32 s23, s33, s25
	s_clause 0x2
	s_load_b32 s51, s[22:23], 0x8
	s_load_b32 s49, s[26:27], 0x6c
	;; [unrolled: 1-line block ×3, first 2 shown]
	s_mov_b32 s26, exec_lo
	s_waitcnt lgkmcnt(0)
	s_ashr_i32 s0, s51, 31
	s_delay_alu instid0(SALU_CYCLE_1) | instskip(NEXT) | instid1(VALU_DEP_1)
	v_or_b32_e32 v3, s0, v15
	v_cmpx_ne_u64_e32 0, v[2:3]
	s_xor_b32 s52, exec_lo, s26
	s_cbranch_execz .LBB97_36
; %bb.35:                               ;   in Loop: Header=BB97_22 Depth=2
	s_add_u32 s28, s51, s0
	s_mov_b32 s26, s0
	s_mov_b32 s27, s0
	s_addc_u32 s29, s0, s0
	s_delay_alu instid0(SALU_CYCLE_1) | instskip(NEXT) | instid1(SALU_CYCLE_1)
	s_xor_b64 s[28:29], s[28:29], s[26:27]
	v_cvt_f32_u32_e32 v3, s28
	v_cvt_f32_u32_e32 v5, s29
	s_sub_u32 s0, 0, s28
	s_subb_u32 s53, 0, s29
	s_delay_alu instid0(VALU_DEP_1) | instskip(NEXT) | instid1(VALU_DEP_1)
	v_fmac_f32_e32 v3, 0x4f800000, v5
	v_rcp_f32_e32 v3, v3
	s_waitcnt_depctr 0xfff
	v_mul_f32_e32 v3, 0x5f7ffffc, v3
	s_delay_alu instid0(VALU_DEP_1) | instskip(NEXT) | instid1(VALU_DEP_1)
	v_mul_f32_e32 v5, 0x2f800000, v3
	v_trunc_f32_e32 v5, v5
	s_delay_alu instid0(VALU_DEP_1) | instskip(SKIP_1) | instid1(VALU_DEP_2)
	v_fmac_f32_e32 v3, 0xcf800000, v5
	v_cvt_u32_f32_e32 v5, v5
	v_cvt_u32_f32_e32 v3, v3
	s_delay_alu instid0(VALU_DEP_2) | instskip(NEXT) | instid1(VALU_DEP_2)
	v_mul_lo_u32 v7, s0, v5
	v_mul_hi_u32 v9, s0, v3
	v_mul_lo_u32 v11, s53, v3
	s_delay_alu instid0(VALU_DEP_2) | instskip(SKIP_1) | instid1(VALU_DEP_2)
	v_add_nc_u32_e32 v7, v9, v7
	v_mul_lo_u32 v9, s0, v3
	v_add_nc_u32_e32 v7, v7, v11
	s_delay_alu instid0(VALU_DEP_2) | instskip(NEXT) | instid1(VALU_DEP_2)
	v_mul_hi_u32 v11, v3, v9
	v_mul_lo_u32 v13, v3, v7
	v_mul_hi_u32 v16, v3, v7
	v_mul_hi_u32 v17, v5, v9
	v_mul_lo_u32 v9, v5, v9
	v_mul_hi_u32 v21, v5, v7
	v_mul_lo_u32 v7, v5, v7
	v_add_co_u32 v11, vcc_lo, v11, v13
	v_add_co_ci_u32_e32 v13, vcc_lo, 0, v16, vcc_lo
	s_delay_alu instid0(VALU_DEP_2) | instskip(NEXT) | instid1(VALU_DEP_2)
	v_add_co_u32 v9, vcc_lo, v11, v9
	v_add_co_ci_u32_e32 v9, vcc_lo, v13, v17, vcc_lo
	v_add_co_ci_u32_e32 v11, vcc_lo, 0, v21, vcc_lo
	v_ashrrev_i32_e32 v17, 31, v15
	s_delay_alu instid0(VALU_DEP_3) | instskip(NEXT) | instid1(VALU_DEP_3)
	v_add_co_u32 v7, vcc_lo, v9, v7
	v_add_co_ci_u32_e32 v9, vcc_lo, 0, v11, vcc_lo
	s_delay_alu instid0(VALU_DEP_2) | instskip(NEXT) | instid1(VALU_DEP_2)
	v_add_co_u32 v3, vcc_lo, v3, v7
	v_add_co_ci_u32_e32 v5, vcc_lo, v5, v9, vcc_lo
	s_delay_alu instid0(VALU_DEP_2) | instskip(SKIP_1) | instid1(VALU_DEP_3)
	v_mul_hi_u32 v7, s0, v3
	v_mul_lo_u32 v11, s53, v3
	v_mul_lo_u32 v9, s0, v5
	s_delay_alu instid0(VALU_DEP_1) | instskip(SKIP_1) | instid1(VALU_DEP_2)
	v_add_nc_u32_e32 v7, v7, v9
	v_mul_lo_u32 v9, s0, v3
	v_add_nc_u32_e32 v7, v7, v11
	s_delay_alu instid0(VALU_DEP_2) | instskip(NEXT) | instid1(VALU_DEP_2)
	v_mul_hi_u32 v11, v3, v9
	v_mul_lo_u32 v13, v3, v7
	v_mul_hi_u32 v16, v3, v7
	v_mul_hi_u32 v21, v5, v9
	v_mul_lo_u32 v9, v5, v9
	v_mul_hi_u32 v22, v5, v7
	v_mul_lo_u32 v7, v5, v7
	v_add_co_u32 v11, vcc_lo, v11, v13
	v_add_co_ci_u32_e32 v13, vcc_lo, 0, v16, vcc_lo
	s_delay_alu instid0(VALU_DEP_2) | instskip(NEXT) | instid1(VALU_DEP_2)
	v_add_co_u32 v9, vcc_lo, v11, v9
	v_add_co_ci_u32_e32 v9, vcc_lo, v13, v21, vcc_lo
	v_add_co_ci_u32_e32 v11, vcc_lo, 0, v22, vcc_lo
	v_add_co_u32 v13, vcc_lo, v14, v17
	v_add_co_ci_u32_e32 v15, vcc_lo, v15, v17, vcc_lo
	s_delay_alu instid0(VALU_DEP_4) | instskip(NEXT) | instid1(VALU_DEP_4)
	v_add_co_u32 v7, vcc_lo, v9, v7
	v_add_co_ci_u32_e32 v9, vcc_lo, 0, v11, vcc_lo
	s_delay_alu instid0(VALU_DEP_4) | instskip(NEXT) | instid1(VALU_DEP_3)
	v_xor_b32_e32 v11, v13, v17
	v_add_co_u32 v3, vcc_lo, v3, v7
	s_delay_alu instid0(VALU_DEP_3) | instskip(SKIP_1) | instid1(VALU_DEP_3)
	v_add_co_ci_u32_e32 v5, vcc_lo, v5, v9, vcc_lo
	v_xor_b32_e32 v7, v15, v17
	v_mul_hi_u32 v9, v11, v3
	s_delay_alu instid0(VALU_DEP_3) | instskip(NEXT) | instid1(VALU_DEP_3)
	v_mad_u64_u32 v[15:16], null, v11, v5, 0
	v_mad_u64_u32 v[21:22], null, v7, v3, 0
	;; [unrolled: 1-line block ×3, first 2 shown]
	s_delay_alu instid0(VALU_DEP_3) | instskip(NEXT) | instid1(VALU_DEP_4)
	v_add_co_u32 v3, vcc_lo, v9, v15
	v_add_co_ci_u32_e32 v5, vcc_lo, 0, v16, vcc_lo
	s_delay_alu instid0(VALU_DEP_2) | instskip(NEXT) | instid1(VALU_DEP_2)
	v_add_co_u32 v3, vcc_lo, v3, v21
	v_add_co_ci_u32_e32 v3, vcc_lo, v5, v22, vcc_lo
	v_add_co_ci_u32_e32 v5, vcc_lo, 0, v24, vcc_lo
	s_delay_alu instid0(VALU_DEP_2) | instskip(NEXT) | instid1(VALU_DEP_2)
	v_add_co_u32 v3, vcc_lo, v3, v23
	v_add_co_ci_u32_e32 v5, vcc_lo, 0, v5, vcc_lo
	s_delay_alu instid0(VALU_DEP_2) | instskip(SKIP_1) | instid1(VALU_DEP_3)
	v_mul_lo_u32 v9, s29, v3
	v_mad_u64_u32 v[15:16], null, s28, v3, 0
	v_mul_lo_u32 v13, s28, v5
	s_delay_alu instid0(VALU_DEP_2) | instskip(NEXT) | instid1(VALU_DEP_2)
	v_sub_co_u32 v11, vcc_lo, v11, v15
	v_add3_u32 v9, v16, v13, v9
	s_delay_alu instid0(VALU_DEP_1) | instskip(NEXT) | instid1(VALU_DEP_1)
	v_sub_nc_u32_e32 v13, v7, v9
	v_subrev_co_ci_u32_e64 v13, s0, s29, v13, vcc_lo
	v_add_co_u32 v15, s0, v3, 2
	s_delay_alu instid0(VALU_DEP_1) | instskip(SKIP_3) | instid1(VALU_DEP_3)
	v_add_co_ci_u32_e64 v16, s0, 0, v5, s0
	v_sub_co_u32 v21, s0, v11, s28
	v_sub_co_ci_u32_e32 v7, vcc_lo, v7, v9, vcc_lo
	v_subrev_co_ci_u32_e64 v13, s0, 0, v13, s0
	v_cmp_le_u32_e32 vcc_lo, s28, v21
	s_delay_alu instid0(VALU_DEP_3) | instskip(SKIP_1) | instid1(VALU_DEP_4)
	v_cmp_eq_u32_e64 s0, s29, v7
	v_cndmask_b32_e64 v9, 0, -1, vcc_lo
	v_cmp_le_u32_e32 vcc_lo, s29, v13
	v_cndmask_b32_e64 v21, 0, -1, vcc_lo
	v_cmp_le_u32_e32 vcc_lo, s28, v11
	;; [unrolled: 2-line block ×3, first 2 shown]
	v_cndmask_b32_e64 v22, 0, -1, vcc_lo
	v_cmp_eq_u32_e32 vcc_lo, s29, v13
	s_delay_alu instid0(VALU_DEP_2) | instskip(SKIP_3) | instid1(VALU_DEP_3)
	v_cndmask_b32_e64 v7, v22, v11, s0
	v_cndmask_b32_e32 v9, v21, v9, vcc_lo
	v_add_co_u32 v13, vcc_lo, v3, 1
	v_add_co_ci_u32_e32 v21, vcc_lo, 0, v5, vcc_lo
	v_cmp_ne_u32_e32 vcc_lo, 0, v9
	s_delay_alu instid0(VALU_DEP_2) | instskip(NEXT) | instid1(VALU_DEP_4)
	v_cndmask_b32_e32 v9, v21, v16, vcc_lo
	v_cndmask_b32_e32 v11, v13, v15, vcc_lo
	v_cmp_ne_u32_e32 vcc_lo, 0, v7
	v_xor_b32_e32 v7, s26, v17
	s_delay_alu instid0(VALU_DEP_3) | instskip(SKIP_2) | instid1(VALU_DEP_3)
	v_cndmask_b32_e32 v3, v3, v11, vcc_lo
	v_cndmask_b32_e32 v5, v5, v9, vcc_lo
	v_xor_b32_e32 v9, s27, v17
	v_xor_b32_e32 v3, v3, v7
	s_delay_alu instid0(VALU_DEP_2) | instskip(NEXT) | instid1(VALU_DEP_2)
	v_xor_b32_e32 v5, v5, v9
	v_sub_co_u32 v16, vcc_lo, v3, v7
	s_delay_alu instid0(VALU_DEP_2)
	v_sub_co_ci_u32_e32 v17, vcc_lo, v5, v9, vcc_lo
.LBB97_36:                              ;   in Loop: Header=BB97_22 Depth=2
	s_and_not1_saveexec_b32 s0, s52
	s_cbranch_execz .LBB97_38
; %bb.37:                               ;   in Loop: Header=BB97_22 Depth=2
	v_cvt_f32_u32_e32 v3, s51
	s_sub_i32 s26, 0, s51
	v_mov_b32_e32 v17, v2
	s_delay_alu instid0(VALU_DEP_2) | instskip(SKIP_2) | instid1(VALU_DEP_1)
	v_rcp_iflag_f32_e32 v3, v3
	s_waitcnt_depctr 0xfff
	v_mul_f32_e32 v3, 0x4f7ffffe, v3
	v_cvt_u32_f32_e32 v3, v3
	s_delay_alu instid0(VALU_DEP_1) | instskip(NEXT) | instid1(VALU_DEP_1)
	v_mul_lo_u32 v5, s26, v3
	v_mul_hi_u32 v5, v3, v5
	s_delay_alu instid0(VALU_DEP_1) | instskip(NEXT) | instid1(VALU_DEP_1)
	v_add_nc_u32_e32 v3, v3, v5
	v_mul_hi_u32 v3, v14, v3
	s_delay_alu instid0(VALU_DEP_1) | instskip(SKIP_1) | instid1(VALU_DEP_2)
	v_mul_lo_u32 v5, v3, s51
	v_add_nc_u32_e32 v7, 1, v3
	v_sub_nc_u32_e32 v5, v14, v5
	s_delay_alu instid0(VALU_DEP_1) | instskip(SKIP_1) | instid1(VALU_DEP_4)
	v_cmp_le_u32_e32 vcc_lo, s51, v5
	v_subrev_nc_u32_e32 v9, s51, v5
	v_cndmask_b32_e32 v3, v3, v7, vcc_lo
	s_delay_alu instid0(VALU_DEP_1) | instskip(NEXT) | instid1(VALU_DEP_3)
	v_add_nc_u32_e32 v7, 1, v3
	v_cndmask_b32_e32 v5, v5, v9, vcc_lo
	s_delay_alu instid0(VALU_DEP_1) | instskip(NEXT) | instid1(VALU_DEP_3)
	v_cmp_le_u32_e32 vcc_lo, s51, v5
	v_cndmask_b32_e32 v16, v3, v7, vcc_lo
.LBB97_38:                              ;   in Loop: Header=BB97_22 Depth=2
	s_or_b32 exec_lo, exec_lo, s0
	s_add_u32 s24, s36, s24
	s_addc_u32 s25, s37, s25
	v_mul_lo_u32 v3, v10, s13
	s_clause 0x1
	s_load_b32 s0, s[22:23], 0x6c
	s_load_b32 s13, s[24:25], 0x0
	v_mul_lo_u32 v5, v12, s45
	v_mul_lo_u32 v7, v14, s48
	;; [unrolled: 1-line block ×3, first 2 shown]
	s_add_i32 s16, s16, -4
	s_delay_alu instid0(SALU_CYCLE_1) | instskip(SKIP_1) | instid1(VALU_DEP_4)
	s_cmp_eq_u32 s16, -1
	v_sub_nc_u32_e32 v3, v8, v3
	v_sub_nc_u32_e32 v5, v10, v5
	s_delay_alu instid0(VALU_DEP_4) | instskip(NEXT) | instid1(VALU_DEP_4)
	v_sub_nc_u32_e32 v7, v12, v7
	v_sub_nc_u32_e32 v8, v14, v9
	s_delay_alu instid0(VALU_DEP_4)
	v_mul_lo_u32 v9, s43, v3
	v_mul_lo_u32 v3, s44, v3
	;; [unrolled: 1-line block ×6, first 2 shown]
	s_waitcnt lgkmcnt(0)
	v_mul_lo_u32 v12, s0, v8
	v_mul_lo_u32 v8, s13, v8
	v_add3_u32 v6, v9, v6, v10
	v_add3_u32 v3, v3, v4, v5
	s_delay_alu instid0(VALU_DEP_2) | instskip(NEXT) | instid1(VALU_DEP_2)
	v_add3_u32 v6, v11, v6, v12
	v_add3_u32 v4, v7, v3, v8
	s_cbranch_scc1 .LBB97_40
; %bb.39:                               ;   in Loop: Header=BB97_22 Depth=2
	v_dual_mov_b32 v8, v16 :: v_dual_mov_b32 v9, v17
	s_branch .LBB97_22
.LBB97_40:                              ;   in Loop: Header=BB97_3 Depth=1
	v_sub_nc_u32_e32 v5, v19, v20
	v_dual_mov_b32 v3, 0 :: v_dual_mov_b32 v12, 0
	s_delay_alu instid0(VALU_DEP_2) | instskip(NEXT) | instid1(VALU_DEP_1)
	v_add_nc_u32_e32 v7, 4, v5
	v_ashrrev_i32_e32 v8, 31, v7
	s_delay_alu instid0(VALU_DEP_1)
	v_cmp_le_i64_e32 vcc_lo, s[4:5], v[7:8]
	v_dual_mov_b32 v8, 0 :: v_dual_mov_b32 v7, 0
	s_and_saveexec_b32 s0, vcc_lo
	s_cbranch_execz .LBB97_50
; %bb.41:                               ;   in Loop: Header=BB97_3 Depth=1
	v_dual_mov_b32 v11, 0 :: v_dual_mov_b32 v10, 0
	v_mov_b32_e32 v9, 0
	v_mov_b32_e32 v3, 0
	s_mov_b32 s13, exec_lo
	v_cmpx_gt_i32_e64 s9, v19
	s_cbranch_execz .LBB97_49
; %bb.42:                               ;   in Loop: Header=BB97_3 Depth=1
	v_ashrrev_i32_e32 v7, 31, v6
	v_dual_mov_b32 v10, 0 :: v_dual_add_nc_u32 v9, 1, v19
	v_mov_b32_e32 v11, 0
	s_delay_alu instid0(VALU_DEP_3) | instskip(NEXT) | instid1(VALU_DEP_1)
	v_lshlrev_b64 v[7:8], 1, v[6:7]
	v_add_co_u32 v7, vcc_lo, s2, v7
	s_delay_alu instid0(VALU_DEP_2) | instskip(SKIP_4) | instid1(SALU_CYCLE_1)
	v_add_co_ci_u32_e32 v8, vcc_lo, s3, v8, vcc_lo
	v_cmp_gt_i32_e32 vcc_lo, s9, v9
	v_mov_b32_e32 v9, 0
	global_load_u16 v3, v[7:8], off
	s_and_saveexec_b32 s16, vcc_lo
	s_xor_b32 s16, exec_lo, s16
	s_cbranch_execz .LBB97_48
; %bb.43:                               ;   in Loop: Header=BB97_3 Depth=1
	s_lshl_b64 s[22:23], s[18:19], 1
	v_mov_b32_e32 v11, 0
	v_add_co_u32 v7, vcc_lo, v7, s22
	v_add_co_ci_u32_e32 v8, vcc_lo, s23, v8, vcc_lo
	s_mov_b32 s22, exec_lo
	v_mov_b32_e32 v10, 0
	global_load_u16 v9, v[7:8], off
	v_add_nc_u32_e32 v7, 2, v19
	s_delay_alu instid0(VALU_DEP_1)
	v_cmpx_gt_i32_e64 s9, v7
	s_xor_b32 s22, exec_lo, s22
	s_cbranch_execz .LBB97_47
; %bb.44:                               ;   in Loop: Header=BB97_3 Depth=1
	v_add3_u32 v6, s18, s18, v6
	v_mov_b32_e32 v11, 0
	s_mov_b32 s23, exec_lo
	s_delay_alu instid0(VALU_DEP_2) | instskip(NEXT) | instid1(VALU_DEP_1)
	v_ashrrev_i32_e32 v7, 31, v6
	v_lshlrev_b64 v[7:8], 1, v[6:7]
	s_delay_alu instid0(VALU_DEP_1) | instskip(NEXT) | instid1(VALU_DEP_2)
	v_add_co_u32 v7, vcc_lo, s2, v7
	v_add_co_ci_u32_e32 v8, vcc_lo, s3, v8, vcc_lo
	global_load_u16 v10, v[7:8], off
	v_add_nc_u32_e32 v7, 3, v19
	s_delay_alu instid0(VALU_DEP_1)
	v_cmpx_gt_i32_e64 s9, v7
	s_xor_b32 s23, exec_lo, s23
	s_cbranch_execz .LBB97_46
; %bb.45:                               ;   in Loop: Header=BB97_3 Depth=1
	v_add_nc_u32_e32 v6, s18, v6
	s_delay_alu instid0(VALU_DEP_1) | instskip(NEXT) | instid1(VALU_DEP_1)
	v_ashrrev_i32_e32 v7, 31, v6
	v_lshlrev_b64 v[6:7], 1, v[6:7]
	s_delay_alu instid0(VALU_DEP_1) | instskip(NEXT) | instid1(VALU_DEP_2)
	v_add_co_u32 v6, vcc_lo, s2, v6
	v_add_co_ci_u32_e32 v7, vcc_lo, s3, v7, vcc_lo
	global_load_u16 v11, v[6:7], off
.LBB97_46:                              ;   in Loop: Header=BB97_3 Depth=1
	s_or_b32 exec_lo, exec_lo, s23
.LBB97_47:                              ;   in Loop: Header=BB97_3 Depth=1
	s_delay_alu instid0(SALU_CYCLE_1)
	s_or_b32 exec_lo, exec_lo, s22
.LBB97_48:                              ;   in Loop: Header=BB97_3 Depth=1
	s_delay_alu instid0(SALU_CYCLE_1)
	s_or_b32 exec_lo, exec_lo, s16
.LBB97_49:                              ;   in Loop: Header=BB97_3 Depth=1
	s_delay_alu instid0(SALU_CYCLE_1) | instskip(SKIP_3) | instid1(VALU_DEP_3)
	s_or_b32 exec_lo, exec_lo, s13
	v_ashrrev_i32_e32 v6, 31, v5
	v_add_nc_u32_e32 v13, 2, v5
	v_add_nc_u32_e32 v15, 3, v5
	v_cmp_le_i64_e32 vcc_lo, s[4:5], v[5:6]
	v_add_nc_u32_e32 v7, 1, v5
	s_delay_alu instid0(VALU_DEP_4) | instskip(NEXT) | instid1(VALU_DEP_4)
	v_ashrrev_i32_e32 v14, 31, v13
	v_ashrrev_i32_e32 v16, 31, v15
	s_waitcnt vmcnt(0)
	v_cndmask_b32_e32 v12, 0, v3, vcc_lo
	v_ashrrev_i32_e32 v8, 31, v7
	s_delay_alu instid0(VALU_DEP_1)
	v_cmp_le_i64_e32 vcc_lo, s[4:5], v[7:8]
	v_cndmask_b32_e32 v3, 0, v9, vcc_lo
	v_cmp_le_i64_e32 vcc_lo, s[4:5], v[13:14]
	v_cndmask_b32_e32 v8, 0, v10, vcc_lo
	;; [unrolled: 2-line block ×3, first 2 shown]
.LBB97_50:                              ;   in Loop: Header=BB97_3 Depth=1
	s_or_b32 exec_lo, exec_lo, s0
	s_delay_alu instid0(SALU_CYCLE_1)
	s_mov_b32 s0, exec_lo
	v_cmpx_gt_i32_e64 s9, v19
	s_cbranch_execz .LBB97_2
; %bb.51:                               ;   in Loop: Header=BB97_3 Depth=1
	v_ashrrev_i32_e32 v5, 31, v4
	v_add_nc_u32_e32 v9, 1, v19
	s_mov_b32 s13, exec_lo
	s_delay_alu instid0(VALU_DEP_2) | instskip(NEXT) | instid1(VALU_DEP_1)
	v_lshlrev_b64 v[5:6], 1, v[4:5]
	v_add_co_u32 v5, vcc_lo, s14, v5
	s_delay_alu instid0(VALU_DEP_2)
	v_add_co_ci_u32_e32 v6, vcc_lo, s15, v6, vcc_lo
	global_store_b16 v[5:6], v12, off
	v_cmpx_gt_i32_e64 s9, v9
	s_xor_b32 s13, exec_lo, s13
	s_cbranch_execz .LBB97_2
; %bb.52:                               ;   in Loop: Header=BB97_3 Depth=1
	s_lshl_b64 s[22:23], s[20:21], 1
	v_add_nc_u32_e32 v9, 2, v19
	v_add_co_u32 v5, vcc_lo, v5, s22
	v_add_co_ci_u32_e32 v6, vcc_lo, s23, v6, vcc_lo
	s_mov_b32 s13, exec_lo
	global_store_b16 v[5:6], v3, off
	v_cmpx_gt_i32_e64 s9, v9
	s_xor_b32 s13, exec_lo, s13
	s_cbranch_execz .LBB97_2
; %bb.53:                               ;   in Loop: Header=BB97_3 Depth=1
	v_add3_u32 v3, s20, s20, v4
	v_add_nc_u32_e32 v6, 3, v19
	s_mov_b32 s13, exec_lo
	s_delay_alu instid0(VALU_DEP_2) | instskip(NEXT) | instid1(VALU_DEP_1)
	v_ashrrev_i32_e32 v4, 31, v3
	v_lshlrev_b64 v[4:5], 1, v[3:4]
	s_delay_alu instid0(VALU_DEP_1) | instskip(NEXT) | instid1(VALU_DEP_2)
	v_add_co_u32 v4, vcc_lo, s14, v4
	v_add_co_ci_u32_e32 v5, vcc_lo, s15, v5, vcc_lo
	global_store_b16 v[4:5], v8, off
	v_cmpx_gt_i32_e64 s9, v6
	s_xor_b32 s13, exec_lo, s13
	s_cbranch_execz .LBB97_2
; %bb.54:                               ;   in Loop: Header=BB97_3 Depth=1
	v_add_nc_u32_e32 v3, s20, v3
	s_delay_alu instid0(VALU_DEP_1) | instskip(NEXT) | instid1(VALU_DEP_1)
	v_ashrrev_i32_e32 v4, 31, v3
	v_lshlrev_b64 v[3:4], 1, v[3:4]
	s_delay_alu instid0(VALU_DEP_1) | instskip(NEXT) | instid1(VALU_DEP_2)
	v_add_co_u32 v3, vcc_lo, s14, v3
	v_add_co_ci_u32_e32 v4, vcc_lo, s15, v4, vcc_lo
	global_store_b16 v[3:4], v7, off
	s_branch .LBB97_2
.LBB97_55:
	s_nop 0
	s_sendmsg sendmsg(MSG_DEALLOC_VGPRS)
	s_endpgm
	.section	.rodata,"a",@progbits
	.p2align	6, 0x0
	.amdhsa_kernel _ZN2at6native16triu_tril_kernelIN3c108BFloat16EiLb1ELi4ELb0EEEvNS_4cuda6detail10TensorInfoIT_T0_EENS6_IKS7_S8_EEllS8_
		.amdhsa_group_segment_fixed_size 0
		.amdhsa_private_segment_fixed_size 0
		.amdhsa_kernarg_size 712
		.amdhsa_user_sgpr_count 15
		.amdhsa_user_sgpr_dispatch_ptr 0
		.amdhsa_user_sgpr_queue_ptr 0
		.amdhsa_user_sgpr_kernarg_segment_ptr 1
		.amdhsa_user_sgpr_dispatch_id 0
		.amdhsa_user_sgpr_private_segment_size 0
		.amdhsa_wavefront_size32 1
		.amdhsa_uses_dynamic_stack 0
		.amdhsa_enable_private_segment 0
		.amdhsa_system_sgpr_workgroup_id_x 1
		.amdhsa_system_sgpr_workgroup_id_y 0
		.amdhsa_system_sgpr_workgroup_id_z 0
		.amdhsa_system_sgpr_workgroup_info 0
		.amdhsa_system_vgpr_workitem_id 0
		.amdhsa_next_free_vgpr 25
		.amdhsa_next_free_sgpr 54
		.amdhsa_reserve_vcc 1
		.amdhsa_float_round_mode_32 0
		.amdhsa_float_round_mode_16_64 0
		.amdhsa_float_denorm_mode_32 3
		.amdhsa_float_denorm_mode_16_64 3
		.amdhsa_dx10_clamp 1
		.amdhsa_ieee_mode 1
		.amdhsa_fp16_overflow 0
		.amdhsa_workgroup_processor_mode 1
		.amdhsa_memory_ordered 1
		.amdhsa_forward_progress 0
		.amdhsa_shared_vgpr_count 0
		.amdhsa_exception_fp_ieee_invalid_op 0
		.amdhsa_exception_fp_denorm_src 0
		.amdhsa_exception_fp_ieee_div_zero 0
		.amdhsa_exception_fp_ieee_overflow 0
		.amdhsa_exception_fp_ieee_underflow 0
		.amdhsa_exception_fp_ieee_inexact 0
		.amdhsa_exception_int_div_zero 0
	.end_amdhsa_kernel
	.section	.text._ZN2at6native16triu_tril_kernelIN3c108BFloat16EiLb1ELi4ELb0EEEvNS_4cuda6detail10TensorInfoIT_T0_EENS6_IKS7_S8_EEllS8_,"axG",@progbits,_ZN2at6native16triu_tril_kernelIN3c108BFloat16EiLb1ELi4ELb0EEEvNS_4cuda6detail10TensorInfoIT_T0_EENS6_IKS7_S8_EEllS8_,comdat
.Lfunc_end97:
	.size	_ZN2at6native16triu_tril_kernelIN3c108BFloat16EiLb1ELi4ELb0EEEvNS_4cuda6detail10TensorInfoIT_T0_EENS6_IKS7_S8_EEllS8_, .Lfunc_end97-_ZN2at6native16triu_tril_kernelIN3c108BFloat16EiLb1ELi4ELb0EEEvNS_4cuda6detail10TensorInfoIT_T0_EENS6_IKS7_S8_EEllS8_
                                        ; -- End function
	.section	.AMDGPU.csdata,"",@progbits
; Kernel info:
; codeLenInByte = 8712
; NumSgprs: 56
; NumVgprs: 25
; ScratchSize: 0
; MemoryBound: 0
; FloatMode: 240
; IeeeMode: 1
; LDSByteSize: 0 bytes/workgroup (compile time only)
; SGPRBlocks: 6
; VGPRBlocks: 3
; NumSGPRsForWavesPerEU: 56
; NumVGPRsForWavesPerEU: 25
; Occupancy: 16
; WaveLimiterHint : 0
; COMPUTE_PGM_RSRC2:SCRATCH_EN: 0
; COMPUTE_PGM_RSRC2:USER_SGPR: 15
; COMPUTE_PGM_RSRC2:TRAP_HANDLER: 0
; COMPUTE_PGM_RSRC2:TGID_X_EN: 1
; COMPUTE_PGM_RSRC2:TGID_Y_EN: 0
; COMPUTE_PGM_RSRC2:TGID_Z_EN: 0
; COMPUTE_PGM_RSRC2:TIDIG_COMP_CNT: 0
	.section	.text._ZN2at6native16triu_tril_kernelIN3c108BFloat16ElLb1ELi4ELb1EEEvNS_4cuda6detail10TensorInfoIT_T0_EENS6_IKS7_S8_EEllS8_,"axG",@progbits,_ZN2at6native16triu_tril_kernelIN3c108BFloat16ElLb1ELi4ELb1EEEvNS_4cuda6detail10TensorInfoIT_T0_EENS6_IKS7_S8_EEllS8_,comdat
	.protected	_ZN2at6native16triu_tril_kernelIN3c108BFloat16ElLb1ELi4ELb1EEEvNS_4cuda6detail10TensorInfoIT_T0_EENS6_IKS7_S8_EEllS8_ ; -- Begin function _ZN2at6native16triu_tril_kernelIN3c108BFloat16ElLb1ELi4ELb1EEEvNS_4cuda6detail10TensorInfoIT_T0_EENS6_IKS7_S8_EEllS8_
	.globl	_ZN2at6native16triu_tril_kernelIN3c108BFloat16ElLb1ELi4ELb1EEEvNS_4cuda6detail10TensorInfoIT_T0_EENS6_IKS7_S8_EEllS8_
	.p2align	8
	.type	_ZN2at6native16triu_tril_kernelIN3c108BFloat16ElLb1ELi4ELb1EEEvNS_4cuda6detail10TensorInfoIT_T0_EENS6_IKS7_S8_EEllS8_,@function
_ZN2at6native16triu_tril_kernelIN3c108BFloat16ElLb1ELi4ELb1EEEvNS_4cuda6detail10TensorInfoIT_T0_EENS6_IKS7_S8_EEllS8_: ; @_ZN2at6native16triu_tril_kernelIN3c108BFloat16ElLb1ELi4ELb1EEEvNS_4cuda6detail10TensorInfoIT_T0_EENS6_IKS7_S8_EEllS8_
; %bb.0:
	s_clause 0x1
	s_load_b32 s2, s[0:1], 0x364
	s_load_b128 s[4:7], s[0:1], 0x340
	v_mov_b32_e32 v2, 0
	s_add_u32 s8, s0, 0x358
	s_addc_u32 s9, s1, 0
	s_delay_alu instid0(VALU_DEP_1) | instskip(SKIP_3) | instid1(VALU_DEP_1)
	v_mov_b32_e32 v1, v2
	s_waitcnt lgkmcnt(0)
	s_and_b32 s10, s2, 0xffff
	s_mov_b32 s2, exec_lo
	v_mad_u64_u32 v[3:4], null, s10, s15, v[0:1]
	s_delay_alu instid0(VALU_DEP_1) | instskip(NEXT) | instid1(VALU_DEP_1)
	v_lshlrev_b64 v[0:1], 2, v[3:4]
	v_cmpx_gt_i64_e64 s[6:7], v[0:1]
	s_cbranch_execz .LBB98_27
; %bb.1:
	s_clause 0x1
	s_load_b32 s24, s[0:1], 0x338
	s_load_b64 s[2:3], s[0:1], 0x350
	s_load_b32 s11, s[8:9], 0x0
	s_load_b64 s[8:9], s[0:1], 0x0
	s_mov_b32 s45, 0
	s_waitcnt lgkmcnt(0)
	s_ashr_i32 s25, s24, 31
	s_add_u32 s20, s0, 0x1a8
	s_addc_u32 s21, s1, 0
	s_lshl_b64 s[12:13], s[24:25], 3
	v_cvt_f32_u32_e32 v3, s2
	s_add_u32 s14, s12, -16
	s_addc_u32 s15, s13, -1
	s_add_u32 s22, s20, s14
	s_addc_u32 s23, s21, s15
	v_rcp_iflag_f32_e32 v3, v3
	s_add_u32 s17, s12, -8
	s_addc_u32 s18, s13, -1
	s_add_u32 s26, s0, 0xd0
	s_addc_u32 s27, s1, 0
	s_mul_i32 s16, s11, s10
	s_add_u32 s10, s26, s17
	s_addc_u32 s11, s27, s18
	s_add_u32 s12, s26, s14
	s_addc_u32 s13, s27, s15
	s_add_i32 s0, s24, -3
	s_waitcnt_depctr 0xfff
	v_mul_f32_e32 v3, 0x4f7ffffe, v3
	s_ashr_i32 s1, s0, 31
	s_add_u32 s14, s20, s17
	s_addc_u32 s15, s21, s18
	s_lshl_b64 s[18:19], s[0:1], 3
	s_lshl_b32 s33, s16, 2
	s_add_u32 s16, s26, s18
	s_addc_u32 s17, s27, s19
	v_cvt_u32_f32_e32 v3, v3
	s_add_u32 s18, s20, s18
	s_addc_u32 s19, s21, s19
	s_add_u32 s20, s0, 1
	s_addc_u32 s21, s1, 0
	s_sub_i32 s0, 0, s2
	s_load_b64 s[22:23], s[22:23], 0x0
	v_mul_lo_u32 v4, s0, v3
	v_cmp_gt_i64_e64 s44, s[24:25], 2
	s_ashr_i32 s24, s3, 31
	s_delay_alu instid0(VALU_DEP_2) | instskip(NEXT) | instid1(VALU_DEP_1)
	v_mul_hi_u32 v4, v3, v4
	v_add_nc_u32_e32 v14, v3, v4
	s_waitcnt lgkmcnt(0)
	s_ashr_i32 s26, s23, 31
	s_branch .LBB98_3
.LBB98_2:                               ;   in Loop: Header=BB98_3 Depth=1
	s_or_b32 exec_lo, exec_lo, s25
	v_add_co_u32 v0, vcc_lo, v0, s33
	v_add_co_ci_u32_e32 v1, vcc_lo, 0, v1, vcc_lo
	s_delay_alu instid0(VALU_DEP_1) | instskip(SKIP_1) | instid1(SALU_CYCLE_1)
	v_cmp_le_i64_e32 vcc_lo, s[6:7], v[0:1]
	s_or_b32 s45, vcc_lo, s45
	s_and_not1_b32 exec_lo, exec_lo, s45
	s_cbranch_execz .LBB98_27
.LBB98_3:                               ; =>This Loop Header: Depth=1
                                        ;     Child Loop BB98_23 Depth 2
	v_or_b32_e32 v3, s3, v1
                                        ; implicit-def: $vgpr8_vgpr9
	s_mov_b32 s0, exec_lo
	s_delay_alu instid0(VALU_DEP_1)
	v_cmpx_ne_u64_e32 0, v[2:3]
	s_xor_b32 s1, exec_lo, s0
	s_cbranch_execz .LBB98_5
; %bb.4:                                ;   in Loop: Header=BB98_3 Depth=1
	s_add_u32 s28, s2, s24
	s_mov_b32 s25, s24
	s_addc_u32 s29, s3, s24
	s_delay_alu instid0(SALU_CYCLE_1) | instskip(NEXT) | instid1(SALU_CYCLE_1)
	s_xor_b64 s[28:29], s[28:29], s[24:25]
	v_cvt_f32_u32_e32 v3, s28
	v_cvt_f32_u32_e32 v4, s29
	s_sub_u32 s0, 0, s28
	s_subb_u32 s25, 0, s29
	s_delay_alu instid0(VALU_DEP_1) | instskip(NEXT) | instid1(VALU_DEP_1)
	v_fmac_f32_e32 v3, 0x4f800000, v4
	v_rcp_f32_e32 v3, v3
	s_waitcnt_depctr 0xfff
	v_mul_f32_e32 v3, 0x5f7ffffc, v3
	s_delay_alu instid0(VALU_DEP_1) | instskip(NEXT) | instid1(VALU_DEP_1)
	v_mul_f32_e32 v4, 0x2f800000, v3
	v_trunc_f32_e32 v4, v4
	s_delay_alu instid0(VALU_DEP_1) | instskip(SKIP_1) | instid1(VALU_DEP_2)
	v_fmac_f32_e32 v3, 0xcf800000, v4
	v_cvt_u32_f32_e32 v4, v4
	v_cvt_u32_f32_e32 v3, v3
	s_delay_alu instid0(VALU_DEP_2) | instskip(NEXT) | instid1(VALU_DEP_2)
	v_mul_lo_u32 v5, s0, v4
	v_mul_hi_u32 v6, s0, v3
	v_mul_lo_u32 v7, s25, v3
	s_delay_alu instid0(VALU_DEP_2) | instskip(SKIP_1) | instid1(VALU_DEP_2)
	v_add_nc_u32_e32 v5, v6, v5
	v_mul_lo_u32 v6, s0, v3
	v_add_nc_u32_e32 v5, v5, v7
	s_delay_alu instid0(VALU_DEP_2) | instskip(NEXT) | instid1(VALU_DEP_2)
	v_mul_hi_u32 v7, v3, v6
	v_mul_lo_u32 v8, v3, v5
	v_mul_hi_u32 v9, v3, v5
	v_mul_hi_u32 v10, v4, v6
	v_mul_lo_u32 v6, v4, v6
	v_mul_hi_u32 v11, v4, v5
	v_mul_lo_u32 v5, v4, v5
	v_add_co_u32 v7, vcc_lo, v7, v8
	v_add_co_ci_u32_e32 v8, vcc_lo, 0, v9, vcc_lo
	s_delay_alu instid0(VALU_DEP_2) | instskip(NEXT) | instid1(VALU_DEP_2)
	v_add_co_u32 v6, vcc_lo, v7, v6
	v_add_co_ci_u32_e32 v6, vcc_lo, v8, v10, vcc_lo
	v_add_co_ci_u32_e32 v7, vcc_lo, 0, v11, vcc_lo
	v_ashrrev_i32_e32 v10, 31, v1
	s_delay_alu instid0(VALU_DEP_3) | instskip(NEXT) | instid1(VALU_DEP_3)
	v_add_co_u32 v5, vcc_lo, v6, v5
	v_add_co_ci_u32_e32 v6, vcc_lo, 0, v7, vcc_lo
	s_delay_alu instid0(VALU_DEP_2) | instskip(NEXT) | instid1(VALU_DEP_2)
	v_add_co_u32 v3, vcc_lo, v3, v5
	v_add_co_ci_u32_e32 v4, vcc_lo, v4, v6, vcc_lo
	s_delay_alu instid0(VALU_DEP_2) | instskip(SKIP_1) | instid1(VALU_DEP_3)
	v_mul_hi_u32 v5, s0, v3
	v_mul_lo_u32 v7, s25, v3
	v_mul_lo_u32 v6, s0, v4
	s_delay_alu instid0(VALU_DEP_1) | instskip(SKIP_1) | instid1(VALU_DEP_2)
	v_add_nc_u32_e32 v5, v5, v6
	v_mul_lo_u32 v6, s0, v3
	v_add_nc_u32_e32 v5, v5, v7
	s_delay_alu instid0(VALU_DEP_2) | instskip(NEXT) | instid1(VALU_DEP_2)
	v_mul_hi_u32 v7, v3, v6
	v_mul_lo_u32 v8, v3, v5
	v_mul_hi_u32 v9, v3, v5
	v_mul_hi_u32 v11, v4, v6
	v_mul_lo_u32 v6, v4, v6
	v_mul_hi_u32 v12, v4, v5
	v_mul_lo_u32 v5, v4, v5
	v_add_co_u32 v7, vcc_lo, v7, v8
	v_add_co_ci_u32_e32 v8, vcc_lo, 0, v9, vcc_lo
	s_delay_alu instid0(VALU_DEP_2) | instskip(NEXT) | instid1(VALU_DEP_2)
	v_add_co_u32 v6, vcc_lo, v7, v6
	v_add_co_ci_u32_e32 v6, vcc_lo, v8, v11, vcc_lo
	v_add_co_ci_u32_e32 v7, vcc_lo, 0, v12, vcc_lo
	v_add_co_u32 v8, vcc_lo, v0, v10
	v_add_co_ci_u32_e32 v9, vcc_lo, v1, v10, vcc_lo
	s_delay_alu instid0(VALU_DEP_4) | instskip(NEXT) | instid1(VALU_DEP_4)
	v_add_co_u32 v5, vcc_lo, v6, v5
	v_add_co_ci_u32_e32 v6, vcc_lo, 0, v7, vcc_lo
	s_delay_alu instid0(VALU_DEP_4) | instskip(NEXT) | instid1(VALU_DEP_3)
	v_xor_b32_e32 v11, v8, v10
	v_add_co_u32 v7, vcc_lo, v3, v5
	s_delay_alu instid0(VALU_DEP_3) | instskip(SKIP_1) | instid1(VALU_DEP_3)
	v_add_co_ci_u32_e32 v12, vcc_lo, v4, v6, vcc_lo
	v_xor_b32_e32 v9, v9, v10
	v_mul_hi_u32 v13, v11, v7
	s_delay_alu instid0(VALU_DEP_3) | instskip(NEXT) | instid1(VALU_DEP_3)
	v_mad_u64_u32 v[3:4], null, v11, v12, 0
	v_mad_u64_u32 v[5:6], null, v9, v7, 0
	;; [unrolled: 1-line block ×3, first 2 shown]
	s_delay_alu instid0(VALU_DEP_3) | instskip(NEXT) | instid1(VALU_DEP_4)
	v_add_co_u32 v3, vcc_lo, v13, v3
	v_add_co_ci_u32_e32 v4, vcc_lo, 0, v4, vcc_lo
	s_delay_alu instid0(VALU_DEP_2) | instskip(NEXT) | instid1(VALU_DEP_2)
	v_add_co_u32 v3, vcc_lo, v3, v5
	v_add_co_ci_u32_e32 v3, vcc_lo, v4, v6, vcc_lo
	v_add_co_ci_u32_e32 v4, vcc_lo, 0, v8, vcc_lo
	s_delay_alu instid0(VALU_DEP_2) | instskip(NEXT) | instid1(VALU_DEP_2)
	v_add_co_u32 v5, vcc_lo, v3, v7
	v_add_co_ci_u32_e32 v6, vcc_lo, 0, v4, vcc_lo
	s_delay_alu instid0(VALU_DEP_2) | instskip(SKIP_1) | instid1(VALU_DEP_3)
	v_mul_lo_u32 v7, s29, v5
	v_mad_u64_u32 v[3:4], null, s28, v5, 0
	v_mul_lo_u32 v8, s28, v6
	s_delay_alu instid0(VALU_DEP_2) | instskip(NEXT) | instid1(VALU_DEP_2)
	v_sub_co_u32 v3, vcc_lo, v11, v3
	v_add3_u32 v4, v4, v8, v7
	s_delay_alu instid0(VALU_DEP_1) | instskip(NEXT) | instid1(VALU_DEP_1)
	v_sub_nc_u32_e32 v7, v9, v4
	v_subrev_co_ci_u32_e64 v7, s0, s29, v7, vcc_lo
	v_add_co_u32 v8, s0, v5, 2
	s_delay_alu instid0(VALU_DEP_1) | instskip(SKIP_3) | instid1(VALU_DEP_3)
	v_add_co_ci_u32_e64 v11, s0, 0, v6, s0
	v_sub_co_u32 v12, s0, v3, s28
	v_sub_co_ci_u32_e32 v4, vcc_lo, v9, v4, vcc_lo
	v_subrev_co_ci_u32_e64 v7, s0, 0, v7, s0
	v_cmp_le_u32_e32 vcc_lo, s28, v12
	s_delay_alu instid0(VALU_DEP_3) | instskip(SKIP_1) | instid1(VALU_DEP_4)
	v_cmp_eq_u32_e64 s0, s29, v4
	v_cndmask_b32_e64 v9, 0, -1, vcc_lo
	v_cmp_le_u32_e32 vcc_lo, s29, v7
	v_cndmask_b32_e64 v12, 0, -1, vcc_lo
	v_cmp_le_u32_e32 vcc_lo, s28, v3
	v_cndmask_b32_e64 v3, 0, -1, vcc_lo
	v_cmp_le_u32_e32 vcc_lo, s29, v4
	v_cndmask_b32_e64 v13, 0, -1, vcc_lo
	v_cmp_eq_u32_e32 vcc_lo, s29, v7
	s_delay_alu instid0(VALU_DEP_2) | instskip(SKIP_3) | instid1(VALU_DEP_3)
	v_cndmask_b32_e64 v3, v13, v3, s0
	v_cndmask_b32_e32 v7, v12, v9, vcc_lo
	v_add_co_u32 v9, vcc_lo, v5, 1
	v_add_co_ci_u32_e32 v12, vcc_lo, 0, v6, vcc_lo
	v_cmp_ne_u32_e32 vcc_lo, 0, v7
	s_delay_alu instid0(VALU_DEP_2) | instskip(SKIP_2) | instid1(VALU_DEP_3)
	v_dual_cndmask_b32 v4, v12, v11 :: v_dual_cndmask_b32 v7, v9, v8
	v_cmp_ne_u32_e32 vcc_lo, 0, v3
	v_xor_b32_e32 v3, s24, v10
	v_dual_cndmask_b32 v5, v5, v7 :: v_dual_cndmask_b32 v4, v6, v4
	s_delay_alu instid0(VALU_DEP_1) | instskip(NEXT) | instid1(VALU_DEP_2)
	v_xor_b32_e32 v5, v5, v3
	v_xor_b32_e32 v4, v4, v3
	s_delay_alu instid0(VALU_DEP_2) | instskip(NEXT) | instid1(VALU_DEP_2)
	v_sub_co_u32 v8, vcc_lo, v5, v3
	v_sub_co_ci_u32_e32 v9, vcc_lo, v4, v3, vcc_lo
.LBB98_5:                               ;   in Loop: Header=BB98_3 Depth=1
	s_and_not1_saveexec_b32 s0, s1
; %bb.6:                                ;   in Loop: Header=BB98_3 Depth=1
	v_mul_hi_u32 v3, v0, v14
	v_mov_b32_e32 v9, v2
	s_delay_alu instid0(VALU_DEP_2) | instskip(NEXT) | instid1(VALU_DEP_1)
	v_mul_lo_u32 v4, v3, s2
	v_sub_nc_u32_e32 v4, v0, v4
	s_delay_alu instid0(VALU_DEP_1) | instskip(SKIP_1) | instid1(VALU_DEP_2)
	v_subrev_nc_u32_e32 v6, s2, v4
	v_cmp_le_u32_e32 vcc_lo, s2, v4
	v_dual_cndmask_b32 v4, v4, v6 :: v_dual_add_nc_u32 v5, 1, v3
	s_delay_alu instid0(VALU_DEP_1) | instskip(NEXT) | instid1(VALU_DEP_2)
	v_cndmask_b32_e32 v3, v3, v5, vcc_lo
	v_cmp_le_u32_e32 vcc_lo, s2, v4
	s_delay_alu instid0(VALU_DEP_2) | instskip(NEXT) | instid1(VALU_DEP_1)
	v_add_nc_u32_e32 v5, 1, v3
	v_cndmask_b32_e32 v8, v3, v5, vcc_lo
; %bb.7:                                ;   in Loop: Header=BB98_3 Depth=1
	s_or_b32 exec_lo, exec_lo, s0
	v_or_b32_e32 v3, s23, v9
                                        ; implicit-def: $vgpr6_vgpr7
	s_mov_b32 s0, exec_lo
	s_delay_alu instid0(VALU_DEP_1)
	v_cmpx_ne_u64_e32 0, v[2:3]
	s_xor_b32 s1, exec_lo, s0
	s_cbranch_execz .LBB98_9
; %bb.8:                                ;   in Loop: Header=BB98_3 Depth=1
	s_add_u32 s28, s22, s26
	s_mov_b32 s27, s26
	s_addc_u32 s29, s23, s26
	s_delay_alu instid0(SALU_CYCLE_1) | instskip(NEXT) | instid1(SALU_CYCLE_1)
	s_xor_b64 s[28:29], s[28:29], s[26:27]
	v_cvt_f32_u32_e32 v3, s28
	v_cvt_f32_u32_e32 v4, s29
	s_sub_u32 s0, 0, s28
	s_subb_u32 s25, 0, s29
	s_delay_alu instid0(VALU_DEP_1) | instskip(NEXT) | instid1(VALU_DEP_1)
	v_fmac_f32_e32 v3, 0x4f800000, v4
	v_rcp_f32_e32 v3, v3
	s_waitcnt_depctr 0xfff
	v_mul_f32_e32 v3, 0x5f7ffffc, v3
	s_delay_alu instid0(VALU_DEP_1) | instskip(NEXT) | instid1(VALU_DEP_1)
	v_mul_f32_e32 v4, 0x2f800000, v3
	v_trunc_f32_e32 v4, v4
	s_delay_alu instid0(VALU_DEP_1) | instskip(SKIP_1) | instid1(VALU_DEP_2)
	v_fmac_f32_e32 v3, 0xcf800000, v4
	v_cvt_u32_f32_e32 v4, v4
	v_cvt_u32_f32_e32 v3, v3
	s_delay_alu instid0(VALU_DEP_2) | instskip(NEXT) | instid1(VALU_DEP_2)
	v_mul_lo_u32 v5, s0, v4
	v_mul_hi_u32 v6, s0, v3
	v_mul_lo_u32 v7, s25, v3
	s_delay_alu instid0(VALU_DEP_2) | instskip(SKIP_1) | instid1(VALU_DEP_2)
	v_add_nc_u32_e32 v5, v6, v5
	v_mul_lo_u32 v6, s0, v3
	v_add_nc_u32_e32 v5, v5, v7
	s_delay_alu instid0(VALU_DEP_2) | instskip(NEXT) | instid1(VALU_DEP_2)
	v_mul_hi_u32 v7, v3, v6
	v_mul_lo_u32 v10, v3, v5
	v_mul_hi_u32 v11, v3, v5
	v_mul_hi_u32 v12, v4, v6
	v_mul_lo_u32 v6, v4, v6
	v_mul_hi_u32 v13, v4, v5
	v_mul_lo_u32 v5, v4, v5
	v_add_co_u32 v7, vcc_lo, v7, v10
	v_add_co_ci_u32_e32 v10, vcc_lo, 0, v11, vcc_lo
	s_delay_alu instid0(VALU_DEP_2) | instskip(NEXT) | instid1(VALU_DEP_2)
	v_add_co_u32 v6, vcc_lo, v7, v6
	v_add_co_ci_u32_e32 v6, vcc_lo, v10, v12, vcc_lo
	v_add_co_ci_u32_e32 v7, vcc_lo, 0, v13, vcc_lo
	v_ashrrev_i32_e32 v12, 31, v9
	s_delay_alu instid0(VALU_DEP_3) | instskip(NEXT) | instid1(VALU_DEP_3)
	v_add_co_u32 v5, vcc_lo, v6, v5
	v_add_co_ci_u32_e32 v6, vcc_lo, 0, v7, vcc_lo
	s_delay_alu instid0(VALU_DEP_2) | instskip(NEXT) | instid1(VALU_DEP_2)
	v_add_co_u32 v3, vcc_lo, v3, v5
	v_add_co_ci_u32_e32 v4, vcc_lo, v4, v6, vcc_lo
	s_delay_alu instid0(VALU_DEP_2) | instskip(SKIP_1) | instid1(VALU_DEP_3)
	v_mul_hi_u32 v5, s0, v3
	v_mul_lo_u32 v7, s25, v3
	v_mul_lo_u32 v6, s0, v4
	s_delay_alu instid0(VALU_DEP_1) | instskip(SKIP_1) | instid1(VALU_DEP_2)
	v_add_nc_u32_e32 v5, v5, v6
	v_mul_lo_u32 v6, s0, v3
	v_add_nc_u32_e32 v5, v5, v7
	s_delay_alu instid0(VALU_DEP_2) | instskip(NEXT) | instid1(VALU_DEP_2)
	v_mul_hi_u32 v7, v3, v6
	v_mul_lo_u32 v10, v3, v5
	v_mul_hi_u32 v11, v3, v5
	v_mul_hi_u32 v13, v4, v6
	v_mul_lo_u32 v6, v4, v6
	v_mul_hi_u32 v15, v4, v5
	v_mul_lo_u32 v5, v4, v5
	v_add_co_u32 v7, vcc_lo, v7, v10
	v_add_co_ci_u32_e32 v10, vcc_lo, 0, v11, vcc_lo
	s_delay_alu instid0(VALU_DEP_2) | instskip(NEXT) | instid1(VALU_DEP_2)
	v_add_co_u32 v6, vcc_lo, v7, v6
	v_add_co_ci_u32_e32 v6, vcc_lo, v10, v13, vcc_lo
	v_add_co_ci_u32_e32 v7, vcc_lo, 0, v15, vcc_lo
	v_add_co_u32 v10, vcc_lo, v8, v12
	v_add_co_ci_u32_e32 v11, vcc_lo, v9, v12, vcc_lo
	s_delay_alu instid0(VALU_DEP_4) | instskip(NEXT) | instid1(VALU_DEP_4)
	v_add_co_u32 v5, vcc_lo, v6, v5
	v_add_co_ci_u32_e32 v6, vcc_lo, 0, v7, vcc_lo
	s_delay_alu instid0(VALU_DEP_4) | instskip(NEXT) | instid1(VALU_DEP_3)
	v_xor_b32_e32 v7, v10, v12
	v_add_co_u32 v10, vcc_lo, v3, v5
	s_delay_alu instid0(VALU_DEP_3) | instskip(SKIP_1) | instid1(VALU_DEP_3)
	v_add_co_ci_u32_e32 v13, vcc_lo, v4, v6, vcc_lo
	v_xor_b32_e32 v15, v11, v12
	v_mul_hi_u32 v16, v7, v10
	s_delay_alu instid0(VALU_DEP_3) | instskip(NEXT) | instid1(VALU_DEP_3)
	v_mad_u64_u32 v[3:4], null, v7, v13, 0
	v_mad_u64_u32 v[5:6], null, v15, v10, 0
	v_mad_u64_u32 v[10:11], null, v15, v13, 0
	s_delay_alu instid0(VALU_DEP_3) | instskip(NEXT) | instid1(VALU_DEP_4)
	v_add_co_u32 v3, vcc_lo, v16, v3
	v_add_co_ci_u32_e32 v4, vcc_lo, 0, v4, vcc_lo
	s_delay_alu instid0(VALU_DEP_2) | instskip(NEXT) | instid1(VALU_DEP_2)
	v_add_co_u32 v3, vcc_lo, v3, v5
	v_add_co_ci_u32_e32 v3, vcc_lo, v4, v6, vcc_lo
	v_add_co_ci_u32_e32 v4, vcc_lo, 0, v11, vcc_lo
	s_delay_alu instid0(VALU_DEP_2) | instskip(NEXT) | instid1(VALU_DEP_2)
	v_add_co_u32 v5, vcc_lo, v3, v10
	v_add_co_ci_u32_e32 v6, vcc_lo, 0, v4, vcc_lo
	s_delay_alu instid0(VALU_DEP_2) | instskip(SKIP_1) | instid1(VALU_DEP_3)
	v_mul_lo_u32 v10, s29, v5
	v_mad_u64_u32 v[3:4], null, s28, v5, 0
	v_mul_lo_u32 v11, s28, v6
	s_delay_alu instid0(VALU_DEP_2) | instskip(NEXT) | instid1(VALU_DEP_2)
	v_sub_co_u32 v3, vcc_lo, v7, v3
	v_add3_u32 v4, v4, v11, v10
	s_delay_alu instid0(VALU_DEP_1) | instskip(NEXT) | instid1(VALU_DEP_1)
	v_sub_nc_u32_e32 v10, v15, v4
	v_subrev_co_ci_u32_e64 v7, s0, s29, v10, vcc_lo
	v_add_co_u32 v10, s0, v5, 2
	s_delay_alu instid0(VALU_DEP_1) | instskip(SKIP_3) | instid1(VALU_DEP_3)
	v_add_co_ci_u32_e64 v11, s0, 0, v6, s0
	v_sub_co_u32 v13, s0, v3, s28
	v_sub_co_ci_u32_e32 v4, vcc_lo, v15, v4, vcc_lo
	v_subrev_co_ci_u32_e64 v7, s0, 0, v7, s0
	v_cmp_le_u32_e32 vcc_lo, s28, v13
	s_delay_alu instid0(VALU_DEP_3) | instskip(SKIP_1) | instid1(VALU_DEP_4)
	v_cmp_eq_u32_e64 s0, s29, v4
	v_cndmask_b32_e64 v13, 0, -1, vcc_lo
	v_cmp_le_u32_e32 vcc_lo, s29, v7
	v_cndmask_b32_e64 v15, 0, -1, vcc_lo
	v_cmp_le_u32_e32 vcc_lo, s28, v3
	;; [unrolled: 2-line block ×3, first 2 shown]
	v_cndmask_b32_e64 v16, 0, -1, vcc_lo
	v_cmp_eq_u32_e32 vcc_lo, s29, v7
	s_delay_alu instid0(VALU_DEP_2) | instskip(SKIP_3) | instid1(VALU_DEP_3)
	v_cndmask_b32_e64 v3, v16, v3, s0
	v_cndmask_b32_e32 v7, v15, v13, vcc_lo
	v_add_co_u32 v13, vcc_lo, v5, 1
	v_add_co_ci_u32_e32 v15, vcc_lo, 0, v6, vcc_lo
	v_cmp_ne_u32_e32 vcc_lo, 0, v7
	s_delay_alu instid0(VALU_DEP_2) | instskip(SKIP_2) | instid1(VALU_DEP_3)
	v_dual_cndmask_b32 v4, v15, v11 :: v_dual_cndmask_b32 v7, v13, v10
	v_cmp_ne_u32_e32 vcc_lo, 0, v3
	v_xor_b32_e32 v3, s26, v12
	v_dual_cndmask_b32 v5, v5, v7 :: v_dual_cndmask_b32 v4, v6, v4
	s_delay_alu instid0(VALU_DEP_1) | instskip(NEXT) | instid1(VALU_DEP_2)
	v_xor_b32_e32 v5, v5, v3
	v_xor_b32_e32 v4, v4, v3
	s_delay_alu instid0(VALU_DEP_2) | instskip(NEXT) | instid1(VALU_DEP_2)
	v_sub_co_u32 v6, vcc_lo, v5, v3
	v_sub_co_ci_u32_e32 v7, vcc_lo, v4, v3, vcc_lo
.LBB98_9:                               ;   in Loop: Header=BB98_3 Depth=1
	s_and_not1_saveexec_b32 s0, s1
	s_cbranch_execz .LBB98_11
; %bb.10:                               ;   in Loop: Header=BB98_3 Depth=1
	v_cvt_f32_u32_e32 v3, s22
	s_sub_i32 s1, 0, s22
	v_mov_b32_e32 v7, v2
	s_delay_alu instid0(VALU_DEP_2) | instskip(SKIP_2) | instid1(VALU_DEP_1)
	v_rcp_iflag_f32_e32 v3, v3
	s_waitcnt_depctr 0xfff
	v_mul_f32_e32 v3, 0x4f7ffffe, v3
	v_cvt_u32_f32_e32 v3, v3
	s_delay_alu instid0(VALU_DEP_1) | instskip(NEXT) | instid1(VALU_DEP_1)
	v_mul_lo_u32 v4, s1, v3
	v_mul_hi_u32 v4, v3, v4
	s_delay_alu instid0(VALU_DEP_1) | instskip(NEXT) | instid1(VALU_DEP_1)
	v_add_nc_u32_e32 v3, v3, v4
	v_mul_hi_u32 v3, v8, v3
	s_delay_alu instid0(VALU_DEP_1) | instskip(SKIP_1) | instid1(VALU_DEP_2)
	v_mul_lo_u32 v4, v3, s22
	v_add_nc_u32_e32 v5, 1, v3
	v_sub_nc_u32_e32 v4, v8, v4
	s_delay_alu instid0(VALU_DEP_1) | instskip(SKIP_1) | instid1(VALU_DEP_2)
	v_subrev_nc_u32_e32 v6, s22, v4
	v_cmp_le_u32_e32 vcc_lo, s22, v4
	v_dual_cndmask_b32 v4, v4, v6 :: v_dual_cndmask_b32 v3, v3, v5
	s_delay_alu instid0(VALU_DEP_1) | instskip(NEXT) | instid1(VALU_DEP_2)
	v_cmp_le_u32_e32 vcc_lo, s22, v4
	v_add_nc_u32_e32 v5, 1, v3
	s_delay_alu instid0(VALU_DEP_1)
	v_cndmask_b32_e32 v6, v3, v5, vcc_lo
.LBB98_11:                              ;   in Loop: Header=BB98_3 Depth=1
	s_or_b32 exec_lo, exec_lo, s0
	v_mul_lo_u32 v5, v9, s2
	v_mul_lo_u32 v12, v8, s3
	v_mad_u64_u32 v[3:4], null, v8, s2, 0
	v_mul_lo_u32 v13, v7, s22
	v_mul_lo_u32 v15, v6, s23
	v_mad_u64_u32 v[10:11], null, v6, s22, 0
	s_mov_b32 s25, exec_lo
	s_delay_alu instid0(VALU_DEP_4) | instskip(SKIP_1) | instid1(VALU_DEP_3)
	v_add3_u32 v5, v4, v12, v5
	v_sub_co_u32 v4, vcc_lo, v0, v3
	v_add3_u32 v11, v11, v15, v13
	s_delay_alu instid0(VALU_DEP_3) | instskip(SKIP_1) | instid1(VALU_DEP_3)
	v_sub_co_ci_u32_e32 v5, vcc_lo, v1, v5, vcc_lo
	v_sub_co_u32 v15, vcc_lo, v8, v10
	v_sub_co_ci_u32_e32 v16, vcc_lo, v9, v11, vcc_lo
	s_delay_alu instid0(VALU_DEP_2) | instskip(NEXT) | instid1(VALU_DEP_2)
	v_sub_co_u32 v8, vcc_lo, v4, v15
	v_sub_co_ci_u32_e32 v9, vcc_lo, v5, v16, vcc_lo
	s_delay_alu instid0(VALU_DEP_1)
	v_cmpx_gt_i64_e64 s[4:5], v[8:9]
	s_cbranch_execz .LBB98_2
; %bb.12:                               ;   in Loop: Header=BB98_3 Depth=1
	s_clause 0x1
	s_load_b64 s[28:29], s[10:11], 0x0
	s_load_b64 s[0:1], s[12:13], 0x0
	s_and_b32 vcc_lo, exec_lo, s44
	s_mov_b64 s[30:31], s[20:21]
	s_mov_b64 s[34:35], s[18:19]
	;; [unrolled: 1-line block ×3, first 2 shown]
	s_waitcnt lgkmcnt(0)
	v_mul_lo_u32 v3, s29, v4
	v_mul_lo_u32 v10, s28, v5
	v_mad_u64_u32 v[8:9], null, s28, v4, 0
	s_delay_alu instid0(VALU_DEP_1) | instskip(SKIP_1) | instid1(VALU_DEP_2)
	v_add3_u32 v9, v9, v10, v3
	v_mul_lo_u32 v3, s0, v16
	v_mad_u64_u32 v[12:13], null, s0, v15, v[8:9]
	v_mul_lo_u32 v8, s1, v15
	s_delay_alu instid0(VALU_DEP_1) | instskip(NEXT) | instid1(VALU_DEP_1)
	v_add3_u32 v13, v8, v13, v3
	v_dual_mov_b32 v8, v12 :: v_dual_mov_b32 v9, v13
	s_cbranch_vccnz .LBB98_23
.LBB98_13:                              ;   in Loop: Header=BB98_3 Depth=1
	s_load_b64 s[0:1], s[14:15], 0x0
	s_waitcnt lgkmcnt(0)
	v_cmp_gt_i64_e32 vcc_lo, s[0:1], v[4:5]
	s_and_b32 exec_lo, exec_lo, vcc_lo
	s_cbranch_execz .LBB98_2
; %bb.14:                               ;   in Loop: Header=BB98_3 Depth=1
	v_lshlrev_b64 v[6:7], 1, v[12:13]
	v_add_co_u32 v8, vcc_lo, v4, 1
	v_add_co_ci_u32_e32 v9, vcc_lo, 0, v5, vcc_lo
	s_delay_alu instid0(VALU_DEP_3) | instskip(NEXT) | instid1(VALU_DEP_4)
	v_add_co_u32 v6, vcc_lo, s8, v6
	v_add_co_ci_u32_e32 v7, vcc_lo, s9, v7, vcc_lo
	s_delay_alu instid0(VALU_DEP_3)
	v_cmp_gt_i64_e32 vcc_lo, s[0:1], v[8:9]
	global_store_b16 v[6:7], v2, off
	s_and_b32 exec_lo, exec_lo, vcc_lo
	s_cbranch_execz .LBB98_2
; %bb.15:                               ;   in Loop: Header=BB98_3 Depth=1
	v_sub_co_u32 v8, vcc_lo, v8, v15
	v_sub_co_ci_u32_e32 v9, vcc_lo, v9, v16, vcc_lo
	s_mov_b32 s27, exec_lo
	s_delay_alu instid0(VALU_DEP_1)
	v_cmpx_gt_i64_e64 s[4:5], v[8:9]
	s_cbranch_execz .LBB98_17
; %bb.16:                               ;   in Loop: Header=BB98_3 Depth=1
	s_lshl_b64 s[30:31], s[28:29], 1
	s_delay_alu instid0(SALU_CYCLE_1)
	v_add_co_u32 v8, vcc_lo, v6, s30
	v_add_co_ci_u32_e32 v9, vcc_lo, s31, v7, vcc_lo
	global_store_b16 v[8:9], v2, off
.LBB98_17:                              ;   in Loop: Header=BB98_3 Depth=1
	s_or_b32 exec_lo, exec_lo, s27
	v_add_co_u32 v8, vcc_lo, v4, 2
	v_add_co_ci_u32_e32 v9, vcc_lo, 0, v5, vcc_lo
	s_delay_alu instid0(VALU_DEP_1)
	v_cmp_gt_i64_e32 vcc_lo, s[0:1], v[8:9]
	s_and_b32 exec_lo, exec_lo, vcc_lo
	s_cbranch_execz .LBB98_2
; %bb.18:                               ;   in Loop: Header=BB98_3 Depth=1
	v_sub_co_u32 v8, vcc_lo, v8, v15
	v_sub_co_ci_u32_e32 v9, vcc_lo, v9, v16, vcc_lo
	s_mov_b32 s27, exec_lo
	s_delay_alu instid0(VALU_DEP_1)
	v_cmpx_gt_i64_e64 s[4:5], v[8:9]
	s_cbranch_execz .LBB98_20
; %bb.19:                               ;   in Loop: Header=BB98_3 Depth=1
	s_lshl_b64 s[30:31], s[28:29], 2
	s_delay_alu instid0(SALU_CYCLE_1)
	v_add_co_u32 v8, vcc_lo, v6, s30
	v_add_co_ci_u32_e32 v9, vcc_lo, s31, v7, vcc_lo
	global_store_b16 v[8:9], v2, off
.LBB98_20:                              ;   in Loop: Header=BB98_3 Depth=1
	s_or_b32 exec_lo, exec_lo, s27
	v_add_co_u32 v3, vcc_lo, v4, 3
	v_add_co_ci_u32_e32 v4, vcc_lo, 0, v5, vcc_lo
	s_delay_alu instid0(VALU_DEP_2) | instskip(NEXT) | instid1(VALU_DEP_2)
	v_sub_co_u32 v8, vcc_lo, v3, v15
	v_sub_co_ci_u32_e32 v9, vcc_lo, v4, v16, vcc_lo
	v_cmp_gt_i64_e32 vcc_lo, s[0:1], v[3:4]
	s_delay_alu instid0(VALU_DEP_2) | instskip(NEXT) | instid1(VALU_DEP_1)
	v_cmp_gt_i64_e64 s0, s[4:5], v[8:9]
	s_and_b32 s0, vcc_lo, s0
	s_delay_alu instid0(SALU_CYCLE_1)
	s_and_b32 exec_lo, exec_lo, s0
	s_cbranch_execz .LBB98_2
; %bb.21:                               ;   in Loop: Header=BB98_3 Depth=1
	v_mad_u64_u32 v[3:4], null, s28, 6, v[6:7]
	s_delay_alu instid0(VALU_DEP_1) | instskip(NEXT) | instid1(VALU_DEP_1)
	v_mad_u64_u32 v[5:6], null, s29, 6, v[4:5]
	v_mov_b32_e32 v4, v5
	global_store_b16 v[3:4], v2, off
	s_branch .LBB98_2
.LBB98_22:                              ;   in Loop: Header=BB98_23 Depth=2
	s_or_b32 exec_lo, exec_lo, s0
	s_load_b64 s[0:1], s[36:37], 0x0
	s_delay_alu instid0(VALU_DEP_1)
	v_mul_lo_u32 v3, v11, s38
	v_mul_lo_u32 v17, v10, s39
	v_mad_u64_u32 v[12:13], null, v10, s38, 0
	s_add_u32 s36, s36, -8
	s_addc_u32 s37, s37, -1
	s_add_u32 s34, s34, -8
	s_addc_u32 s35, s35, -1
	;; [unrolled: 2-line block ×3, first 2 shown]
	s_delay_alu instid0(VALU_DEP_1) | instskip(SKIP_1) | instid1(VALU_DEP_2)
	v_add3_u32 v3, v13, v17, v3
	v_sub_co_u32 v6, vcc_lo, v6, v12
	v_sub_co_ci_u32_e32 v3, vcc_lo, v7, v3, vcc_lo
	s_waitcnt lgkmcnt(0)
	s_delay_alu instid0(VALU_DEP_2) | instskip(NEXT) | instid1(VALU_DEP_2)
	v_mul_lo_u32 v7, s1, v6
	v_mul_lo_u32 v3, s0, v3
	v_mad_u64_u32 v[12:13], null, s0, v6, v[8:9]
	v_cmp_lt_i64_e64 s0, s[30:31], 1
	s_delay_alu instid0(VALU_DEP_1) | instskip(NEXT) | instid1(VALU_DEP_2)
	s_and_b32 vcc_lo, exec_lo, s0
	v_add3_u32 v13, v7, v13, v3
	s_delay_alu instid0(VALU_DEP_3) | instskip(SKIP_1) | instid1(VALU_DEP_3)
	v_mov_b32_e32 v8, v12
	v_dual_mov_b32 v6, v10 :: v_dual_mov_b32 v7, v11
	v_mov_b32_e32 v9, v13
	s_cbranch_vccnz .LBB98_13
.LBB98_23:                              ;   Parent Loop BB98_3 Depth=1
                                        ; =>  This Inner Loop Header: Depth=2
	s_load_b64 s[38:39], s[34:35], 0x0
                                        ; implicit-def: $vgpr10_vgpr11
	s_mov_b32 s0, exec_lo
	s_waitcnt lgkmcnt(0)
	v_or_b32_e32 v3, s39, v7
	s_delay_alu instid0(VALU_DEP_1)
	v_cmpx_ne_u64_e32 0, v[2:3]
	s_xor_b32 s1, exec_lo, s0
	s_cbranch_execz .LBB98_25
; %bb.24:                               ;   in Loop: Header=BB98_23 Depth=2
	s_ashr_i32 s40, s39, 31
	s_delay_alu instid0(SALU_CYCLE_1) | instskip(SKIP_2) | instid1(SALU_CYCLE_1)
	s_add_u32 s42, s38, s40
	s_mov_b32 s41, s40
	s_addc_u32 s43, s39, s40
	s_xor_b64 s[42:43], s[42:43], s[40:41]
	s_delay_alu instid0(SALU_CYCLE_1) | instskip(SKIP_3) | instid1(VALU_DEP_1)
	v_cvt_f32_u32_e32 v3, s42
	v_cvt_f32_u32_e32 v10, s43
	s_sub_u32 s0, 0, s42
	s_subb_u32 s27, 0, s43
	v_fmac_f32_e32 v3, 0x4f800000, v10
	s_delay_alu instid0(VALU_DEP_1) | instskip(SKIP_2) | instid1(VALU_DEP_1)
	v_rcp_f32_e32 v3, v3
	s_waitcnt_depctr 0xfff
	v_mul_f32_e32 v3, 0x5f7ffffc, v3
	v_mul_f32_e32 v10, 0x2f800000, v3
	s_delay_alu instid0(VALU_DEP_1) | instskip(NEXT) | instid1(VALU_DEP_1)
	v_trunc_f32_e32 v10, v10
	v_fmac_f32_e32 v3, 0xcf800000, v10
	v_cvt_u32_f32_e32 v10, v10
	s_delay_alu instid0(VALU_DEP_2) | instskip(NEXT) | instid1(VALU_DEP_2)
	v_cvt_u32_f32_e32 v3, v3
	v_mul_lo_u32 v11, s0, v10
	s_delay_alu instid0(VALU_DEP_2) | instskip(SKIP_1) | instid1(VALU_DEP_2)
	v_mul_hi_u32 v12, s0, v3
	v_mul_lo_u32 v13, s27, v3
	v_add_nc_u32_e32 v11, v12, v11
	v_mul_lo_u32 v12, s0, v3
	s_delay_alu instid0(VALU_DEP_2) | instskip(NEXT) | instid1(VALU_DEP_2)
	v_add_nc_u32_e32 v11, v11, v13
	v_mul_hi_u32 v13, v3, v12
	s_delay_alu instid0(VALU_DEP_2)
	v_mul_lo_u32 v17, v3, v11
	v_mul_hi_u32 v18, v3, v11
	v_mul_hi_u32 v19, v10, v12
	v_mul_lo_u32 v12, v10, v12
	v_mul_hi_u32 v20, v10, v11
	v_mul_lo_u32 v11, v10, v11
	v_add_co_u32 v13, vcc_lo, v13, v17
	v_add_co_ci_u32_e32 v17, vcc_lo, 0, v18, vcc_lo
	s_delay_alu instid0(VALU_DEP_2) | instskip(NEXT) | instid1(VALU_DEP_2)
	v_add_co_u32 v12, vcc_lo, v13, v12
	v_add_co_ci_u32_e32 v12, vcc_lo, v17, v19, vcc_lo
	v_add_co_ci_u32_e32 v13, vcc_lo, 0, v20, vcc_lo
	v_ashrrev_i32_e32 v19, 31, v7
	s_delay_alu instid0(VALU_DEP_3) | instskip(NEXT) | instid1(VALU_DEP_3)
	v_add_co_u32 v11, vcc_lo, v12, v11
	v_add_co_ci_u32_e32 v12, vcc_lo, 0, v13, vcc_lo
	s_delay_alu instid0(VALU_DEP_2) | instskip(NEXT) | instid1(VALU_DEP_2)
	v_add_co_u32 v3, vcc_lo, v3, v11
	v_add_co_ci_u32_e32 v10, vcc_lo, v10, v12, vcc_lo
	s_delay_alu instid0(VALU_DEP_2) | instskip(SKIP_1) | instid1(VALU_DEP_3)
	v_mul_hi_u32 v11, s0, v3
	v_mul_lo_u32 v13, s27, v3
	v_mul_lo_u32 v12, s0, v10
	s_delay_alu instid0(VALU_DEP_1) | instskip(SKIP_1) | instid1(VALU_DEP_2)
	v_add_nc_u32_e32 v11, v11, v12
	v_mul_lo_u32 v12, s0, v3
	v_add_nc_u32_e32 v11, v11, v13
	s_delay_alu instid0(VALU_DEP_2) | instskip(NEXT) | instid1(VALU_DEP_2)
	v_mul_hi_u32 v13, v3, v12
	v_mul_lo_u32 v17, v3, v11
	v_mul_hi_u32 v18, v3, v11
	v_mul_hi_u32 v20, v10, v12
	v_mul_lo_u32 v12, v10, v12
	v_mul_hi_u32 v21, v10, v11
	v_mul_lo_u32 v11, v10, v11
	v_add_co_u32 v13, vcc_lo, v13, v17
	v_add_co_ci_u32_e32 v17, vcc_lo, 0, v18, vcc_lo
	s_delay_alu instid0(VALU_DEP_2) | instskip(NEXT) | instid1(VALU_DEP_2)
	v_add_co_u32 v12, vcc_lo, v13, v12
	v_add_co_ci_u32_e32 v12, vcc_lo, v17, v20, vcc_lo
	v_add_co_ci_u32_e32 v13, vcc_lo, 0, v21, vcc_lo
	v_add_co_u32 v17, vcc_lo, v6, v19
	v_add_co_ci_u32_e32 v18, vcc_lo, v7, v19, vcc_lo
	s_delay_alu instid0(VALU_DEP_4) | instskip(NEXT) | instid1(VALU_DEP_4)
	v_add_co_u32 v11, vcc_lo, v12, v11
	v_add_co_ci_u32_e32 v12, vcc_lo, 0, v13, vcc_lo
	s_delay_alu instid0(VALU_DEP_4) | instskip(NEXT) | instid1(VALU_DEP_3)
	v_xor_b32_e32 v20, v17, v19
	v_add_co_u32 v3, vcc_lo, v3, v11
	s_delay_alu instid0(VALU_DEP_3) | instskip(SKIP_1) | instid1(VALU_DEP_3)
	v_add_co_ci_u32_e32 v21, vcc_lo, v10, v12, vcc_lo
	v_xor_b32_e32 v22, v18, v19
	v_mul_hi_u32 v23, v20, v3
	s_delay_alu instid0(VALU_DEP_3) | instskip(NEXT) | instid1(VALU_DEP_3)
	v_mad_u64_u32 v[10:11], null, v20, v21, 0
	v_mad_u64_u32 v[12:13], null, v22, v3, 0
	;; [unrolled: 1-line block ×3, first 2 shown]
	s_delay_alu instid0(VALU_DEP_3) | instskip(NEXT) | instid1(VALU_DEP_4)
	v_add_co_u32 v3, vcc_lo, v23, v10
	v_add_co_ci_u32_e32 v10, vcc_lo, 0, v11, vcc_lo
	s_delay_alu instid0(VALU_DEP_2) | instskip(NEXT) | instid1(VALU_DEP_2)
	v_add_co_u32 v3, vcc_lo, v3, v12
	v_add_co_ci_u32_e32 v3, vcc_lo, v10, v13, vcc_lo
	v_add_co_ci_u32_e32 v10, vcc_lo, 0, v18, vcc_lo
	s_delay_alu instid0(VALU_DEP_2) | instskip(NEXT) | instid1(VALU_DEP_2)
	v_add_co_u32 v3, vcc_lo, v3, v17
	v_add_co_ci_u32_e32 v12, vcc_lo, 0, v10, vcc_lo
	s_delay_alu instid0(VALU_DEP_2) | instskip(SKIP_1) | instid1(VALU_DEP_3)
	v_mul_lo_u32 v13, s43, v3
	v_mad_u64_u32 v[10:11], null, s42, v3, 0
	v_mul_lo_u32 v17, s42, v12
	s_delay_alu instid0(VALU_DEP_2) | instskip(NEXT) | instid1(VALU_DEP_2)
	v_sub_co_u32 v10, vcc_lo, v20, v10
	v_add3_u32 v11, v11, v17, v13
	s_delay_alu instid0(VALU_DEP_1) | instskip(NEXT) | instid1(VALU_DEP_1)
	v_sub_nc_u32_e32 v13, v22, v11
	v_subrev_co_ci_u32_e64 v13, s0, s43, v13, vcc_lo
	v_add_co_u32 v17, s0, v3, 2
	s_delay_alu instid0(VALU_DEP_1) | instskip(SKIP_3) | instid1(VALU_DEP_3)
	v_add_co_ci_u32_e64 v18, s0, 0, v12, s0
	v_sub_co_u32 v20, s0, v10, s42
	v_sub_co_ci_u32_e32 v11, vcc_lo, v22, v11, vcc_lo
	v_subrev_co_ci_u32_e64 v13, s0, 0, v13, s0
	v_cmp_le_u32_e32 vcc_lo, s42, v20
	s_delay_alu instid0(VALU_DEP_3) | instskip(SKIP_1) | instid1(VALU_DEP_4)
	v_cmp_eq_u32_e64 s0, s43, v11
	v_cndmask_b32_e64 v20, 0, -1, vcc_lo
	v_cmp_le_u32_e32 vcc_lo, s43, v13
	v_cndmask_b32_e64 v21, 0, -1, vcc_lo
	v_cmp_le_u32_e32 vcc_lo, s42, v10
	;; [unrolled: 2-line block ×3, first 2 shown]
	v_cndmask_b32_e64 v22, 0, -1, vcc_lo
	v_cmp_eq_u32_e32 vcc_lo, s43, v13
	s_delay_alu instid0(VALU_DEP_2) | instskip(SKIP_3) | instid1(VALU_DEP_3)
	v_cndmask_b32_e64 v10, v22, v10, s0
	v_cndmask_b32_e32 v13, v21, v20, vcc_lo
	v_add_co_u32 v20, vcc_lo, v3, 1
	v_add_co_ci_u32_e32 v21, vcc_lo, 0, v12, vcc_lo
	v_cmp_ne_u32_e32 vcc_lo, 0, v13
	s_delay_alu instid0(VALU_DEP_2) | instskip(NEXT) | instid1(VALU_DEP_4)
	v_cndmask_b32_e32 v11, v21, v18, vcc_lo
	v_cndmask_b32_e32 v13, v20, v17, vcc_lo
	v_cmp_ne_u32_e32 vcc_lo, 0, v10
	v_xor_b32_e32 v17, s40, v19
	s_delay_alu instid0(VALU_DEP_3) | instskip(NEXT) | instid1(VALU_DEP_1)
	v_dual_cndmask_b32 v3, v3, v13 :: v_dual_cndmask_b32 v10, v12, v11
	v_xor_b32_e32 v3, v3, v17
	s_delay_alu instid0(VALU_DEP_2) | instskip(NEXT) | instid1(VALU_DEP_2)
	v_xor_b32_e32 v11, v10, v17
	v_sub_co_u32 v10, vcc_lo, v3, v17
	s_delay_alu instid0(VALU_DEP_2)
	v_sub_co_ci_u32_e32 v11, vcc_lo, v11, v17, vcc_lo
.LBB98_25:                              ;   in Loop: Header=BB98_23 Depth=2
	s_and_not1_saveexec_b32 s0, s1
	s_cbranch_execz .LBB98_22
; %bb.26:                               ;   in Loop: Header=BB98_23 Depth=2
	v_cvt_f32_u32_e32 v3, s38
	s_sub_i32 s1, 0, s38
	s_delay_alu instid0(VALU_DEP_1) | instskip(SKIP_2) | instid1(VALU_DEP_1)
	v_rcp_iflag_f32_e32 v3, v3
	s_waitcnt_depctr 0xfff
	v_mul_f32_e32 v3, 0x4f7ffffe, v3
	v_cvt_u32_f32_e32 v3, v3
	s_delay_alu instid0(VALU_DEP_1) | instskip(NEXT) | instid1(VALU_DEP_1)
	v_mul_lo_u32 v10, s1, v3
	v_mul_hi_u32 v10, v3, v10
	s_delay_alu instid0(VALU_DEP_1) | instskip(NEXT) | instid1(VALU_DEP_1)
	v_add_nc_u32_e32 v3, v3, v10
	v_mul_hi_u32 v3, v6, v3
	s_delay_alu instid0(VALU_DEP_1) | instskip(SKIP_1) | instid1(VALU_DEP_2)
	v_mul_lo_u32 v10, v3, s38
	v_add_nc_u32_e32 v11, 1, v3
	v_sub_nc_u32_e32 v10, v6, v10
	s_delay_alu instid0(VALU_DEP_1) | instskip(SKIP_1) | instid1(VALU_DEP_2)
	v_subrev_nc_u32_e32 v12, s38, v10
	v_cmp_le_u32_e32 vcc_lo, s38, v10
	v_dual_cndmask_b32 v10, v10, v12 :: v_dual_cndmask_b32 v3, v3, v11
	s_delay_alu instid0(VALU_DEP_1) | instskip(NEXT) | instid1(VALU_DEP_2)
	v_cmp_le_u32_e32 vcc_lo, s38, v10
	v_add_nc_u32_e32 v11, 1, v3
	s_delay_alu instid0(VALU_DEP_1)
	v_dual_cndmask_b32 v10, v3, v11 :: v_dual_mov_b32 v11, v2
	s_branch .LBB98_22
.LBB98_27:
	s_nop 0
	s_sendmsg sendmsg(MSG_DEALLOC_VGPRS)
	s_endpgm
	.section	.rodata,"a",@progbits
	.p2align	6, 0x0
	.amdhsa_kernel _ZN2at6native16triu_tril_kernelIN3c108BFloat16ElLb1ELi4ELb1EEEvNS_4cuda6detail10TensorInfoIT_T0_EENS6_IKS7_S8_EEllS8_
		.amdhsa_group_segment_fixed_size 0
		.amdhsa_private_segment_fixed_size 0
		.amdhsa_kernarg_size 1112
		.amdhsa_user_sgpr_count 15
		.amdhsa_user_sgpr_dispatch_ptr 0
		.amdhsa_user_sgpr_queue_ptr 0
		.amdhsa_user_sgpr_kernarg_segment_ptr 1
		.amdhsa_user_sgpr_dispatch_id 0
		.amdhsa_user_sgpr_private_segment_size 0
		.amdhsa_wavefront_size32 1
		.amdhsa_uses_dynamic_stack 0
		.amdhsa_enable_private_segment 0
		.amdhsa_system_sgpr_workgroup_id_x 1
		.amdhsa_system_sgpr_workgroup_id_y 0
		.amdhsa_system_sgpr_workgroup_id_z 0
		.amdhsa_system_sgpr_workgroup_info 0
		.amdhsa_system_vgpr_workitem_id 0
		.amdhsa_next_free_vgpr 24
		.amdhsa_next_free_sgpr 46
		.amdhsa_reserve_vcc 1
		.amdhsa_float_round_mode_32 0
		.amdhsa_float_round_mode_16_64 0
		.amdhsa_float_denorm_mode_32 3
		.amdhsa_float_denorm_mode_16_64 3
		.amdhsa_dx10_clamp 1
		.amdhsa_ieee_mode 1
		.amdhsa_fp16_overflow 0
		.amdhsa_workgroup_processor_mode 1
		.amdhsa_memory_ordered 1
		.amdhsa_forward_progress 0
		.amdhsa_shared_vgpr_count 0
		.amdhsa_exception_fp_ieee_invalid_op 0
		.amdhsa_exception_fp_denorm_src 0
		.amdhsa_exception_fp_ieee_div_zero 0
		.amdhsa_exception_fp_ieee_overflow 0
		.amdhsa_exception_fp_ieee_underflow 0
		.amdhsa_exception_fp_ieee_inexact 0
		.amdhsa_exception_int_div_zero 0
	.end_amdhsa_kernel
	.section	.text._ZN2at6native16triu_tril_kernelIN3c108BFloat16ElLb1ELi4ELb1EEEvNS_4cuda6detail10TensorInfoIT_T0_EENS6_IKS7_S8_EEllS8_,"axG",@progbits,_ZN2at6native16triu_tril_kernelIN3c108BFloat16ElLb1ELi4ELb1EEEvNS_4cuda6detail10TensorInfoIT_T0_EENS6_IKS7_S8_EEllS8_,comdat
.Lfunc_end98:
	.size	_ZN2at6native16triu_tril_kernelIN3c108BFloat16ElLb1ELi4ELb1EEEvNS_4cuda6detail10TensorInfoIT_T0_EENS6_IKS7_S8_EEllS8_, .Lfunc_end98-_ZN2at6native16triu_tril_kernelIN3c108BFloat16ElLb1ELi4ELb1EEEvNS_4cuda6detail10TensorInfoIT_T0_EENS6_IKS7_S8_EEllS8_
                                        ; -- End function
	.section	.AMDGPU.csdata,"",@progbits
; Kernel info:
; codeLenInByte = 4064
; NumSgprs: 48
; NumVgprs: 24
; ScratchSize: 0
; MemoryBound: 0
; FloatMode: 240
; IeeeMode: 1
; LDSByteSize: 0 bytes/workgroup (compile time only)
; SGPRBlocks: 5
; VGPRBlocks: 2
; NumSGPRsForWavesPerEU: 48
; NumVGPRsForWavesPerEU: 24
; Occupancy: 16
; WaveLimiterHint : 0
; COMPUTE_PGM_RSRC2:SCRATCH_EN: 0
; COMPUTE_PGM_RSRC2:USER_SGPR: 15
; COMPUTE_PGM_RSRC2:TRAP_HANDLER: 0
; COMPUTE_PGM_RSRC2:TGID_X_EN: 1
; COMPUTE_PGM_RSRC2:TGID_Y_EN: 0
; COMPUTE_PGM_RSRC2:TGID_Z_EN: 0
; COMPUTE_PGM_RSRC2:TIDIG_COMP_CNT: 0
	.section	.text._ZN2at6native16triu_tril_kernelIN3c108BFloat16ElLb1ELi4ELb0EEEvNS_4cuda6detail10TensorInfoIT_T0_EENS6_IKS7_S8_EEllS8_,"axG",@progbits,_ZN2at6native16triu_tril_kernelIN3c108BFloat16ElLb1ELi4ELb0EEEvNS_4cuda6detail10TensorInfoIT_T0_EENS6_IKS7_S8_EEllS8_,comdat
	.protected	_ZN2at6native16triu_tril_kernelIN3c108BFloat16ElLb1ELi4ELb0EEEvNS_4cuda6detail10TensorInfoIT_T0_EENS6_IKS7_S8_EEllS8_ ; -- Begin function _ZN2at6native16triu_tril_kernelIN3c108BFloat16ElLb1ELi4ELb0EEEvNS_4cuda6detail10TensorInfoIT_T0_EENS6_IKS7_S8_EEllS8_
	.globl	_ZN2at6native16triu_tril_kernelIN3c108BFloat16ElLb1ELi4ELb0EEEvNS_4cuda6detail10TensorInfoIT_T0_EENS6_IKS7_S8_EEllS8_
	.p2align	8
	.type	_ZN2at6native16triu_tril_kernelIN3c108BFloat16ElLb1ELi4ELb0EEEvNS_4cuda6detail10TensorInfoIT_T0_EENS6_IKS7_S8_EEllS8_,@function
_ZN2at6native16triu_tril_kernelIN3c108BFloat16ElLb1ELi4ELb0EEEvNS_4cuda6detail10TensorInfoIT_T0_EENS6_IKS7_S8_EEllS8_: ; @_ZN2at6native16triu_tril_kernelIN3c108BFloat16ElLb1ELi4ELb0EEEvNS_4cuda6detail10TensorInfoIT_T0_EENS6_IKS7_S8_EEllS8_
; %bb.0:
	s_clause 0x1
	s_load_b32 s2, s[0:1], 0x364
	s_load_b128 s[4:7], s[0:1], 0x340
	v_mov_b32_e32 v2, 0
	s_add_u32 s8, s0, 0x358
	s_addc_u32 s9, s1, 0
	s_delay_alu instid0(VALU_DEP_1) | instskip(SKIP_3) | instid1(VALU_DEP_1)
	v_mov_b32_e32 v1, v2
	s_waitcnt lgkmcnt(0)
	s_and_b32 s26, s2, 0xffff
	s_mov_b32 s2, exec_lo
	v_mad_u64_u32 v[3:4], null, s26, s15, v[0:1]
	s_delay_alu instid0(VALU_DEP_1) | instskip(NEXT) | instid1(VALU_DEP_1)
	v_lshlrev_b64 v[0:1], 2, v[3:4]
	v_cmpx_gt_i64_e64 s[6:7], v[0:1]
	s_cbranch_execz .LBB99_32
; %bb.1:
	s_clause 0x1
	s_load_b32 s24, s[0:1], 0x338
	s_load_b64 s[2:3], s[0:1], 0x350
	s_add_u32 s10, s0, 0x1a0
	s_addc_u32 s11, s1, 0
	s_load_b32 s27, s[8:9], 0x0
	s_load_b64 s[20:21], s[0:1], 0x1a0
	s_waitcnt lgkmcnt(0)
	s_ashr_i32 s25, s24, 31
	s_add_u32 s36, s0, 0x1a8
	s_addc_u32 s37, s1, 0
	s_lshl_b64 s[8:9], s[24:25], 3
	v_cvt_f32_u32_e32 v3, s2
	s_add_u32 s12, s8, -16
	s_addc_u32 s13, s9, -1
	s_add_u32 s16, s36, s12
	s_addc_u32 s17, s37, s13
	s_add_u32 s8, s10, s12
	s_addc_u32 s9, s11, s13
	s_add_u32 s28, s0, 0xd0
	s_load_b128 s[8:11], s[8:9], 0xd0
	s_addc_u32 s29, s1, 0
	s_add_u32 s12, s28, s12
	s_addc_u32 s13, s29, s13
	s_clause 0x2
	s_load_b128 s[12:15], s[12:13], 0x0
	s_load_b128 s[16:19], s[16:17], 0x0
	s_load_b64 s[22:23], s[0:1], 0x0
	v_rcp_iflag_f32_e32 v3, v3
	s_add_i32 s34, s24, -3
	s_mul_i32 s27, s27, s26
	s_ashr_i32 s35, s34, 31
	v_cmp_gt_i64_e64 s33, s[24:25], 2
	s_lshl_b64 s[30:31], s[34:35], 3
	s_lshl_b32 s50, s27, 2
	s_mov_b32 s1, 0
	s_waitcnt_depctr 0xfff
	v_mul_f32_e32 v3, 0x4f7ffffe, v3
	s_waitcnt lgkmcnt(0)
	s_mul_i32 s0, s11, 6
	s_mul_hi_u32 s26, s10, 6
	s_lshl_b64 s[24:25], s[10:11], 2
	s_add_i32 s52, s26, s0
	s_mul_i32 s0, s15, 6
	s_mul_hi_u32 s38, s14, 6
	s_lshl_b64 s[26:27], s[14:15], 2
	s_add_i32 s54, s38, s0
	s_add_u32 s28, s28, s30
	s_addc_u32 s29, s29, s31
	v_cvt_u32_f32_e32 v18, v3
	s_add_u32 s30, s36, s30
	s_addc_u32 s31, s37, s31
	s_add_u32 s34, s34, 1
	s_mul_i32 s51, s10, 6
	s_mul_i32 s53, s14, 6
	s_addc_u32 s35, s35, 0
	s_ashr_i32 s36, s3, 31
	s_branch .LBB99_3
.LBB99_2:                               ;   in Loop: Header=BB99_3 Depth=1
	s_or_b32 exec_lo, exec_lo, s0
	v_add_co_u32 v0, vcc_lo, v0, s50
	v_add_co_ci_u32_e32 v1, vcc_lo, 0, v1, vcc_lo
	s_delay_alu instid0(VALU_DEP_1) | instskip(SKIP_1) | instid1(SALU_CYCLE_1)
	v_cmp_le_i64_e32 vcc_lo, s[6:7], v[0:1]
	s_or_b32 s1, vcc_lo, s1
	s_and_not1_b32 exec_lo, exec_lo, s1
	s_cbranch_execz .LBB99_32
.LBB99_3:                               ; =>This Loop Header: Depth=1
                                        ;     Child Loop BB99_28 Depth 2
	v_or_b32_e32 v3, s3, v1
                                        ; implicit-def: $vgpr8_vgpr9
	s_mov_b32 s0, exec_lo
	s_delay_alu instid0(VALU_DEP_1)
	v_cmpx_ne_u64_e32 0, v[2:3]
	s_xor_b32 s40, exec_lo, s0
	s_cbranch_execz .LBB99_5
; %bb.4:                                ;   in Loop: Header=BB99_3 Depth=1
	s_add_u32 s38, s2, s36
	s_mov_b32 s37, s36
	s_addc_u32 s39, s3, s36
	s_delay_alu instid0(SALU_CYCLE_1) | instskip(NEXT) | instid1(SALU_CYCLE_1)
	s_xor_b64 s[38:39], s[38:39], s[36:37]
	v_cvt_f32_u32_e32 v3, s38
	v_cvt_f32_u32_e32 v4, s39
	s_sub_u32 s0, 0, s38
	s_subb_u32 s37, 0, s39
	s_delay_alu instid0(VALU_DEP_1) | instskip(NEXT) | instid1(VALU_DEP_1)
	v_fmac_f32_e32 v3, 0x4f800000, v4
	v_rcp_f32_e32 v3, v3
	s_waitcnt_depctr 0xfff
	v_mul_f32_e32 v3, 0x5f7ffffc, v3
	s_delay_alu instid0(VALU_DEP_1) | instskip(NEXT) | instid1(VALU_DEP_1)
	v_mul_f32_e32 v4, 0x2f800000, v3
	v_trunc_f32_e32 v4, v4
	s_delay_alu instid0(VALU_DEP_1) | instskip(SKIP_1) | instid1(VALU_DEP_2)
	v_fmac_f32_e32 v3, 0xcf800000, v4
	v_cvt_u32_f32_e32 v4, v4
	v_cvt_u32_f32_e32 v3, v3
	s_delay_alu instid0(VALU_DEP_2) | instskip(NEXT) | instid1(VALU_DEP_2)
	v_mul_lo_u32 v5, s0, v4
	v_mul_hi_u32 v6, s0, v3
	v_mul_lo_u32 v7, s37, v3
	s_delay_alu instid0(VALU_DEP_2) | instskip(SKIP_1) | instid1(VALU_DEP_2)
	v_add_nc_u32_e32 v5, v6, v5
	v_mul_lo_u32 v6, s0, v3
	v_add_nc_u32_e32 v5, v5, v7
	s_delay_alu instid0(VALU_DEP_2) | instskip(NEXT) | instid1(VALU_DEP_2)
	v_mul_hi_u32 v7, v3, v6
	v_mul_lo_u32 v8, v3, v5
	v_mul_hi_u32 v9, v3, v5
	v_mul_hi_u32 v10, v4, v6
	v_mul_lo_u32 v6, v4, v6
	v_mul_hi_u32 v11, v4, v5
	v_mul_lo_u32 v5, v4, v5
	v_add_co_u32 v7, vcc_lo, v7, v8
	v_add_co_ci_u32_e32 v8, vcc_lo, 0, v9, vcc_lo
	s_delay_alu instid0(VALU_DEP_2) | instskip(NEXT) | instid1(VALU_DEP_2)
	v_add_co_u32 v6, vcc_lo, v7, v6
	v_add_co_ci_u32_e32 v6, vcc_lo, v8, v10, vcc_lo
	v_add_co_ci_u32_e32 v7, vcc_lo, 0, v11, vcc_lo
	v_ashrrev_i32_e32 v10, 31, v1
	s_delay_alu instid0(VALU_DEP_3) | instskip(NEXT) | instid1(VALU_DEP_3)
	v_add_co_u32 v5, vcc_lo, v6, v5
	v_add_co_ci_u32_e32 v6, vcc_lo, 0, v7, vcc_lo
	s_delay_alu instid0(VALU_DEP_2) | instskip(NEXT) | instid1(VALU_DEP_2)
	v_add_co_u32 v3, vcc_lo, v3, v5
	v_add_co_ci_u32_e32 v4, vcc_lo, v4, v6, vcc_lo
	s_delay_alu instid0(VALU_DEP_2) | instskip(SKIP_1) | instid1(VALU_DEP_3)
	v_mul_hi_u32 v5, s0, v3
	v_mul_lo_u32 v7, s37, v3
	v_mul_lo_u32 v6, s0, v4
	s_delay_alu instid0(VALU_DEP_1) | instskip(SKIP_1) | instid1(VALU_DEP_2)
	v_add_nc_u32_e32 v5, v5, v6
	v_mul_lo_u32 v6, s0, v3
	v_add_nc_u32_e32 v5, v5, v7
	s_delay_alu instid0(VALU_DEP_2) | instskip(NEXT) | instid1(VALU_DEP_2)
	v_mul_hi_u32 v7, v3, v6
	v_mul_lo_u32 v8, v3, v5
	v_mul_hi_u32 v9, v3, v5
	v_mul_hi_u32 v11, v4, v6
	v_mul_lo_u32 v6, v4, v6
	v_mul_hi_u32 v12, v4, v5
	v_mul_lo_u32 v5, v4, v5
	v_add_co_u32 v7, vcc_lo, v7, v8
	v_add_co_ci_u32_e32 v8, vcc_lo, 0, v9, vcc_lo
	s_delay_alu instid0(VALU_DEP_2) | instskip(NEXT) | instid1(VALU_DEP_2)
	v_add_co_u32 v6, vcc_lo, v7, v6
	v_add_co_ci_u32_e32 v6, vcc_lo, v8, v11, vcc_lo
	v_add_co_ci_u32_e32 v7, vcc_lo, 0, v12, vcc_lo
	v_add_co_u32 v8, vcc_lo, v0, v10
	v_add_co_ci_u32_e32 v9, vcc_lo, v1, v10, vcc_lo
	s_delay_alu instid0(VALU_DEP_4) | instskip(NEXT) | instid1(VALU_DEP_4)
	v_add_co_u32 v5, vcc_lo, v6, v5
	v_add_co_ci_u32_e32 v6, vcc_lo, 0, v7, vcc_lo
	s_delay_alu instid0(VALU_DEP_4) | instskip(NEXT) | instid1(VALU_DEP_3)
	v_xor_b32_e32 v11, v8, v10
	v_add_co_u32 v7, vcc_lo, v3, v5
	s_delay_alu instid0(VALU_DEP_3) | instskip(SKIP_1) | instid1(VALU_DEP_3)
	v_add_co_ci_u32_e32 v12, vcc_lo, v4, v6, vcc_lo
	v_xor_b32_e32 v9, v9, v10
	v_mul_hi_u32 v13, v11, v7
	s_delay_alu instid0(VALU_DEP_3) | instskip(NEXT) | instid1(VALU_DEP_3)
	v_mad_u64_u32 v[3:4], null, v11, v12, 0
	v_mad_u64_u32 v[5:6], null, v9, v7, 0
	;; [unrolled: 1-line block ×3, first 2 shown]
	s_delay_alu instid0(VALU_DEP_3) | instskip(NEXT) | instid1(VALU_DEP_4)
	v_add_co_u32 v3, vcc_lo, v13, v3
	v_add_co_ci_u32_e32 v4, vcc_lo, 0, v4, vcc_lo
	s_delay_alu instid0(VALU_DEP_2) | instskip(NEXT) | instid1(VALU_DEP_2)
	v_add_co_u32 v3, vcc_lo, v3, v5
	v_add_co_ci_u32_e32 v3, vcc_lo, v4, v6, vcc_lo
	v_add_co_ci_u32_e32 v4, vcc_lo, 0, v8, vcc_lo
	s_delay_alu instid0(VALU_DEP_2) | instskip(NEXT) | instid1(VALU_DEP_2)
	v_add_co_u32 v5, vcc_lo, v3, v7
	v_add_co_ci_u32_e32 v6, vcc_lo, 0, v4, vcc_lo
	s_delay_alu instid0(VALU_DEP_2) | instskip(SKIP_1) | instid1(VALU_DEP_3)
	v_mul_lo_u32 v7, s39, v5
	v_mad_u64_u32 v[3:4], null, s38, v5, 0
	v_mul_lo_u32 v8, s38, v6
	s_delay_alu instid0(VALU_DEP_2) | instskip(NEXT) | instid1(VALU_DEP_2)
	v_sub_co_u32 v3, vcc_lo, v11, v3
	v_add3_u32 v4, v4, v8, v7
	s_delay_alu instid0(VALU_DEP_1) | instskip(NEXT) | instid1(VALU_DEP_1)
	v_sub_nc_u32_e32 v7, v9, v4
	v_subrev_co_ci_u32_e64 v7, s0, s39, v7, vcc_lo
	v_add_co_u32 v8, s0, v5, 2
	s_delay_alu instid0(VALU_DEP_1) | instskip(SKIP_3) | instid1(VALU_DEP_3)
	v_add_co_ci_u32_e64 v11, s0, 0, v6, s0
	v_sub_co_u32 v12, s0, v3, s38
	v_sub_co_ci_u32_e32 v4, vcc_lo, v9, v4, vcc_lo
	v_subrev_co_ci_u32_e64 v7, s0, 0, v7, s0
	v_cmp_le_u32_e32 vcc_lo, s38, v12
	s_delay_alu instid0(VALU_DEP_3) | instskip(SKIP_1) | instid1(VALU_DEP_4)
	v_cmp_eq_u32_e64 s0, s39, v4
	v_cndmask_b32_e64 v9, 0, -1, vcc_lo
	v_cmp_le_u32_e32 vcc_lo, s39, v7
	v_cndmask_b32_e64 v12, 0, -1, vcc_lo
	v_cmp_le_u32_e32 vcc_lo, s38, v3
	;; [unrolled: 2-line block ×3, first 2 shown]
	v_cndmask_b32_e64 v13, 0, -1, vcc_lo
	v_cmp_eq_u32_e32 vcc_lo, s39, v7
	s_delay_alu instid0(VALU_DEP_2) | instskip(SKIP_3) | instid1(VALU_DEP_3)
	v_cndmask_b32_e64 v3, v13, v3, s0
	v_cndmask_b32_e32 v7, v12, v9, vcc_lo
	v_add_co_u32 v9, vcc_lo, v5, 1
	v_add_co_ci_u32_e32 v12, vcc_lo, 0, v6, vcc_lo
	v_cmp_ne_u32_e32 vcc_lo, 0, v7
	s_delay_alu instid0(VALU_DEP_2) | instskip(SKIP_2) | instid1(VALU_DEP_3)
	v_dual_cndmask_b32 v4, v12, v11 :: v_dual_cndmask_b32 v7, v9, v8
	v_cmp_ne_u32_e32 vcc_lo, 0, v3
	v_xor_b32_e32 v3, s36, v10
	v_dual_cndmask_b32 v5, v5, v7 :: v_dual_cndmask_b32 v4, v6, v4
	s_delay_alu instid0(VALU_DEP_1) | instskip(NEXT) | instid1(VALU_DEP_2)
	v_xor_b32_e32 v5, v5, v3
	v_xor_b32_e32 v4, v4, v3
	s_delay_alu instid0(VALU_DEP_2) | instskip(NEXT) | instid1(VALU_DEP_2)
	v_sub_co_u32 v8, vcc_lo, v5, v3
	v_sub_co_ci_u32_e32 v9, vcc_lo, v4, v3, vcc_lo
.LBB99_5:                               ;   in Loop: Header=BB99_3 Depth=1
	s_and_not1_saveexec_b32 s0, s40
	s_cbranch_execz .LBB99_7
; %bb.6:                                ;   in Loop: Header=BB99_3 Depth=1
	s_sub_i32 s37, 0, s2
	v_mov_b32_e32 v9, v2
	v_mul_lo_u32 v3, s37, v18
	s_delay_alu instid0(VALU_DEP_1) | instskip(NEXT) | instid1(VALU_DEP_1)
	v_mul_hi_u32 v3, v18, v3
	v_add_nc_u32_e32 v3, v18, v3
	s_delay_alu instid0(VALU_DEP_1) | instskip(NEXT) | instid1(VALU_DEP_1)
	v_mul_hi_u32 v3, v0, v3
	v_mul_lo_u32 v4, v3, s2
	v_add_nc_u32_e32 v5, 1, v3
	s_delay_alu instid0(VALU_DEP_2) | instskip(NEXT) | instid1(VALU_DEP_1)
	v_sub_nc_u32_e32 v4, v0, v4
	v_subrev_nc_u32_e32 v6, s2, v4
	v_cmp_le_u32_e32 vcc_lo, s2, v4
	s_delay_alu instid0(VALU_DEP_2) | instskip(NEXT) | instid1(VALU_DEP_1)
	v_dual_cndmask_b32 v4, v4, v6 :: v_dual_cndmask_b32 v3, v3, v5
	v_cmp_le_u32_e32 vcc_lo, s2, v4
	s_delay_alu instid0(VALU_DEP_2) | instskip(NEXT) | instid1(VALU_DEP_1)
	v_add_nc_u32_e32 v5, 1, v3
	v_cndmask_b32_e32 v8, v3, v5, vcc_lo
.LBB99_7:                               ;   in Loop: Header=BB99_3 Depth=1
	s_or_b32 exec_lo, exec_lo, s0
	s_delay_alu instid0(VALU_DEP_1) | instskip(SKIP_1) | instid1(VALU_DEP_1)
	v_or_b32_e32 v3, s17, v9
                                        ; implicit-def: $vgpr6_vgpr7
	s_mov_b32 s0, exec_lo
	v_cmpx_ne_u64_e32 0, v[2:3]
	s_xor_b32 s37, exec_lo, s0
	s_cbranch_execz .LBB99_9
; %bb.8:                                ;   in Loop: Header=BB99_3 Depth=1
	s_ashr_i32 s38, s17, 31
	s_delay_alu instid0(SALU_CYCLE_1) | instskip(SKIP_2) | instid1(SALU_CYCLE_1)
	s_add_u32 s40, s16, s38
	s_mov_b32 s39, s38
	s_addc_u32 s41, s17, s38
	s_xor_b64 s[40:41], s[40:41], s[38:39]
	s_delay_alu instid0(SALU_CYCLE_1) | instskip(SKIP_3) | instid1(VALU_DEP_1)
	v_cvt_f32_u32_e32 v3, s40
	v_cvt_f32_u32_e32 v4, s41
	s_sub_u32 s0, 0, s40
	s_subb_u32 s39, 0, s41
	v_fmac_f32_e32 v3, 0x4f800000, v4
	s_delay_alu instid0(VALU_DEP_1) | instskip(SKIP_2) | instid1(VALU_DEP_1)
	v_rcp_f32_e32 v3, v3
	s_waitcnt_depctr 0xfff
	v_mul_f32_e32 v3, 0x5f7ffffc, v3
	v_mul_f32_e32 v4, 0x2f800000, v3
	s_delay_alu instid0(VALU_DEP_1) | instskip(NEXT) | instid1(VALU_DEP_1)
	v_trunc_f32_e32 v4, v4
	v_fmac_f32_e32 v3, 0xcf800000, v4
	v_cvt_u32_f32_e32 v4, v4
	s_delay_alu instid0(VALU_DEP_2) | instskip(NEXT) | instid1(VALU_DEP_2)
	v_cvt_u32_f32_e32 v3, v3
	v_mul_lo_u32 v5, s0, v4
	s_delay_alu instid0(VALU_DEP_2) | instskip(SKIP_1) | instid1(VALU_DEP_2)
	v_mul_hi_u32 v6, s0, v3
	v_mul_lo_u32 v7, s39, v3
	v_add_nc_u32_e32 v5, v6, v5
	v_mul_lo_u32 v6, s0, v3
	s_delay_alu instid0(VALU_DEP_2) | instskip(NEXT) | instid1(VALU_DEP_2)
	v_add_nc_u32_e32 v5, v5, v7
	v_mul_hi_u32 v7, v3, v6
	s_delay_alu instid0(VALU_DEP_2)
	v_mul_lo_u32 v10, v3, v5
	v_mul_hi_u32 v11, v3, v5
	v_mul_hi_u32 v12, v4, v6
	v_mul_lo_u32 v6, v4, v6
	v_mul_hi_u32 v13, v4, v5
	v_mul_lo_u32 v5, v4, v5
	v_add_co_u32 v7, vcc_lo, v7, v10
	v_add_co_ci_u32_e32 v10, vcc_lo, 0, v11, vcc_lo
	s_delay_alu instid0(VALU_DEP_2) | instskip(NEXT) | instid1(VALU_DEP_2)
	v_add_co_u32 v6, vcc_lo, v7, v6
	v_add_co_ci_u32_e32 v6, vcc_lo, v10, v12, vcc_lo
	v_add_co_ci_u32_e32 v7, vcc_lo, 0, v13, vcc_lo
	v_ashrrev_i32_e32 v12, 31, v9
	s_delay_alu instid0(VALU_DEP_3) | instskip(NEXT) | instid1(VALU_DEP_3)
	v_add_co_u32 v5, vcc_lo, v6, v5
	v_add_co_ci_u32_e32 v6, vcc_lo, 0, v7, vcc_lo
	s_delay_alu instid0(VALU_DEP_2) | instskip(NEXT) | instid1(VALU_DEP_2)
	v_add_co_u32 v3, vcc_lo, v3, v5
	v_add_co_ci_u32_e32 v4, vcc_lo, v4, v6, vcc_lo
	s_delay_alu instid0(VALU_DEP_2) | instskip(SKIP_1) | instid1(VALU_DEP_3)
	v_mul_hi_u32 v5, s0, v3
	v_mul_lo_u32 v7, s39, v3
	v_mul_lo_u32 v6, s0, v4
	s_delay_alu instid0(VALU_DEP_1) | instskip(SKIP_1) | instid1(VALU_DEP_2)
	v_add_nc_u32_e32 v5, v5, v6
	v_mul_lo_u32 v6, s0, v3
	v_add_nc_u32_e32 v5, v5, v7
	s_delay_alu instid0(VALU_DEP_2) | instskip(NEXT) | instid1(VALU_DEP_2)
	v_mul_hi_u32 v7, v3, v6
	v_mul_lo_u32 v10, v3, v5
	v_mul_hi_u32 v11, v3, v5
	v_mul_hi_u32 v13, v4, v6
	v_mul_lo_u32 v6, v4, v6
	v_mul_hi_u32 v14, v4, v5
	v_mul_lo_u32 v5, v4, v5
	v_add_co_u32 v7, vcc_lo, v7, v10
	v_add_co_ci_u32_e32 v10, vcc_lo, 0, v11, vcc_lo
	s_delay_alu instid0(VALU_DEP_2) | instskip(NEXT) | instid1(VALU_DEP_2)
	v_add_co_u32 v6, vcc_lo, v7, v6
	v_add_co_ci_u32_e32 v6, vcc_lo, v10, v13, vcc_lo
	v_add_co_ci_u32_e32 v7, vcc_lo, 0, v14, vcc_lo
	v_add_co_u32 v10, vcc_lo, v8, v12
	v_add_co_ci_u32_e32 v11, vcc_lo, v9, v12, vcc_lo
	s_delay_alu instid0(VALU_DEP_4) | instskip(NEXT) | instid1(VALU_DEP_4)
	v_add_co_u32 v5, vcc_lo, v6, v5
	v_add_co_ci_u32_e32 v6, vcc_lo, 0, v7, vcc_lo
	s_delay_alu instid0(VALU_DEP_4) | instskip(NEXT) | instid1(VALU_DEP_3)
	v_xor_b32_e32 v7, v10, v12
	v_add_co_u32 v10, vcc_lo, v3, v5
	s_delay_alu instid0(VALU_DEP_3) | instskip(SKIP_1) | instid1(VALU_DEP_3)
	v_add_co_ci_u32_e32 v13, vcc_lo, v4, v6, vcc_lo
	v_xor_b32_e32 v14, v11, v12
	v_mul_hi_u32 v15, v7, v10
	s_delay_alu instid0(VALU_DEP_3) | instskip(NEXT) | instid1(VALU_DEP_3)
	v_mad_u64_u32 v[3:4], null, v7, v13, 0
	v_mad_u64_u32 v[5:6], null, v14, v10, 0
	;; [unrolled: 1-line block ×3, first 2 shown]
	s_delay_alu instid0(VALU_DEP_3) | instskip(NEXT) | instid1(VALU_DEP_4)
	v_add_co_u32 v3, vcc_lo, v15, v3
	v_add_co_ci_u32_e32 v4, vcc_lo, 0, v4, vcc_lo
	s_delay_alu instid0(VALU_DEP_2) | instskip(NEXT) | instid1(VALU_DEP_2)
	v_add_co_u32 v3, vcc_lo, v3, v5
	v_add_co_ci_u32_e32 v3, vcc_lo, v4, v6, vcc_lo
	v_add_co_ci_u32_e32 v4, vcc_lo, 0, v11, vcc_lo
	s_delay_alu instid0(VALU_DEP_2) | instskip(NEXT) | instid1(VALU_DEP_2)
	v_add_co_u32 v5, vcc_lo, v3, v10
	v_add_co_ci_u32_e32 v6, vcc_lo, 0, v4, vcc_lo
	s_delay_alu instid0(VALU_DEP_2) | instskip(SKIP_1) | instid1(VALU_DEP_3)
	v_mul_lo_u32 v10, s41, v5
	v_mad_u64_u32 v[3:4], null, s40, v5, 0
	v_mul_lo_u32 v11, s40, v6
	s_delay_alu instid0(VALU_DEP_2) | instskip(NEXT) | instid1(VALU_DEP_2)
	v_sub_co_u32 v3, vcc_lo, v7, v3
	v_add3_u32 v4, v4, v11, v10
	s_delay_alu instid0(VALU_DEP_1) | instskip(NEXT) | instid1(VALU_DEP_1)
	v_sub_nc_u32_e32 v10, v14, v4
	v_subrev_co_ci_u32_e64 v7, s0, s41, v10, vcc_lo
	v_add_co_u32 v10, s0, v5, 2
	s_delay_alu instid0(VALU_DEP_1) | instskip(SKIP_3) | instid1(VALU_DEP_3)
	v_add_co_ci_u32_e64 v11, s0, 0, v6, s0
	v_sub_co_u32 v13, s0, v3, s40
	v_sub_co_ci_u32_e32 v4, vcc_lo, v14, v4, vcc_lo
	v_subrev_co_ci_u32_e64 v7, s0, 0, v7, s0
	v_cmp_le_u32_e32 vcc_lo, s40, v13
	s_delay_alu instid0(VALU_DEP_3) | instskip(SKIP_1) | instid1(VALU_DEP_4)
	v_cmp_eq_u32_e64 s0, s41, v4
	v_cndmask_b32_e64 v13, 0, -1, vcc_lo
	v_cmp_le_u32_e32 vcc_lo, s41, v7
	v_cndmask_b32_e64 v14, 0, -1, vcc_lo
	v_cmp_le_u32_e32 vcc_lo, s40, v3
	;; [unrolled: 2-line block ×3, first 2 shown]
	v_cndmask_b32_e64 v15, 0, -1, vcc_lo
	v_cmp_eq_u32_e32 vcc_lo, s41, v7
	s_delay_alu instid0(VALU_DEP_2) | instskip(SKIP_3) | instid1(VALU_DEP_3)
	v_cndmask_b32_e64 v3, v15, v3, s0
	v_cndmask_b32_e32 v7, v14, v13, vcc_lo
	v_add_co_u32 v13, vcc_lo, v5, 1
	v_add_co_ci_u32_e32 v14, vcc_lo, 0, v6, vcc_lo
	v_cmp_ne_u32_e32 vcc_lo, 0, v7
	s_delay_alu instid0(VALU_DEP_2) | instskip(SKIP_2) | instid1(VALU_DEP_3)
	v_dual_cndmask_b32 v4, v14, v11 :: v_dual_cndmask_b32 v7, v13, v10
	v_cmp_ne_u32_e32 vcc_lo, 0, v3
	v_xor_b32_e32 v3, s38, v12
	v_dual_cndmask_b32 v5, v5, v7 :: v_dual_cndmask_b32 v4, v6, v4
	s_delay_alu instid0(VALU_DEP_1) | instskip(NEXT) | instid1(VALU_DEP_2)
	v_xor_b32_e32 v5, v5, v3
	v_xor_b32_e32 v4, v4, v3
	s_delay_alu instid0(VALU_DEP_2) | instskip(NEXT) | instid1(VALU_DEP_2)
	v_sub_co_u32 v6, vcc_lo, v5, v3
	v_sub_co_ci_u32_e32 v7, vcc_lo, v4, v3, vcc_lo
.LBB99_9:                               ;   in Loop: Header=BB99_3 Depth=1
	s_and_not1_saveexec_b32 s0, s37
	s_cbranch_execz .LBB99_11
; %bb.10:                               ;   in Loop: Header=BB99_3 Depth=1
	v_cvt_f32_u32_e32 v3, s16
	s_sub_i32 s37, 0, s16
	v_mov_b32_e32 v7, v2
	s_delay_alu instid0(VALU_DEP_2) | instskip(SKIP_2) | instid1(VALU_DEP_1)
	v_rcp_iflag_f32_e32 v3, v3
	s_waitcnt_depctr 0xfff
	v_mul_f32_e32 v3, 0x4f7ffffe, v3
	v_cvt_u32_f32_e32 v3, v3
	s_delay_alu instid0(VALU_DEP_1) | instskip(NEXT) | instid1(VALU_DEP_1)
	v_mul_lo_u32 v4, s37, v3
	v_mul_hi_u32 v4, v3, v4
	s_delay_alu instid0(VALU_DEP_1) | instskip(NEXT) | instid1(VALU_DEP_1)
	v_add_nc_u32_e32 v3, v3, v4
	v_mul_hi_u32 v3, v8, v3
	s_delay_alu instid0(VALU_DEP_1) | instskip(SKIP_1) | instid1(VALU_DEP_2)
	v_mul_lo_u32 v4, v3, s16
	v_add_nc_u32_e32 v5, 1, v3
	v_sub_nc_u32_e32 v4, v8, v4
	s_delay_alu instid0(VALU_DEP_1) | instskip(SKIP_1) | instid1(VALU_DEP_2)
	v_subrev_nc_u32_e32 v6, s16, v4
	v_cmp_le_u32_e32 vcc_lo, s16, v4
	v_dual_cndmask_b32 v4, v4, v6 :: v_dual_cndmask_b32 v3, v3, v5
	s_delay_alu instid0(VALU_DEP_1) | instskip(NEXT) | instid1(VALU_DEP_2)
	v_cmp_le_u32_e32 vcc_lo, s16, v4
	v_add_nc_u32_e32 v5, 1, v3
	s_delay_alu instid0(VALU_DEP_1)
	v_cndmask_b32_e32 v6, v3, v5, vcc_lo
.LBB99_11:                              ;   in Loop: Header=BB99_3 Depth=1
	s_or_b32 exec_lo, exec_lo, s0
	v_mul_lo_u32 v5, v9, s2
	v_mul_lo_u32 v12, v8, s3
	v_mad_u64_u32 v[3:4], null, v8, s2, 0
	v_mul_lo_u32 v13, v7, s16
	v_mul_lo_u32 v14, v6, s17
	v_mad_u64_u32 v[10:11], null, v6, s16, 0
	s_mov_b64 s[38:39], s[34:35]
	s_mov_b64 s[40:41], s[30:31]
	s_delay_alu instid0(VALU_DEP_4) | instskip(SKIP_2) | instid1(VALU_DEP_3)
	v_add3_u32 v5, v4, v12, v5
	v_sub_co_u32 v4, vcc_lo, v0, v3
	s_mov_b64 s[42:43], s[28:29]
	v_add3_u32 v3, v11, v14, v13
	s_delay_alu instid0(VALU_DEP_3) | instskip(NEXT) | instid1(VALU_DEP_3)
	v_sub_co_ci_u32_e32 v5, vcc_lo, v1, v5, vcc_lo
	v_mul_lo_u32 v11, s11, v4
	v_mul_lo_u32 v12, s15, v4
	v_mad_u64_u32 v[14:15], null, s14, v4, 0
	s_delay_alu instid0(VALU_DEP_4)
	v_mul_lo_u32 v13, s10, v5
	v_mul_lo_u32 v21, s14, v5
	v_mad_u64_u32 v[16:17], null, s10, v4, 0
	v_sub_co_u32 v19, vcc_lo, v8, v10
	v_sub_co_ci_u32_e32 v20, vcc_lo, v9, v3, vcc_lo
	s_and_b32 vcc_lo, exec_lo, s33
	s_delay_alu instid0(VALU_DEP_4) | instskip(NEXT) | instid1(VALU_DEP_4)
	v_add3_u32 v15, v15, v21, v12
	v_add3_u32 v17, v17, v13, v11
	v_mul_lo_u32 v3, s9, v19
	v_mul_lo_u32 v8, s8, v20
	v_mul_lo_u32 v9, s12, v20
	v_mad_u64_u32 v[12:13], null, s12, v19, v[14:15]
	v_mul_lo_u32 v10, s13, v19
	v_mad_u64_u32 v[14:15], null, s8, v19, v[16:17]
	s_delay_alu instid0(VALU_DEP_2) | instskip(NEXT) | instid1(VALU_DEP_2)
	v_add3_u32 v13, v10, v13, v9
	v_add3_u32 v15, v3, v15, v8
	v_mov_b32_e32 v8, v12
	s_delay_alu instid0(VALU_DEP_3) | instskip(NEXT) | instid1(VALU_DEP_3)
	v_dual_mov_b32 v10, v14 :: v_dual_mov_b32 v9, v13
	v_mov_b32_e32 v11, v15
	s_cbranch_vccnz .LBB99_28
.LBB99_12:                              ;   in Loop: Header=BB99_3 Depth=1
	v_sub_co_u32 v6, vcc_lo, v4, v19
	v_sub_co_ci_u32_e32 v7, vcc_lo, v5, v20, vcc_lo
	v_dual_mov_b32 v10, 0 :: v_dual_mov_b32 v9, 0
	s_delay_alu instid0(VALU_DEP_3) | instskip(NEXT) | instid1(VALU_DEP_3)
	v_add_co_u32 v16, vcc_lo, v6, 4
	v_add_co_ci_u32_e32 v17, vcc_lo, 0, v7, vcc_lo
	v_dual_mov_b32 v8, 0 :: v_dual_mov_b32 v3, 0
	s_mov_b32 s0, exec_lo
	s_delay_alu instid0(VALU_DEP_2)
	v_cmpx_le_i64_e64 s[4:5], v[16:17]
	s_cbranch_execz .LBB99_22
; %bb.13:                               ;   in Loop: Header=BB99_3 Depth=1
	v_dual_mov_b32 v16, 0 :: v_dual_mov_b32 v11, 0
	v_dual_mov_b32 v3, 0 :: v_dual_mov_b32 v10, 0
	s_mov_b32 s37, exec_lo
	v_cmpx_gt_i64_e64 s[18:19], v[4:5]
	s_cbranch_execz .LBB99_21
; %bb.14:                               ;   in Loop: Header=BB99_3 Depth=1
	v_lshlrev_b64 v[8:9], 1, v[14:15]
	v_dual_mov_b32 v3, 0 :: v_dual_mov_b32 v16, 0
	v_mov_b32_e32 v11, 0
	s_mov_b32 s38, exec_lo
	s_delay_alu instid0(VALU_DEP_3) | instskip(NEXT) | instid1(VALU_DEP_4)
	v_add_co_u32 v8, vcc_lo, s20, v8
	v_add_co_ci_u32_e32 v9, vcc_lo, s21, v9, vcc_lo
	v_add_co_u32 v14, vcc_lo, v4, 1
	v_add_co_ci_u32_e32 v15, vcc_lo, 0, v5, vcc_lo
	global_load_u16 v10, v[8:9], off
	v_cmpx_gt_i64_e64 s[18:19], v[14:15]
	s_xor_b32 s38, exec_lo, s38
	s_cbranch_execz .LBB99_20
; %bb.15:                               ;   in Loop: Header=BB99_3 Depth=1
	s_lshl_b64 s[40:41], s[10:11], 1
	v_dual_mov_b32 v11, 0 :: v_dual_mov_b32 v16, 0
	v_add_co_u32 v14, vcc_lo, v8, s40
	v_add_co_ci_u32_e32 v15, vcc_lo, s41, v9, vcc_lo
	s_mov_b32 s39, exec_lo
	global_load_u16 v3, v[14:15], off
	v_add_co_u32 v14, vcc_lo, v4, 2
	v_add_co_ci_u32_e32 v15, vcc_lo, 0, v5, vcc_lo
	s_delay_alu instid0(VALU_DEP_1)
	v_cmpx_gt_i64_e64 s[18:19], v[14:15]
	s_xor_b32 s39, exec_lo, s39
	s_cbranch_execz .LBB99_19
; %bb.16:                               ;   in Loop: Header=BB99_3 Depth=1
	v_add_co_u32 v14, vcc_lo, v8, s24
	v_add_co_ci_u32_e32 v15, vcc_lo, s25, v9, vcc_lo
	v_mov_b32_e32 v16, 0
	s_mov_b32 s40, exec_lo
	global_load_u16 v11, v[14:15], off
	v_add_co_u32 v14, vcc_lo, v4, 3
	v_add_co_ci_u32_e32 v15, vcc_lo, 0, v5, vcc_lo
	s_delay_alu instid0(VALU_DEP_1)
	v_cmpx_gt_i64_e64 s[18:19], v[14:15]
	s_xor_b32 s40, exec_lo, s40
	s_cbranch_execz .LBB99_18
; %bb.17:                               ;   in Loop: Header=BB99_3 Depth=1
	v_add_co_u32 v8, vcc_lo, v8, s51
	v_add_co_ci_u32_e32 v9, vcc_lo, s52, v9, vcc_lo
	global_load_u16 v16, v[8:9], off
.LBB99_18:                              ;   in Loop: Header=BB99_3 Depth=1
	s_or_b32 exec_lo, exec_lo, s40
.LBB99_19:                              ;   in Loop: Header=BB99_3 Depth=1
	s_delay_alu instid0(SALU_CYCLE_1)
	s_or_b32 exec_lo, exec_lo, s39
.LBB99_20:                              ;   in Loop: Header=BB99_3 Depth=1
	s_delay_alu instid0(SALU_CYCLE_1)
	s_or_b32 exec_lo, exec_lo, s38
.LBB99_21:                              ;   in Loop: Header=BB99_3 Depth=1
	s_delay_alu instid0(SALU_CYCLE_1)
	s_or_b32 exec_lo, exec_lo, s37
	v_cmp_le_i64_e32 vcc_lo, s[4:5], v[6:7]
	s_waitcnt vmcnt(0)
	v_cndmask_b32_e32 v10, 0, v10, vcc_lo
	v_add_co_u32 v8, vcc_lo, v6, 1
	v_add_co_ci_u32_e32 v9, vcc_lo, 0, v7, vcc_lo
	v_add_co_u32 v14, vcc_lo, v6, 2
	v_add_co_ci_u32_e32 v15, vcc_lo, 0, v7, vcc_lo
	;; [unrolled: 2-line block ×3, first 2 shown]
	v_cmp_le_i64_e32 vcc_lo, s[4:5], v[8:9]
	v_cndmask_b32_e32 v9, 0, v3, vcc_lo
	v_cmp_le_i64_e32 vcc_lo, s[4:5], v[14:15]
	v_cndmask_b32_e32 v8, 0, v11, vcc_lo
	;; [unrolled: 2-line block ×3, first 2 shown]
.LBB99_22:                              ;   in Loop: Header=BB99_3 Depth=1
	s_or_b32 exec_lo, exec_lo, s0
	s_delay_alu instid0(SALU_CYCLE_1)
	s_mov_b32 s0, exec_lo
	v_cmpx_gt_i64_e64 s[18:19], v[4:5]
	s_cbranch_execz .LBB99_2
; %bb.23:                               ;   in Loop: Header=BB99_3 Depth=1
	v_lshlrev_b64 v[6:7], 1, v[12:13]
	v_add_co_u32 v11, vcc_lo, v4, 1
	v_add_co_ci_u32_e32 v12, vcc_lo, 0, v5, vcc_lo
	s_mov_b32 s37, exec_lo
	s_delay_alu instid0(VALU_DEP_3) | instskip(NEXT) | instid1(VALU_DEP_4)
	v_add_co_u32 v6, vcc_lo, s22, v6
	v_add_co_ci_u32_e32 v7, vcc_lo, s23, v7, vcc_lo
	global_store_b16 v[6:7], v10, off
	v_cmpx_gt_i64_e64 s[18:19], v[11:12]
	s_xor_b32 s37, exec_lo, s37
	s_cbranch_execz .LBB99_2
; %bb.24:                               ;   in Loop: Header=BB99_3 Depth=1
	v_add_co_u32 v10, vcc_lo, v4, 2
	s_lshl_b64 s[38:39], s[14:15], 1
	v_add_co_ci_u32_e32 v11, vcc_lo, 0, v5, vcc_lo
	v_add_co_u32 v12, vcc_lo, v6, s38
	v_add_co_ci_u32_e32 v13, vcc_lo, s39, v7, vcc_lo
	s_mov_b32 s37, exec_lo
	global_store_b16 v[12:13], v9, off
	v_cmpx_gt_i64_e64 s[18:19], v[10:11]
	s_xor_b32 s37, exec_lo, s37
	s_cbranch_execz .LBB99_2
; %bb.25:                               ;   in Loop: Header=BB99_3 Depth=1
	v_add_co_u32 v4, vcc_lo, v4, 3
	v_add_co_ci_u32_e32 v5, vcc_lo, 0, v5, vcc_lo
	v_add_co_u32 v9, vcc_lo, v6, s26
	v_add_co_ci_u32_e32 v10, vcc_lo, s27, v7, vcc_lo
	s_mov_b32 s37, exec_lo
	global_store_b16 v[9:10], v8, off
	v_cmpx_gt_i64_e64 s[18:19], v[4:5]
	s_xor_b32 s37, exec_lo, s37
	s_cbranch_execz .LBB99_2
; %bb.26:                               ;   in Loop: Header=BB99_3 Depth=1
	v_add_co_u32 v4, vcc_lo, v6, s53
	v_add_co_ci_u32_e32 v5, vcc_lo, s54, v7, vcc_lo
	global_store_b16 v[4:5], v3, off
	s_branch .LBB99_2
.LBB99_27:                              ;   in Loop: Header=BB99_28 Depth=2
	s_or_b32 exec_lo, exec_lo, s0
	s_delay_alu instid0(VALU_DEP_1) | instskip(NEXT) | instid1(VALU_DEP_2)
	v_mul_lo_u32 v3, v17, s44
	v_mul_lo_u32 v14, v16, s45
	s_load_b64 s[46:47], s[40:41], 0xc8
	v_mad_u64_u32 v[12:13], null, v16, s44, 0
	s_load_b64 s[44:45], s[42:43], 0x0
	s_add_u32 s42, s42, -8
	s_addc_u32 s43, s43, -1
	s_add_u32 s40, s40, -8
	s_addc_u32 s41, s41, -1
	s_add_u32 s38, s38, -1
	s_delay_alu instid0(VALU_DEP_1) | instskip(SKIP_2) | instid1(VALU_DEP_2)
	v_add3_u32 v3, v13, v14, v3
	v_sub_co_u32 v6, vcc_lo, v6, v12
	s_addc_u32 s39, s39, -1
	v_sub_co_ci_u32_e32 v3, vcc_lo, v7, v3, vcc_lo
	v_cmp_lt_i64_e64 s0, s[38:39], 1
	s_waitcnt lgkmcnt(0)
	s_delay_alu instid0(VALU_DEP_2)
	v_mul_lo_u32 v7, s46, v3
	v_mul_lo_u32 v21, s47, v6
	v_mad_u64_u32 v[14:15], null, s46, v6, v[10:11]
	v_mul_lo_u32 v3, s44, v3
	v_mul_lo_u32 v10, s45, v6
	v_mad_u64_u32 v[12:13], null, s44, v6, v[8:9]
	s_and_b32 vcc_lo, exec_lo, s0
	s_delay_alu instid0(VALU_DEP_4) | instskip(SKIP_1) | instid1(VALU_DEP_3)
	v_add3_u32 v15, v21, v15, v7
	v_dual_mov_b32 v6, v16 :: v_dual_mov_b32 v7, v17
	v_add3_u32 v13, v10, v13, v3
	s_delay_alu instid0(VALU_DEP_4) | instskip(NEXT) | instid1(VALU_DEP_4)
	v_mov_b32_e32 v8, v12
	v_dual_mov_b32 v10, v14 :: v_dual_mov_b32 v11, v15
	s_delay_alu instid0(VALU_DEP_3)
	v_mov_b32_e32 v9, v13
	s_cbranch_vccnz .LBB99_12
.LBB99_28:                              ;   Parent Loop BB99_3 Depth=1
                                        ; =>  This Inner Loop Header: Depth=2
	s_load_b64 s[44:45], s[40:41], 0x0
                                        ; implicit-def: $vgpr16_vgpr17
	s_mov_b32 s0, exec_lo
	s_waitcnt lgkmcnt(0)
	v_or_b32_e32 v3, s45, v7
	s_delay_alu instid0(VALU_DEP_1)
	v_cmpx_ne_u64_e32 0, v[2:3]
	s_xor_b32 s37, exec_lo, s0
	s_cbranch_execz .LBB99_30
; %bb.29:                               ;   in Loop: Header=BB99_28 Depth=2
	s_ashr_i32 s46, s45, 31
	s_delay_alu instid0(SALU_CYCLE_1) | instskip(SKIP_2) | instid1(SALU_CYCLE_1)
	s_add_u32 s48, s44, s46
	s_mov_b32 s47, s46
	s_addc_u32 s49, s45, s46
	s_xor_b64 s[48:49], s[48:49], s[46:47]
	s_delay_alu instid0(SALU_CYCLE_1) | instskip(SKIP_3) | instid1(VALU_DEP_1)
	v_cvt_f32_u32_e32 v3, s48
	v_cvt_f32_u32_e32 v12, s49
	s_sub_u32 s0, 0, s48
	s_subb_u32 s47, 0, s49
	v_fmac_f32_e32 v3, 0x4f800000, v12
	s_delay_alu instid0(VALU_DEP_1) | instskip(SKIP_2) | instid1(VALU_DEP_1)
	v_rcp_f32_e32 v3, v3
	s_waitcnt_depctr 0xfff
	v_mul_f32_e32 v3, 0x5f7ffffc, v3
	v_mul_f32_e32 v12, 0x2f800000, v3
	s_delay_alu instid0(VALU_DEP_1) | instskip(NEXT) | instid1(VALU_DEP_1)
	v_trunc_f32_e32 v12, v12
	v_fmac_f32_e32 v3, 0xcf800000, v12
	v_cvt_u32_f32_e32 v12, v12
	s_delay_alu instid0(VALU_DEP_2) | instskip(NEXT) | instid1(VALU_DEP_2)
	v_cvt_u32_f32_e32 v3, v3
	v_mul_lo_u32 v13, s0, v12
	s_delay_alu instid0(VALU_DEP_2) | instskip(SKIP_1) | instid1(VALU_DEP_2)
	v_mul_hi_u32 v14, s0, v3
	v_mul_lo_u32 v15, s47, v3
	v_add_nc_u32_e32 v13, v14, v13
	v_mul_lo_u32 v14, s0, v3
	s_delay_alu instid0(VALU_DEP_2) | instskip(NEXT) | instid1(VALU_DEP_2)
	v_add_nc_u32_e32 v13, v13, v15
	v_mul_hi_u32 v15, v3, v14
	s_delay_alu instid0(VALU_DEP_2)
	v_mul_lo_u32 v16, v3, v13
	v_mul_hi_u32 v17, v3, v13
	v_mul_hi_u32 v21, v12, v14
	v_mul_lo_u32 v14, v12, v14
	v_mul_hi_u32 v22, v12, v13
	v_mul_lo_u32 v13, v12, v13
	v_add_co_u32 v15, vcc_lo, v15, v16
	v_add_co_ci_u32_e32 v16, vcc_lo, 0, v17, vcc_lo
	s_delay_alu instid0(VALU_DEP_2) | instskip(NEXT) | instid1(VALU_DEP_2)
	v_add_co_u32 v14, vcc_lo, v15, v14
	v_add_co_ci_u32_e32 v14, vcc_lo, v16, v21, vcc_lo
	v_add_co_ci_u32_e32 v15, vcc_lo, 0, v22, vcc_lo
	v_ashrrev_i32_e32 v21, 31, v7
	s_delay_alu instid0(VALU_DEP_3) | instskip(NEXT) | instid1(VALU_DEP_3)
	v_add_co_u32 v13, vcc_lo, v14, v13
	v_add_co_ci_u32_e32 v14, vcc_lo, 0, v15, vcc_lo
	s_delay_alu instid0(VALU_DEP_2) | instskip(NEXT) | instid1(VALU_DEP_2)
	v_add_co_u32 v3, vcc_lo, v3, v13
	v_add_co_ci_u32_e32 v12, vcc_lo, v12, v14, vcc_lo
	s_delay_alu instid0(VALU_DEP_2) | instskip(SKIP_1) | instid1(VALU_DEP_3)
	v_mul_hi_u32 v13, s0, v3
	v_mul_lo_u32 v15, s47, v3
	v_mul_lo_u32 v14, s0, v12
	s_delay_alu instid0(VALU_DEP_1) | instskip(SKIP_1) | instid1(VALU_DEP_2)
	v_add_nc_u32_e32 v13, v13, v14
	v_mul_lo_u32 v14, s0, v3
	v_add_nc_u32_e32 v13, v13, v15
	s_delay_alu instid0(VALU_DEP_2) | instskip(NEXT) | instid1(VALU_DEP_2)
	v_mul_hi_u32 v15, v3, v14
	v_mul_lo_u32 v16, v3, v13
	v_mul_hi_u32 v17, v3, v13
	v_mul_hi_u32 v22, v12, v14
	v_mul_lo_u32 v14, v12, v14
	v_mul_hi_u32 v23, v12, v13
	v_mul_lo_u32 v13, v12, v13
	v_add_co_u32 v15, vcc_lo, v15, v16
	v_add_co_ci_u32_e32 v16, vcc_lo, 0, v17, vcc_lo
	s_delay_alu instid0(VALU_DEP_2) | instskip(NEXT) | instid1(VALU_DEP_2)
	v_add_co_u32 v14, vcc_lo, v15, v14
	v_add_co_ci_u32_e32 v14, vcc_lo, v16, v22, vcc_lo
	v_add_co_ci_u32_e32 v15, vcc_lo, 0, v23, vcc_lo
	v_add_co_u32 v16, vcc_lo, v6, v21
	v_add_co_ci_u32_e32 v17, vcc_lo, v7, v21, vcc_lo
	s_delay_alu instid0(VALU_DEP_4) | instskip(NEXT) | instid1(VALU_DEP_4)
	v_add_co_u32 v13, vcc_lo, v14, v13
	v_add_co_ci_u32_e32 v14, vcc_lo, 0, v15, vcc_lo
	s_delay_alu instid0(VALU_DEP_4) | instskip(NEXT) | instid1(VALU_DEP_3)
	v_xor_b32_e32 v22, v16, v21
	v_add_co_u32 v3, vcc_lo, v3, v13
	s_delay_alu instid0(VALU_DEP_3) | instskip(SKIP_1) | instid1(VALU_DEP_3)
	v_add_co_ci_u32_e32 v23, vcc_lo, v12, v14, vcc_lo
	v_xor_b32_e32 v24, v17, v21
	v_mul_hi_u32 v25, v22, v3
	s_delay_alu instid0(VALU_DEP_3) | instskip(NEXT) | instid1(VALU_DEP_3)
	v_mad_u64_u32 v[12:13], null, v22, v23, 0
	v_mad_u64_u32 v[14:15], null, v24, v3, 0
	;; [unrolled: 1-line block ×3, first 2 shown]
	s_delay_alu instid0(VALU_DEP_3) | instskip(NEXT) | instid1(VALU_DEP_4)
	v_add_co_u32 v3, vcc_lo, v25, v12
	v_add_co_ci_u32_e32 v12, vcc_lo, 0, v13, vcc_lo
	s_delay_alu instid0(VALU_DEP_2) | instskip(NEXT) | instid1(VALU_DEP_2)
	v_add_co_u32 v3, vcc_lo, v3, v14
	v_add_co_ci_u32_e32 v3, vcc_lo, v12, v15, vcc_lo
	v_add_co_ci_u32_e32 v12, vcc_lo, 0, v17, vcc_lo
	s_delay_alu instid0(VALU_DEP_2) | instskip(NEXT) | instid1(VALU_DEP_2)
	v_add_co_u32 v3, vcc_lo, v3, v16
	v_add_co_ci_u32_e32 v14, vcc_lo, 0, v12, vcc_lo
	s_delay_alu instid0(VALU_DEP_2) | instskip(SKIP_1) | instid1(VALU_DEP_3)
	v_mul_lo_u32 v15, s49, v3
	v_mad_u64_u32 v[12:13], null, s48, v3, 0
	v_mul_lo_u32 v16, s48, v14
	s_delay_alu instid0(VALU_DEP_2) | instskip(NEXT) | instid1(VALU_DEP_2)
	v_sub_co_u32 v12, vcc_lo, v22, v12
	v_add3_u32 v13, v13, v16, v15
	s_delay_alu instid0(VALU_DEP_1) | instskip(NEXT) | instid1(VALU_DEP_1)
	v_sub_nc_u32_e32 v15, v24, v13
	v_subrev_co_ci_u32_e64 v15, s0, s49, v15, vcc_lo
	v_add_co_u32 v16, s0, v3, 2
	s_delay_alu instid0(VALU_DEP_1) | instskip(SKIP_3) | instid1(VALU_DEP_3)
	v_add_co_ci_u32_e64 v17, s0, 0, v14, s0
	v_sub_co_u32 v22, s0, v12, s48
	v_sub_co_ci_u32_e32 v13, vcc_lo, v24, v13, vcc_lo
	v_subrev_co_ci_u32_e64 v15, s0, 0, v15, s0
	v_cmp_le_u32_e32 vcc_lo, s48, v22
	s_delay_alu instid0(VALU_DEP_3) | instskip(SKIP_1) | instid1(VALU_DEP_4)
	v_cmp_eq_u32_e64 s0, s49, v13
	v_cndmask_b32_e64 v22, 0, -1, vcc_lo
	v_cmp_le_u32_e32 vcc_lo, s49, v15
	v_cndmask_b32_e64 v23, 0, -1, vcc_lo
	v_cmp_le_u32_e32 vcc_lo, s48, v12
	;; [unrolled: 2-line block ×3, first 2 shown]
	v_cndmask_b32_e64 v24, 0, -1, vcc_lo
	v_cmp_eq_u32_e32 vcc_lo, s49, v15
	s_delay_alu instid0(VALU_DEP_2) | instskip(SKIP_3) | instid1(VALU_DEP_3)
	v_cndmask_b32_e64 v12, v24, v12, s0
	v_cndmask_b32_e32 v15, v23, v22, vcc_lo
	v_add_co_u32 v22, vcc_lo, v3, 1
	v_add_co_ci_u32_e32 v23, vcc_lo, 0, v14, vcc_lo
	v_cmp_ne_u32_e32 vcc_lo, 0, v15
	s_delay_alu instid0(VALU_DEP_2) | instskip(NEXT) | instid1(VALU_DEP_4)
	v_cndmask_b32_e32 v13, v23, v17, vcc_lo
	v_cndmask_b32_e32 v15, v22, v16, vcc_lo
	v_cmp_ne_u32_e32 vcc_lo, 0, v12
	v_xor_b32_e32 v12, s46, v21
	s_delay_alu instid0(VALU_DEP_3) | instskip(SKIP_1) | instid1(VALU_DEP_2)
	v_cndmask_b32_e32 v3, v3, v15, vcc_lo
	v_cndmask_b32_e32 v13, v14, v13, vcc_lo
	v_xor_b32_e32 v3, v3, v12
	s_delay_alu instid0(VALU_DEP_2) | instskip(NEXT) | instid1(VALU_DEP_2)
	v_xor_b32_e32 v13, v13, v12
	v_sub_co_u32 v16, vcc_lo, v3, v12
	s_delay_alu instid0(VALU_DEP_2)
	v_sub_co_ci_u32_e32 v17, vcc_lo, v13, v12, vcc_lo
.LBB99_30:                              ;   in Loop: Header=BB99_28 Depth=2
	s_and_not1_saveexec_b32 s0, s37
	s_cbranch_execz .LBB99_27
; %bb.31:                               ;   in Loop: Header=BB99_28 Depth=2
	v_cvt_f32_u32_e32 v3, s44
	s_sub_i32 s37, 0, s44
	v_mov_b32_e32 v17, v2
	s_delay_alu instid0(VALU_DEP_2) | instskip(SKIP_2) | instid1(VALU_DEP_1)
	v_rcp_iflag_f32_e32 v3, v3
	s_waitcnt_depctr 0xfff
	v_mul_f32_e32 v3, 0x4f7ffffe, v3
	v_cvt_u32_f32_e32 v3, v3
	s_delay_alu instid0(VALU_DEP_1) | instskip(NEXT) | instid1(VALU_DEP_1)
	v_mul_lo_u32 v12, s37, v3
	v_mul_hi_u32 v12, v3, v12
	s_delay_alu instid0(VALU_DEP_1) | instskip(NEXT) | instid1(VALU_DEP_1)
	v_add_nc_u32_e32 v3, v3, v12
	v_mul_hi_u32 v3, v6, v3
	s_delay_alu instid0(VALU_DEP_1) | instskip(SKIP_1) | instid1(VALU_DEP_2)
	v_mul_lo_u32 v12, v3, s44
	v_add_nc_u32_e32 v13, 1, v3
	v_sub_nc_u32_e32 v12, v6, v12
	s_delay_alu instid0(VALU_DEP_1) | instskip(SKIP_1) | instid1(VALU_DEP_2)
	v_subrev_nc_u32_e32 v14, s44, v12
	v_cmp_le_u32_e32 vcc_lo, s44, v12
	v_dual_cndmask_b32 v12, v12, v14 :: v_dual_cndmask_b32 v3, v3, v13
	s_delay_alu instid0(VALU_DEP_1) | instskip(NEXT) | instid1(VALU_DEP_2)
	v_cmp_le_u32_e32 vcc_lo, s44, v12
	v_add_nc_u32_e32 v13, 1, v3
	s_delay_alu instid0(VALU_DEP_1)
	v_cndmask_b32_e32 v16, v3, v13, vcc_lo
	s_branch .LBB99_27
.LBB99_32:
	s_nop 0
	s_sendmsg sendmsg(MSG_DEALLOC_VGPRS)
	s_endpgm
	.section	.rodata,"a",@progbits
	.p2align	6, 0x0
	.amdhsa_kernel _ZN2at6native16triu_tril_kernelIN3c108BFloat16ElLb1ELi4ELb0EEEvNS_4cuda6detail10TensorInfoIT_T0_EENS6_IKS7_S8_EEllS8_
		.amdhsa_group_segment_fixed_size 0
		.amdhsa_private_segment_fixed_size 0
		.amdhsa_kernarg_size 1112
		.amdhsa_user_sgpr_count 15
		.amdhsa_user_sgpr_dispatch_ptr 0
		.amdhsa_user_sgpr_queue_ptr 0
		.amdhsa_user_sgpr_kernarg_segment_ptr 1
		.amdhsa_user_sgpr_dispatch_id 0
		.amdhsa_user_sgpr_private_segment_size 0
		.amdhsa_wavefront_size32 1
		.amdhsa_uses_dynamic_stack 0
		.amdhsa_enable_private_segment 0
		.amdhsa_system_sgpr_workgroup_id_x 1
		.amdhsa_system_sgpr_workgroup_id_y 0
		.amdhsa_system_sgpr_workgroup_id_z 0
		.amdhsa_system_sgpr_workgroup_info 0
		.amdhsa_system_vgpr_workitem_id 0
		.amdhsa_next_free_vgpr 26
		.amdhsa_next_free_sgpr 55
		.amdhsa_reserve_vcc 1
		.amdhsa_float_round_mode_32 0
		.amdhsa_float_round_mode_16_64 0
		.amdhsa_float_denorm_mode_32 3
		.amdhsa_float_denorm_mode_16_64 3
		.amdhsa_dx10_clamp 1
		.amdhsa_ieee_mode 1
		.amdhsa_fp16_overflow 0
		.amdhsa_workgroup_processor_mode 1
		.amdhsa_memory_ordered 1
		.amdhsa_forward_progress 0
		.amdhsa_shared_vgpr_count 0
		.amdhsa_exception_fp_ieee_invalid_op 0
		.amdhsa_exception_fp_denorm_src 0
		.amdhsa_exception_fp_ieee_div_zero 0
		.amdhsa_exception_fp_ieee_overflow 0
		.amdhsa_exception_fp_ieee_underflow 0
		.amdhsa_exception_fp_ieee_inexact 0
		.amdhsa_exception_int_div_zero 0
	.end_amdhsa_kernel
	.section	.text._ZN2at6native16triu_tril_kernelIN3c108BFloat16ElLb1ELi4ELb0EEEvNS_4cuda6detail10TensorInfoIT_T0_EENS6_IKS7_S8_EEllS8_,"axG",@progbits,_ZN2at6native16triu_tril_kernelIN3c108BFloat16ElLb1ELi4ELb0EEEvNS_4cuda6detail10TensorInfoIT_T0_EENS6_IKS7_S8_EEllS8_,comdat
.Lfunc_end99:
	.size	_ZN2at6native16triu_tril_kernelIN3c108BFloat16ElLb1ELi4ELb0EEEvNS_4cuda6detail10TensorInfoIT_T0_EENS6_IKS7_S8_EEllS8_, .Lfunc_end99-_ZN2at6native16triu_tril_kernelIN3c108BFloat16ElLb1ELi4ELb0EEEvNS_4cuda6detail10TensorInfoIT_T0_EENS6_IKS7_S8_EEllS8_
                                        ; -- End function
	.section	.AMDGPU.csdata,"",@progbits
; Kernel info:
; codeLenInByte = 4512
; NumSgprs: 57
; NumVgprs: 26
; ScratchSize: 0
; MemoryBound: 0
; FloatMode: 240
; IeeeMode: 1
; LDSByteSize: 0 bytes/workgroup (compile time only)
; SGPRBlocks: 7
; VGPRBlocks: 3
; NumSGPRsForWavesPerEU: 57
; NumVGPRsForWavesPerEU: 26
; Occupancy: 16
; WaveLimiterHint : 0
; COMPUTE_PGM_RSRC2:SCRATCH_EN: 0
; COMPUTE_PGM_RSRC2:USER_SGPR: 15
; COMPUTE_PGM_RSRC2:TRAP_HANDLER: 0
; COMPUTE_PGM_RSRC2:TGID_X_EN: 1
; COMPUTE_PGM_RSRC2:TGID_Y_EN: 0
; COMPUTE_PGM_RSRC2:TGID_Z_EN: 0
; COMPUTE_PGM_RSRC2:TIDIG_COMP_CNT: 0
	.section	.text._ZN2at6native16triu_tril_kernelIbiLb1ELi4ELb1EEEvNS_4cuda6detail10TensorInfoIT_T0_EENS4_IKS5_S6_EEllS6_,"axG",@progbits,_ZN2at6native16triu_tril_kernelIbiLb1ELi4ELb1EEEvNS_4cuda6detail10TensorInfoIT_T0_EENS4_IKS5_S6_EEllS6_,comdat
	.protected	_ZN2at6native16triu_tril_kernelIbiLb1ELi4ELb1EEEvNS_4cuda6detail10TensorInfoIT_T0_EENS4_IKS5_S6_EEllS6_ ; -- Begin function _ZN2at6native16triu_tril_kernelIbiLb1ELi4ELb1EEEvNS_4cuda6detail10TensorInfoIT_T0_EENS4_IKS5_S6_EEllS6_
	.globl	_ZN2at6native16triu_tril_kernelIbiLb1ELi4ELb1EEEvNS_4cuda6detail10TensorInfoIT_T0_EENS4_IKS5_S6_EEllS6_
	.p2align	8
	.type	_ZN2at6native16triu_tril_kernelIbiLb1ELi4ELb1EEEvNS_4cuda6detail10TensorInfoIT_T0_EENS4_IKS5_S6_EEllS6_,@function
_ZN2at6native16triu_tril_kernelIbiLb1ELi4ELb1EEEvNS_4cuda6detail10TensorInfoIT_T0_EENS4_IKS5_S6_EEllS6_: ; @_ZN2at6native16triu_tril_kernelIbiLb1ELi4ELb1EEEvNS_4cuda6detail10TensorInfoIT_T0_EENS4_IKS5_S6_EEllS6_
; %bb.0:
	s_clause 0x1
	s_load_b32 s2, s[0:1], 0x1d4
	s_load_b128 s[4:7], s[0:1], 0x1b0
	v_mov_b32_e32 v2, 0
	s_add_u32 s8, s0, 0x1c8
	s_addc_u32 s9, s1, 0
	s_delay_alu instid0(VALU_DEP_1) | instskip(SKIP_3) | instid1(VALU_DEP_1)
	v_mov_b32_e32 v1, v2
	s_waitcnt lgkmcnt(0)
	s_and_b32 s14, s2, 0xffff
	s_mov_b32 s2, exec_lo
	v_mad_u64_u32 v[3:4], null, s14, s15, v[0:1]
	s_delay_alu instid0(VALU_DEP_1) | instskip(NEXT) | instid1(VALU_DEP_1)
	v_lshlrev_b64 v[0:1], 2, v[3:4]
	v_cmpx_gt_i64_e64 s[6:7], v[0:1]
	s_cbranch_execz .LBB100_68
; %bb.1:
	s_clause 0x2
	s_load_b32 s24, s[0:1], 0x1c0
	s_load_b32 s16, s[0:1], 0x1a8
	s_load_b64 s[2:3], s[0:1], 0x0
	s_load_b32 s19, s[8:9], 0x0
	s_mov_b32 s38, 0
	s_waitcnt lgkmcnt(0)
	s_ashr_i32 s25, s24, 31
	s_ashr_i32 s17, s16, 31
	s_add_u32 s26, s0, 0xe0
	s_addc_u32 s27, s1, 0
	s_lshl_b64 s[10:11], s[16:17], 2
	v_cvt_f32_u32_e32 v3, s24
	s_add_u32 s15, s10, -8
	s_addc_u32 s18, s11, -1
	s_add_u32 s12, s26, s15
	s_addc_u32 s13, s27, s18
	v_rcp_iflag_f32_e32 v3, v3
	s_load_b32 s28, s[12:13], 0x0
	s_mul_i32 s19, s19, s14
	v_cmp_gt_i64_e64 s37, s[16:17], 2
	s_waitcnt_depctr 0xfff
	v_mul_f32_e32 v3, 0x4f7ffffe, v3
	s_delay_alu instid0(VALU_DEP_1)
	v_cvt_u32_f32_e32 v3, v3
	s_waitcnt lgkmcnt(0)
	s_ashr_i32 s29, s28, 31
	s_add_u32 s12, s10, -4
	s_addc_u32 s13, s11, -1
	s_add_u32 s30, s0, 0x6c
	s_addc_u32 s1, s1, 0
	s_add_u32 s8, s30, s12
	s_addc_u32 s9, s1, s13
	;; [unrolled: 2-line block ×3, first 2 shown]
	s_add_i32 s31, s16, -3
	s_add_u32 s12, s26, s12
	s_addc_u32 s13, s27, s13
	s_add_i32 s0, s16, 6
	s_lshl_b32 s34, s19, 2
	s_and_b32 s33, s0, 7
	s_mov_b32 s15, 0
	s_cmp_lg_u32 s33, 0
	s_cselect_b32 s35, -1, 0
	s_cmp_gt_u32 s31, 6
	s_cselect_b32 s36, -1, 0
	s_sub_i32 s0, 0, s24
	s_delay_alu instid0(SALU_CYCLE_1) | instskip(NEXT) | instid1(VALU_DEP_1)
	v_mul_lo_u32 v4, s0, v3
	v_mul_hi_u32 v4, v3, v4
	s_delay_alu instid0(VALU_DEP_1)
	v_add_nc_u32_e32 v24, v3, v4
	s_branch .LBB100_3
.LBB100_2:                              ;   in Loop: Header=BB100_3 Depth=1
	s_or_b32 exec_lo, exec_lo, s39
	v_add_co_u32 v0, vcc_lo, v0, s34
	v_add_co_ci_u32_e32 v1, vcc_lo, 0, v1, vcc_lo
	s_delay_alu instid0(VALU_DEP_1) | instskip(SKIP_1) | instid1(SALU_CYCLE_1)
	v_cmp_le_i64_e32 vcc_lo, s[6:7], v[0:1]
	s_or_b32 s38, vcc_lo, s38
	s_and_not1_b32 exec_lo, exec_lo, s38
	s_cbranch_execz .LBB100_68
.LBB100_3:                              ; =>This Loop Header: Depth=1
                                        ;     Child Loop BB100_15 Depth 2
                                        ;     Child Loop BB100_24 Depth 2
	v_or_b32_e32 v3, s25, v1
                                        ; implicit-def: $vgpr4_vgpr5
	s_mov_b32 s0, exec_lo
	s_delay_alu instid0(VALU_DEP_1)
	v_cmpx_ne_u64_e32 0, v[2:3]
	s_xor_b32 s14, exec_lo, s0
	s_cbranch_execz .LBB100_5
; %bb.4:                                ;   in Loop: Header=BB100_3 Depth=1
	s_add_u32 s18, s24, s25
	s_mov_b32 s16, s25
	s_mov_b32 s17, s25
	s_addc_u32 s19, s25, s25
	s_delay_alu instid0(SALU_CYCLE_1) | instskip(NEXT) | instid1(SALU_CYCLE_1)
	s_xor_b64 s[18:19], s[18:19], s[16:17]
	v_cvt_f32_u32_e32 v3, s18
	v_cvt_f32_u32_e32 v4, s19
	s_sub_u32 s0, 0, s18
	s_subb_u32 s20, 0, s19
	s_delay_alu instid0(VALU_DEP_1) | instskip(NEXT) | instid1(VALU_DEP_1)
	v_fmac_f32_e32 v3, 0x4f800000, v4
	v_rcp_f32_e32 v3, v3
	s_waitcnt_depctr 0xfff
	v_mul_f32_e32 v3, 0x5f7ffffc, v3
	s_delay_alu instid0(VALU_DEP_1) | instskip(NEXT) | instid1(VALU_DEP_1)
	v_mul_f32_e32 v4, 0x2f800000, v3
	v_trunc_f32_e32 v4, v4
	s_delay_alu instid0(VALU_DEP_1) | instskip(SKIP_1) | instid1(VALU_DEP_2)
	v_fmac_f32_e32 v3, 0xcf800000, v4
	v_cvt_u32_f32_e32 v4, v4
	v_cvt_u32_f32_e32 v3, v3
	s_delay_alu instid0(VALU_DEP_2) | instskip(NEXT) | instid1(VALU_DEP_2)
	v_mul_lo_u32 v5, s0, v4
	v_mul_hi_u32 v6, s0, v3
	v_mul_lo_u32 v7, s20, v3
	s_delay_alu instid0(VALU_DEP_2) | instskip(SKIP_1) | instid1(VALU_DEP_2)
	v_add_nc_u32_e32 v5, v6, v5
	v_mul_lo_u32 v6, s0, v3
	v_add_nc_u32_e32 v5, v5, v7
	s_delay_alu instid0(VALU_DEP_2) | instskip(NEXT) | instid1(VALU_DEP_2)
	v_mul_hi_u32 v7, v3, v6
	v_mul_lo_u32 v8, v3, v5
	v_mul_hi_u32 v9, v3, v5
	v_mul_hi_u32 v10, v4, v6
	v_mul_lo_u32 v6, v4, v6
	v_mul_hi_u32 v11, v4, v5
	v_mul_lo_u32 v5, v4, v5
	v_add_co_u32 v7, vcc_lo, v7, v8
	v_add_co_ci_u32_e32 v8, vcc_lo, 0, v9, vcc_lo
	s_delay_alu instid0(VALU_DEP_2) | instskip(NEXT) | instid1(VALU_DEP_2)
	v_add_co_u32 v6, vcc_lo, v7, v6
	v_add_co_ci_u32_e32 v6, vcc_lo, v8, v10, vcc_lo
	v_add_co_ci_u32_e32 v7, vcc_lo, 0, v11, vcc_lo
	v_ashrrev_i32_e32 v10, 31, v1
	s_delay_alu instid0(VALU_DEP_3) | instskip(NEXT) | instid1(VALU_DEP_3)
	v_add_co_u32 v5, vcc_lo, v6, v5
	v_add_co_ci_u32_e32 v6, vcc_lo, 0, v7, vcc_lo
	s_delay_alu instid0(VALU_DEP_2) | instskip(NEXT) | instid1(VALU_DEP_2)
	v_add_co_u32 v3, vcc_lo, v3, v5
	v_add_co_ci_u32_e32 v4, vcc_lo, v4, v6, vcc_lo
	s_delay_alu instid0(VALU_DEP_2) | instskip(SKIP_1) | instid1(VALU_DEP_3)
	v_mul_hi_u32 v5, s0, v3
	v_mul_lo_u32 v7, s20, v3
	v_mul_lo_u32 v6, s0, v4
	s_delay_alu instid0(VALU_DEP_1) | instskip(SKIP_1) | instid1(VALU_DEP_2)
	v_add_nc_u32_e32 v5, v5, v6
	v_mul_lo_u32 v6, s0, v3
	v_add_nc_u32_e32 v5, v5, v7
	s_delay_alu instid0(VALU_DEP_2) | instskip(NEXT) | instid1(VALU_DEP_2)
	v_mul_hi_u32 v7, v3, v6
	v_mul_lo_u32 v8, v3, v5
	v_mul_hi_u32 v9, v3, v5
	v_mul_hi_u32 v11, v4, v6
	v_mul_lo_u32 v6, v4, v6
	v_mul_hi_u32 v12, v4, v5
	v_mul_lo_u32 v5, v4, v5
	v_add_co_u32 v7, vcc_lo, v7, v8
	v_add_co_ci_u32_e32 v8, vcc_lo, 0, v9, vcc_lo
	s_delay_alu instid0(VALU_DEP_2) | instskip(NEXT) | instid1(VALU_DEP_2)
	v_add_co_u32 v6, vcc_lo, v7, v6
	v_add_co_ci_u32_e32 v6, vcc_lo, v8, v11, vcc_lo
	v_add_co_ci_u32_e32 v7, vcc_lo, 0, v12, vcc_lo
	v_add_co_u32 v8, vcc_lo, v0, v10
	v_add_co_ci_u32_e32 v9, vcc_lo, v1, v10, vcc_lo
	s_delay_alu instid0(VALU_DEP_4) | instskip(NEXT) | instid1(VALU_DEP_4)
	v_add_co_u32 v5, vcc_lo, v6, v5
	v_add_co_ci_u32_e32 v6, vcc_lo, 0, v7, vcc_lo
	s_delay_alu instid0(VALU_DEP_4) | instskip(NEXT) | instid1(VALU_DEP_3)
	v_xor_b32_e32 v11, v8, v10
	v_add_co_u32 v7, vcc_lo, v3, v5
	s_delay_alu instid0(VALU_DEP_3) | instskip(SKIP_1) | instid1(VALU_DEP_3)
	v_add_co_ci_u32_e32 v12, vcc_lo, v4, v6, vcc_lo
	v_xor_b32_e32 v9, v9, v10
	v_mul_hi_u32 v13, v11, v7
	s_delay_alu instid0(VALU_DEP_3) | instskip(NEXT) | instid1(VALU_DEP_3)
	v_mad_u64_u32 v[3:4], null, v11, v12, 0
	v_mad_u64_u32 v[5:6], null, v9, v7, 0
	;; [unrolled: 1-line block ×3, first 2 shown]
	s_delay_alu instid0(VALU_DEP_3) | instskip(NEXT) | instid1(VALU_DEP_4)
	v_add_co_u32 v3, vcc_lo, v13, v3
	v_add_co_ci_u32_e32 v4, vcc_lo, 0, v4, vcc_lo
	s_delay_alu instid0(VALU_DEP_2) | instskip(NEXT) | instid1(VALU_DEP_2)
	v_add_co_u32 v3, vcc_lo, v3, v5
	v_add_co_ci_u32_e32 v3, vcc_lo, v4, v6, vcc_lo
	v_add_co_ci_u32_e32 v4, vcc_lo, 0, v8, vcc_lo
	s_delay_alu instid0(VALU_DEP_2) | instskip(NEXT) | instid1(VALU_DEP_2)
	v_add_co_u32 v5, vcc_lo, v3, v7
	v_add_co_ci_u32_e32 v6, vcc_lo, 0, v4, vcc_lo
	s_delay_alu instid0(VALU_DEP_2) | instskip(SKIP_1) | instid1(VALU_DEP_3)
	v_mul_lo_u32 v7, s19, v5
	v_mad_u64_u32 v[3:4], null, s18, v5, 0
	v_mul_lo_u32 v8, s18, v6
	s_delay_alu instid0(VALU_DEP_2) | instskip(NEXT) | instid1(VALU_DEP_2)
	v_sub_co_u32 v3, vcc_lo, v11, v3
	v_add3_u32 v4, v4, v8, v7
	s_delay_alu instid0(VALU_DEP_1) | instskip(NEXT) | instid1(VALU_DEP_1)
	v_sub_nc_u32_e32 v7, v9, v4
	v_subrev_co_ci_u32_e64 v7, s0, s19, v7, vcc_lo
	v_add_co_u32 v8, s0, v5, 2
	s_delay_alu instid0(VALU_DEP_1) | instskip(SKIP_3) | instid1(VALU_DEP_3)
	v_add_co_ci_u32_e64 v11, s0, 0, v6, s0
	v_sub_co_u32 v12, s0, v3, s18
	v_sub_co_ci_u32_e32 v4, vcc_lo, v9, v4, vcc_lo
	v_subrev_co_ci_u32_e64 v7, s0, 0, v7, s0
	v_cmp_le_u32_e32 vcc_lo, s18, v12
	s_delay_alu instid0(VALU_DEP_3) | instskip(SKIP_1) | instid1(VALU_DEP_4)
	v_cmp_eq_u32_e64 s0, s19, v4
	v_cndmask_b32_e64 v9, 0, -1, vcc_lo
	v_cmp_le_u32_e32 vcc_lo, s19, v7
	v_cndmask_b32_e64 v12, 0, -1, vcc_lo
	v_cmp_le_u32_e32 vcc_lo, s18, v3
	;; [unrolled: 2-line block ×3, first 2 shown]
	v_cndmask_b32_e64 v13, 0, -1, vcc_lo
	v_cmp_eq_u32_e32 vcc_lo, s19, v7
	s_delay_alu instid0(VALU_DEP_2) | instskip(SKIP_3) | instid1(VALU_DEP_3)
	v_cndmask_b32_e64 v3, v13, v3, s0
	v_cndmask_b32_e32 v7, v12, v9, vcc_lo
	v_add_co_u32 v9, vcc_lo, v5, 1
	v_add_co_ci_u32_e32 v12, vcc_lo, 0, v6, vcc_lo
	v_cmp_ne_u32_e32 vcc_lo, 0, v7
	s_delay_alu instid0(VALU_DEP_2) | instskip(SKIP_2) | instid1(VALU_DEP_3)
	v_dual_cndmask_b32 v4, v12, v11 :: v_dual_cndmask_b32 v7, v9, v8
	v_cmp_ne_u32_e32 vcc_lo, 0, v3
	v_xor_b32_e32 v3, s16, v10
	v_dual_cndmask_b32 v5, v5, v7 :: v_dual_cndmask_b32 v4, v6, v4
	v_xor_b32_e32 v6, s17, v10
	s_delay_alu instid0(VALU_DEP_2) | instskip(NEXT) | instid1(VALU_DEP_2)
	v_xor_b32_e32 v5, v5, v3
	v_xor_b32_e32 v7, v4, v6
	s_delay_alu instid0(VALU_DEP_2) | instskip(NEXT) | instid1(VALU_DEP_2)
	v_sub_co_u32 v4, vcc_lo, v5, v3
	v_sub_co_ci_u32_e32 v5, vcc_lo, v7, v6, vcc_lo
.LBB100_5:                              ;   in Loop: Header=BB100_3 Depth=1
	s_and_not1_saveexec_b32 s0, s14
; %bb.6:                                ;   in Loop: Header=BB100_3 Depth=1
	v_mul_hi_u32 v3, v0, v24
	s_delay_alu instid0(VALU_DEP_1) | instskip(NEXT) | instid1(VALU_DEP_1)
	v_mul_lo_u32 v4, v3, s24
	v_sub_nc_u32_e32 v4, v0, v4
	s_delay_alu instid0(VALU_DEP_1) | instskip(SKIP_1) | instid1(VALU_DEP_2)
	v_subrev_nc_u32_e32 v6, s24, v4
	v_cmp_le_u32_e32 vcc_lo, s24, v4
	v_dual_cndmask_b32 v4, v4, v6 :: v_dual_add_nc_u32 v5, 1, v3
	s_delay_alu instid0(VALU_DEP_1) | instskip(NEXT) | instid1(VALU_DEP_2)
	v_cndmask_b32_e32 v3, v3, v5, vcc_lo
	v_cmp_le_u32_e32 vcc_lo, s24, v4
	s_delay_alu instid0(VALU_DEP_2) | instskip(NEXT) | instid1(VALU_DEP_1)
	v_add_nc_u32_e32 v5, 1, v3
	v_dual_cndmask_b32 v4, v3, v5 :: v_dual_mov_b32 v5, v2
; %bb.7:                                ;   in Loop: Header=BB100_3 Depth=1
	s_or_b32 exec_lo, exec_lo, s0
	s_delay_alu instid0(VALU_DEP_1) | instskip(SKIP_1) | instid1(VALU_DEP_1)
	v_or_b32_e32 v3, s29, v5
                                        ; implicit-def: $vgpr6_vgpr7
	s_mov_b32 s0, exec_lo
	v_cmpx_ne_u64_e32 0, v[2:3]
	s_xor_b32 s14, exec_lo, s0
	s_cbranch_execz .LBB100_9
; %bb.8:                                ;   in Loop: Header=BB100_3 Depth=1
	s_add_u32 s18, s28, s29
	s_mov_b32 s16, s29
	s_mov_b32 s17, s29
	s_addc_u32 s19, s29, s29
	s_delay_alu instid0(SALU_CYCLE_1) | instskip(NEXT) | instid1(SALU_CYCLE_1)
	s_xor_b64 s[18:19], s[18:19], s[16:17]
	v_cvt_f32_u32_e32 v3, s18
	v_cvt_f32_u32_e32 v6, s19
	s_sub_u32 s0, 0, s18
	s_subb_u32 s20, 0, s19
	s_delay_alu instid0(VALU_DEP_1) | instskip(NEXT) | instid1(VALU_DEP_1)
	v_fmac_f32_e32 v3, 0x4f800000, v6
	v_rcp_f32_e32 v3, v3
	s_waitcnt_depctr 0xfff
	v_mul_f32_e32 v3, 0x5f7ffffc, v3
	s_delay_alu instid0(VALU_DEP_1) | instskip(NEXT) | instid1(VALU_DEP_1)
	v_mul_f32_e32 v6, 0x2f800000, v3
	v_trunc_f32_e32 v6, v6
	s_delay_alu instid0(VALU_DEP_1) | instskip(SKIP_1) | instid1(VALU_DEP_2)
	v_fmac_f32_e32 v3, 0xcf800000, v6
	v_cvt_u32_f32_e32 v6, v6
	v_cvt_u32_f32_e32 v3, v3
	s_delay_alu instid0(VALU_DEP_2) | instskip(NEXT) | instid1(VALU_DEP_2)
	v_mul_lo_u32 v7, s0, v6
	v_mul_hi_u32 v8, s0, v3
	v_mul_lo_u32 v9, s20, v3
	s_delay_alu instid0(VALU_DEP_2) | instskip(SKIP_1) | instid1(VALU_DEP_2)
	v_add_nc_u32_e32 v7, v8, v7
	v_mul_lo_u32 v8, s0, v3
	v_add_nc_u32_e32 v7, v7, v9
	s_delay_alu instid0(VALU_DEP_2) | instskip(NEXT) | instid1(VALU_DEP_2)
	v_mul_hi_u32 v9, v3, v8
	v_mul_lo_u32 v10, v3, v7
	v_mul_hi_u32 v11, v3, v7
	v_mul_hi_u32 v12, v6, v8
	v_mul_lo_u32 v8, v6, v8
	v_mul_hi_u32 v13, v6, v7
	v_mul_lo_u32 v7, v6, v7
	v_add_co_u32 v9, vcc_lo, v9, v10
	v_add_co_ci_u32_e32 v10, vcc_lo, 0, v11, vcc_lo
	s_delay_alu instid0(VALU_DEP_2) | instskip(NEXT) | instid1(VALU_DEP_2)
	v_add_co_u32 v8, vcc_lo, v9, v8
	v_add_co_ci_u32_e32 v8, vcc_lo, v10, v12, vcc_lo
	v_add_co_ci_u32_e32 v9, vcc_lo, 0, v13, vcc_lo
	v_ashrrev_i32_e32 v12, 31, v5
	s_delay_alu instid0(VALU_DEP_3) | instskip(NEXT) | instid1(VALU_DEP_3)
	v_add_co_u32 v7, vcc_lo, v8, v7
	v_add_co_ci_u32_e32 v8, vcc_lo, 0, v9, vcc_lo
	s_delay_alu instid0(VALU_DEP_2) | instskip(NEXT) | instid1(VALU_DEP_2)
	v_add_co_u32 v3, vcc_lo, v3, v7
	v_add_co_ci_u32_e32 v6, vcc_lo, v6, v8, vcc_lo
	s_delay_alu instid0(VALU_DEP_2) | instskip(SKIP_1) | instid1(VALU_DEP_3)
	v_mul_hi_u32 v7, s0, v3
	v_mul_lo_u32 v9, s20, v3
	v_mul_lo_u32 v8, s0, v6
	s_delay_alu instid0(VALU_DEP_1) | instskip(SKIP_1) | instid1(VALU_DEP_2)
	v_add_nc_u32_e32 v7, v7, v8
	v_mul_lo_u32 v8, s0, v3
	v_add_nc_u32_e32 v7, v7, v9
	s_delay_alu instid0(VALU_DEP_2) | instskip(NEXT) | instid1(VALU_DEP_2)
	v_mul_hi_u32 v9, v3, v8
	v_mul_lo_u32 v10, v3, v7
	v_mul_hi_u32 v11, v3, v7
	v_mul_hi_u32 v13, v6, v8
	v_mul_lo_u32 v8, v6, v8
	v_mul_hi_u32 v14, v6, v7
	v_mul_lo_u32 v7, v6, v7
	v_add_co_u32 v9, vcc_lo, v9, v10
	v_add_co_ci_u32_e32 v10, vcc_lo, 0, v11, vcc_lo
	s_delay_alu instid0(VALU_DEP_2) | instskip(NEXT) | instid1(VALU_DEP_2)
	v_add_co_u32 v8, vcc_lo, v9, v8
	v_add_co_ci_u32_e32 v8, vcc_lo, v10, v13, vcc_lo
	v_add_co_ci_u32_e32 v9, vcc_lo, 0, v14, vcc_lo
	v_add_co_u32 v10, vcc_lo, v4, v12
	v_add_co_ci_u32_e32 v5, vcc_lo, v5, v12, vcc_lo
	s_delay_alu instid0(VALU_DEP_4) | instskip(NEXT) | instid1(VALU_DEP_4)
	v_add_co_u32 v7, vcc_lo, v8, v7
	v_add_co_ci_u32_e32 v8, vcc_lo, 0, v9, vcc_lo
	s_delay_alu instid0(VALU_DEP_4) | instskip(NEXT) | instid1(VALU_DEP_3)
	v_xor_b32_e32 v11, v10, v12
	v_add_co_u32 v3, vcc_lo, v3, v7
	s_delay_alu instid0(VALU_DEP_3) | instskip(SKIP_1) | instid1(VALU_DEP_3)
	v_add_co_ci_u32_e32 v13, vcc_lo, v6, v8, vcc_lo
	v_xor_b32_e32 v14, v5, v12
	v_mul_hi_u32 v15, v11, v3
	s_delay_alu instid0(VALU_DEP_3) | instskip(NEXT) | instid1(VALU_DEP_3)
	v_mad_u64_u32 v[5:6], null, v11, v13, 0
	v_mad_u64_u32 v[7:8], null, v14, v3, 0
	;; [unrolled: 1-line block ×3, first 2 shown]
	s_delay_alu instid0(VALU_DEP_3) | instskip(NEXT) | instid1(VALU_DEP_4)
	v_add_co_u32 v3, vcc_lo, v15, v5
	v_add_co_ci_u32_e32 v5, vcc_lo, 0, v6, vcc_lo
	s_delay_alu instid0(VALU_DEP_2) | instskip(NEXT) | instid1(VALU_DEP_2)
	v_add_co_u32 v3, vcc_lo, v3, v7
	v_add_co_ci_u32_e32 v3, vcc_lo, v5, v8, vcc_lo
	v_add_co_ci_u32_e32 v5, vcc_lo, 0, v10, vcc_lo
	s_delay_alu instid0(VALU_DEP_2) | instskip(NEXT) | instid1(VALU_DEP_2)
	v_add_co_u32 v3, vcc_lo, v3, v9
	v_add_co_ci_u32_e32 v7, vcc_lo, 0, v5, vcc_lo
	s_delay_alu instid0(VALU_DEP_2) | instskip(SKIP_1) | instid1(VALU_DEP_3)
	v_mul_lo_u32 v8, s19, v3
	v_mad_u64_u32 v[5:6], null, s18, v3, 0
	v_mul_lo_u32 v9, s18, v7
	s_delay_alu instid0(VALU_DEP_2) | instskip(NEXT) | instid1(VALU_DEP_2)
	v_sub_co_u32 v5, vcc_lo, v11, v5
	v_add3_u32 v6, v6, v9, v8
	s_delay_alu instid0(VALU_DEP_1) | instskip(NEXT) | instid1(VALU_DEP_1)
	v_sub_nc_u32_e32 v8, v14, v6
	v_subrev_co_ci_u32_e64 v8, s0, s19, v8, vcc_lo
	v_add_co_u32 v9, s0, v3, 2
	s_delay_alu instid0(VALU_DEP_1) | instskip(SKIP_3) | instid1(VALU_DEP_3)
	v_add_co_ci_u32_e64 v10, s0, 0, v7, s0
	v_sub_co_u32 v11, s0, v5, s18
	v_sub_co_ci_u32_e32 v6, vcc_lo, v14, v6, vcc_lo
	v_subrev_co_ci_u32_e64 v8, s0, 0, v8, s0
	v_cmp_le_u32_e32 vcc_lo, s18, v11
	s_delay_alu instid0(VALU_DEP_3) | instskip(SKIP_1) | instid1(VALU_DEP_4)
	v_cmp_eq_u32_e64 s0, s19, v6
	v_cndmask_b32_e64 v11, 0, -1, vcc_lo
	v_cmp_le_u32_e32 vcc_lo, s19, v8
	v_cndmask_b32_e64 v13, 0, -1, vcc_lo
	v_cmp_le_u32_e32 vcc_lo, s18, v5
	;; [unrolled: 2-line block ×3, first 2 shown]
	v_cndmask_b32_e64 v14, 0, -1, vcc_lo
	v_cmp_eq_u32_e32 vcc_lo, s19, v8
	s_delay_alu instid0(VALU_DEP_2) | instskip(SKIP_3) | instid1(VALU_DEP_3)
	v_cndmask_b32_e64 v5, v14, v5, s0
	v_cndmask_b32_e32 v8, v13, v11, vcc_lo
	v_add_co_u32 v11, vcc_lo, v3, 1
	v_add_co_ci_u32_e32 v13, vcc_lo, 0, v7, vcc_lo
	v_cmp_ne_u32_e32 vcc_lo, 0, v8
	s_delay_alu instid0(VALU_DEP_3) | instskip(NEXT) | instid1(VALU_DEP_3)
	v_cndmask_b32_e32 v8, v11, v9, vcc_lo
	v_cndmask_b32_e32 v6, v13, v10, vcc_lo
	v_cmp_ne_u32_e32 vcc_lo, 0, v5
	v_xor_b32_e32 v5, s16, v12
	s_delay_alu instid0(VALU_DEP_4) | instskip(NEXT) | instid1(VALU_DEP_4)
	v_cndmask_b32_e32 v3, v3, v8, vcc_lo
	v_cndmask_b32_e32 v6, v7, v6, vcc_lo
	v_xor_b32_e32 v7, s17, v12
	s_delay_alu instid0(VALU_DEP_3) | instskip(NEXT) | instid1(VALU_DEP_2)
	v_xor_b32_e32 v3, v3, v5
	v_xor_b32_e32 v8, v6, v7
	s_delay_alu instid0(VALU_DEP_2) | instskip(NEXT) | instid1(VALU_DEP_2)
	v_sub_co_u32 v6, vcc_lo, v3, v5
	v_sub_co_ci_u32_e32 v7, vcc_lo, v8, v7, vcc_lo
.LBB100_9:                              ;   in Loop: Header=BB100_3 Depth=1
	s_and_not1_saveexec_b32 s0, s14
	s_cbranch_execz .LBB100_11
; %bb.10:                               ;   in Loop: Header=BB100_3 Depth=1
	v_cvt_f32_u32_e32 v3, s28
	s_sub_i32 s14, 0, s28
	s_delay_alu instid0(VALU_DEP_1) | instskip(SKIP_2) | instid1(VALU_DEP_1)
	v_rcp_iflag_f32_e32 v3, v3
	s_waitcnt_depctr 0xfff
	v_mul_f32_e32 v3, 0x4f7ffffe, v3
	v_cvt_u32_f32_e32 v3, v3
	s_delay_alu instid0(VALU_DEP_1) | instskip(NEXT) | instid1(VALU_DEP_1)
	v_mul_lo_u32 v5, s14, v3
	v_mul_hi_u32 v5, v3, v5
	s_delay_alu instid0(VALU_DEP_1) | instskip(NEXT) | instid1(VALU_DEP_1)
	v_add_nc_u32_e32 v3, v3, v5
	v_mul_hi_u32 v3, v4, v3
	s_delay_alu instid0(VALU_DEP_1) | instskip(SKIP_1) | instid1(VALU_DEP_2)
	v_mul_lo_u32 v5, v3, s28
	v_add_nc_u32_e32 v6, 1, v3
	v_sub_nc_u32_e32 v5, v4, v5
	s_delay_alu instid0(VALU_DEP_1) | instskip(SKIP_1) | instid1(VALU_DEP_2)
	v_subrev_nc_u32_e32 v7, s28, v5
	v_cmp_le_u32_e32 vcc_lo, s28, v5
	v_cndmask_b32_e32 v5, v5, v7, vcc_lo
	v_mov_b32_e32 v7, v2
	v_cndmask_b32_e32 v3, v3, v6, vcc_lo
	s_delay_alu instid0(VALU_DEP_3) | instskip(NEXT) | instid1(VALU_DEP_2)
	v_cmp_le_u32_e32 vcc_lo, s28, v5
	v_add_nc_u32_e32 v6, 1, v3
	s_delay_alu instid0(VALU_DEP_1)
	v_cndmask_b32_e32 v6, v3, v6, vcc_lo
.LBB100_11:                             ;   in Loop: Header=BB100_3 Depth=1
	s_or_b32 exec_lo, exec_lo, s0
	v_mad_u64_u32 v[8:9], null, v4, s24, 0
	s_delay_alu instid0(VALU_DEP_2) | instskip(SKIP_1) | instid1(VALU_DEP_2)
	v_mad_u64_u32 v[9:10], null, v6, s28, 0
	s_mov_b32 s39, exec_lo
	v_sub_co_u32 v26, null, v0, v8
	s_delay_alu instid0(VALU_DEP_2) | instskip(NEXT) | instid1(VALU_DEP_1)
	v_sub_co_u32 v25, null, v4, v9
	v_sub_nc_u32_e32 v3, v26, v25
	s_delay_alu instid0(VALU_DEP_1) | instskip(NEXT) | instid1(VALU_DEP_1)
	v_ashrrev_i32_e32 v4, 31, v3
	v_cmpx_gt_i64_e64 s[4:5], v[3:4]
	s_cbranch_execz .LBB100_2
; %bb.12:                               ;   in Loop: Header=BB100_3 Depth=1
	s_clause 0x1
	s_load_b32 s40, s[8:9], 0x0
	s_load_b32 s0, s[10:11], 0x0
	s_and_not1_b32 vcc_lo, exec_lo, s37
	s_waitcnt lgkmcnt(0)
	v_mul_lo_u32 v3, s40, v26
	s_delay_alu instid0(VALU_DEP_1)
	v_mad_u64_u32 v[4:5], null, s0, v25, v[3:4]
	s_cbranch_vccnz .LBB100_58
; %bb.13:                               ;   in Loop: Header=BB100_3 Depth=1
	s_and_not1_b32 vcc_lo, exec_lo, s35
	s_cbranch_vccnz .LBB100_21
; %bb.14:                               ;   in Loop: Header=BB100_3 Depth=1
	v_dual_mov_b32 v9, v7 :: v_dual_mov_b32 v8, v6
	s_mov_b32 s22, s33
	s_mov_b32 s14, s31
.LBB100_15:                             ;   Parent Loop BB100_3 Depth=1
                                        ; =>  This Inner Loop Header: Depth=2
	s_delay_alu instid0(SALU_CYCLE_1) | instskip(NEXT) | instid1(SALU_CYCLE_1)
	s_lshl_b64 s[16:17], s[14:15], 2
                                        ; implicit-def: $vgpr6_vgpr7
	s_add_u32 s18, s26, s16
	s_addc_u32 s19, s27, s17
	s_load_b32 s23, s[18:19], 0x0
	s_mov_b32 s18, exec_lo
	s_waitcnt lgkmcnt(0)
	s_ashr_i32 s0, s23, 31
	s_delay_alu instid0(SALU_CYCLE_1) | instskip(NEXT) | instid1(VALU_DEP_1)
	v_or_b32_e32 v3, s0, v9
	v_cmpx_ne_u64_e32 0, v[2:3]
	s_xor_b32 s41, exec_lo, s18
	s_cbranch_execz .LBB100_17
; %bb.16:                               ;   in Loop: Header=BB100_15 Depth=2
	s_add_u32 s20, s23, s0
	s_mov_b32 s18, s0
	s_mov_b32 s19, s0
	s_addc_u32 s21, s0, s0
	s_delay_alu instid0(SALU_CYCLE_1) | instskip(NEXT) | instid1(SALU_CYCLE_1)
	s_xor_b64 s[20:21], s[20:21], s[18:19]
	v_cvt_f32_u32_e32 v3, s20
	v_cvt_f32_u32_e32 v5, s21
	s_sub_u32 s0, 0, s20
	s_subb_u32 s42, 0, s21
	s_delay_alu instid0(VALU_DEP_1) | instskip(NEXT) | instid1(VALU_DEP_1)
	v_fmac_f32_e32 v3, 0x4f800000, v5
	v_rcp_f32_e32 v3, v3
	s_waitcnt_depctr 0xfff
	v_mul_f32_e32 v3, 0x5f7ffffc, v3
	s_delay_alu instid0(VALU_DEP_1) | instskip(NEXT) | instid1(VALU_DEP_1)
	v_mul_f32_e32 v5, 0x2f800000, v3
	v_trunc_f32_e32 v5, v5
	s_delay_alu instid0(VALU_DEP_1) | instskip(SKIP_1) | instid1(VALU_DEP_2)
	v_fmac_f32_e32 v3, 0xcf800000, v5
	v_cvt_u32_f32_e32 v5, v5
	v_cvt_u32_f32_e32 v3, v3
	s_delay_alu instid0(VALU_DEP_2) | instskip(NEXT) | instid1(VALU_DEP_2)
	v_mul_lo_u32 v6, s0, v5
	v_mul_hi_u32 v7, s0, v3
	v_mul_lo_u32 v10, s42, v3
	s_delay_alu instid0(VALU_DEP_2) | instskip(SKIP_1) | instid1(VALU_DEP_2)
	v_add_nc_u32_e32 v6, v7, v6
	v_mul_lo_u32 v7, s0, v3
	v_add_nc_u32_e32 v6, v6, v10
	s_delay_alu instid0(VALU_DEP_2) | instskip(NEXT) | instid1(VALU_DEP_2)
	v_mul_hi_u32 v10, v3, v7
	v_mul_lo_u32 v11, v3, v6
	v_mul_hi_u32 v12, v3, v6
	v_mul_hi_u32 v13, v5, v7
	v_mul_lo_u32 v7, v5, v7
	v_mul_hi_u32 v14, v5, v6
	v_mul_lo_u32 v6, v5, v6
	v_add_co_u32 v10, vcc_lo, v10, v11
	v_add_co_ci_u32_e32 v11, vcc_lo, 0, v12, vcc_lo
	s_delay_alu instid0(VALU_DEP_2) | instskip(NEXT) | instid1(VALU_DEP_2)
	v_add_co_u32 v7, vcc_lo, v10, v7
	v_add_co_ci_u32_e32 v7, vcc_lo, v11, v13, vcc_lo
	v_add_co_ci_u32_e32 v10, vcc_lo, 0, v14, vcc_lo
	v_ashrrev_i32_e32 v13, 31, v9
	s_delay_alu instid0(VALU_DEP_3) | instskip(NEXT) | instid1(VALU_DEP_3)
	v_add_co_u32 v6, vcc_lo, v7, v6
	v_add_co_ci_u32_e32 v7, vcc_lo, 0, v10, vcc_lo
	s_delay_alu instid0(VALU_DEP_2) | instskip(NEXT) | instid1(VALU_DEP_2)
	v_add_co_u32 v3, vcc_lo, v3, v6
	v_add_co_ci_u32_e32 v5, vcc_lo, v5, v7, vcc_lo
	s_delay_alu instid0(VALU_DEP_2) | instskip(SKIP_1) | instid1(VALU_DEP_3)
	v_mul_hi_u32 v6, s0, v3
	v_mul_lo_u32 v10, s42, v3
	v_mul_lo_u32 v7, s0, v5
	s_delay_alu instid0(VALU_DEP_1) | instskip(SKIP_1) | instid1(VALU_DEP_2)
	v_add_nc_u32_e32 v6, v6, v7
	v_mul_lo_u32 v7, s0, v3
	v_add_nc_u32_e32 v6, v6, v10
	s_delay_alu instid0(VALU_DEP_2) | instskip(NEXT) | instid1(VALU_DEP_2)
	v_mul_hi_u32 v10, v3, v7
	v_mul_lo_u32 v11, v3, v6
	v_mul_hi_u32 v12, v3, v6
	v_mul_hi_u32 v14, v5, v7
	v_mul_lo_u32 v7, v5, v7
	v_mul_hi_u32 v15, v5, v6
	v_mul_lo_u32 v6, v5, v6
	v_add_co_u32 v10, vcc_lo, v10, v11
	v_add_co_ci_u32_e32 v11, vcc_lo, 0, v12, vcc_lo
	s_delay_alu instid0(VALU_DEP_2) | instskip(NEXT) | instid1(VALU_DEP_2)
	v_add_co_u32 v7, vcc_lo, v10, v7
	v_add_co_ci_u32_e32 v7, vcc_lo, v11, v14, vcc_lo
	v_add_co_ci_u32_e32 v10, vcc_lo, 0, v15, vcc_lo
	v_add_co_u32 v11, vcc_lo, v8, v13
	v_add_co_ci_u32_e32 v9, vcc_lo, v9, v13, vcc_lo
	s_delay_alu instid0(VALU_DEP_4) | instskip(NEXT) | instid1(VALU_DEP_4)
	v_add_co_u32 v6, vcc_lo, v7, v6
	v_add_co_ci_u32_e32 v7, vcc_lo, 0, v10, vcc_lo
	s_delay_alu instid0(VALU_DEP_4) | instskip(NEXT) | instid1(VALU_DEP_3)
	v_xor_b32_e32 v14, v11, v13
	v_add_co_u32 v3, vcc_lo, v3, v6
	s_delay_alu instid0(VALU_DEP_3) | instskip(SKIP_1) | instid1(VALU_DEP_3)
	v_add_co_ci_u32_e32 v7, vcc_lo, v5, v7, vcc_lo
	v_xor_b32_e32 v15, v9, v13
	v_mul_hi_u32 v16, v14, v3
	s_delay_alu instid0(VALU_DEP_3) | instskip(NEXT) | instid1(VALU_DEP_3)
	v_mad_u64_u32 v[5:6], null, v14, v7, 0
	v_mad_u64_u32 v[9:10], null, v15, v3, 0
	;; [unrolled: 1-line block ×3, first 2 shown]
	s_delay_alu instid0(VALU_DEP_3) | instskip(NEXT) | instid1(VALU_DEP_4)
	v_add_co_u32 v3, vcc_lo, v16, v5
	v_add_co_ci_u32_e32 v5, vcc_lo, 0, v6, vcc_lo
	s_delay_alu instid0(VALU_DEP_2) | instskip(NEXT) | instid1(VALU_DEP_2)
	v_add_co_u32 v3, vcc_lo, v3, v9
	v_add_co_ci_u32_e32 v3, vcc_lo, v5, v10, vcc_lo
	v_add_co_ci_u32_e32 v5, vcc_lo, 0, v12, vcc_lo
	s_delay_alu instid0(VALU_DEP_2) | instskip(NEXT) | instid1(VALU_DEP_2)
	v_add_co_u32 v3, vcc_lo, v3, v11
	v_add_co_ci_u32_e32 v7, vcc_lo, 0, v5, vcc_lo
	s_delay_alu instid0(VALU_DEP_2) | instskip(SKIP_1) | instid1(VALU_DEP_3)
	v_mul_lo_u32 v9, s21, v3
	v_mad_u64_u32 v[5:6], null, s20, v3, 0
	v_mul_lo_u32 v10, s20, v7
	s_delay_alu instid0(VALU_DEP_2) | instskip(NEXT) | instid1(VALU_DEP_2)
	v_sub_co_u32 v5, vcc_lo, v14, v5
	v_add3_u32 v6, v6, v10, v9
	s_delay_alu instid0(VALU_DEP_1) | instskip(NEXT) | instid1(VALU_DEP_1)
	v_sub_nc_u32_e32 v9, v15, v6
	v_subrev_co_ci_u32_e64 v9, s0, s21, v9, vcc_lo
	v_add_co_u32 v10, s0, v3, 2
	s_delay_alu instid0(VALU_DEP_1) | instskip(SKIP_3) | instid1(VALU_DEP_3)
	v_add_co_ci_u32_e64 v11, s0, 0, v7, s0
	v_sub_co_u32 v12, s0, v5, s20
	v_sub_co_ci_u32_e32 v6, vcc_lo, v15, v6, vcc_lo
	v_subrev_co_ci_u32_e64 v9, s0, 0, v9, s0
	v_cmp_le_u32_e32 vcc_lo, s20, v12
	s_delay_alu instid0(VALU_DEP_3) | instskip(SKIP_1) | instid1(VALU_DEP_4)
	v_cmp_eq_u32_e64 s0, s21, v6
	v_cndmask_b32_e64 v12, 0, -1, vcc_lo
	v_cmp_le_u32_e32 vcc_lo, s21, v9
	v_cndmask_b32_e64 v14, 0, -1, vcc_lo
	v_cmp_le_u32_e32 vcc_lo, s20, v5
	;; [unrolled: 2-line block ×3, first 2 shown]
	v_cndmask_b32_e64 v15, 0, -1, vcc_lo
	v_cmp_eq_u32_e32 vcc_lo, s21, v9
	s_delay_alu instid0(VALU_DEP_2) | instskip(SKIP_3) | instid1(VALU_DEP_3)
	v_cndmask_b32_e64 v5, v15, v5, s0
	v_cndmask_b32_e32 v9, v14, v12, vcc_lo
	v_add_co_u32 v12, vcc_lo, v3, 1
	v_add_co_ci_u32_e32 v14, vcc_lo, 0, v7, vcc_lo
	v_cmp_ne_u32_e32 vcc_lo, 0, v9
	s_delay_alu instid0(VALU_DEP_2) | instskip(SKIP_2) | instid1(VALU_DEP_3)
	v_dual_cndmask_b32 v6, v14, v11 :: v_dual_cndmask_b32 v9, v12, v10
	v_cmp_ne_u32_e32 vcc_lo, 0, v5
	v_xor_b32_e32 v5, s18, v13
	v_cndmask_b32_e32 v3, v3, v9, vcc_lo
	s_delay_alu instid0(VALU_DEP_4) | instskip(SKIP_1) | instid1(VALU_DEP_3)
	v_cndmask_b32_e32 v6, v7, v6, vcc_lo
	v_xor_b32_e32 v7, s19, v13
	v_xor_b32_e32 v3, v3, v5
	s_delay_alu instid0(VALU_DEP_2) | instskip(NEXT) | instid1(VALU_DEP_2)
	v_xor_b32_e32 v9, v6, v7
	v_sub_co_u32 v6, vcc_lo, v3, v5
	s_delay_alu instid0(VALU_DEP_2)
	v_sub_co_ci_u32_e32 v7, vcc_lo, v9, v7, vcc_lo
.LBB100_17:                             ;   in Loop: Header=BB100_15 Depth=2
	s_and_not1_saveexec_b32 s0, s41
	s_cbranch_execz .LBB100_19
; %bb.18:                               ;   in Loop: Header=BB100_15 Depth=2
	v_cvt_f32_u32_e32 v3, s23
	s_sub_i32 s18, 0, s23
	s_delay_alu instid0(VALU_DEP_1) | instskip(SKIP_2) | instid1(VALU_DEP_1)
	v_rcp_iflag_f32_e32 v3, v3
	s_waitcnt_depctr 0xfff
	v_mul_f32_e32 v3, 0x4f7ffffe, v3
	v_cvt_u32_f32_e32 v3, v3
	s_delay_alu instid0(VALU_DEP_1) | instskip(NEXT) | instid1(VALU_DEP_1)
	v_mul_lo_u32 v5, s18, v3
	v_mul_hi_u32 v5, v3, v5
	s_delay_alu instid0(VALU_DEP_1) | instskip(NEXT) | instid1(VALU_DEP_1)
	v_add_nc_u32_e32 v3, v3, v5
	v_mul_hi_u32 v3, v8, v3
	s_delay_alu instid0(VALU_DEP_1) | instskip(SKIP_1) | instid1(VALU_DEP_2)
	v_mul_lo_u32 v5, v3, s23
	v_add_nc_u32_e32 v6, 1, v3
	v_sub_nc_u32_e32 v5, v8, v5
	s_delay_alu instid0(VALU_DEP_1) | instskip(SKIP_1) | instid1(VALU_DEP_2)
	v_subrev_nc_u32_e32 v7, s23, v5
	v_cmp_le_u32_e32 vcc_lo, s23, v5
	v_cndmask_b32_e32 v5, v5, v7, vcc_lo
	v_mov_b32_e32 v7, v2
	v_cndmask_b32_e32 v3, v3, v6, vcc_lo
	s_delay_alu instid0(VALU_DEP_3) | instskip(NEXT) | instid1(VALU_DEP_2)
	v_cmp_le_u32_e32 vcc_lo, s23, v5
	v_add_nc_u32_e32 v6, 1, v3
	s_delay_alu instid0(VALU_DEP_1)
	v_cndmask_b32_e32 v6, v3, v6, vcc_lo
.LBB100_19:                             ;   in Loop: Header=BB100_15 Depth=2
	s_or_b32 exec_lo, exec_lo, s0
	s_add_u32 s16, s30, s16
	s_addc_u32 s17, s1, s17
	s_delay_alu instid0(VALU_DEP_1) | instskip(SKIP_4) | instid1(VALU_DEP_1)
	v_mul_lo_u32 v3, v6, s23
	s_load_b32 s0, s[16:17], 0x0
	s_add_i32 s22, s22, -1
	s_add_i32 s14, s14, -1
	s_cmp_lg_u32 s22, 0
	v_sub_nc_u32_e32 v3, v8, v3
	s_waitcnt lgkmcnt(0)
	s_delay_alu instid0(VALU_DEP_1) | instskip(NEXT) | instid1(VALU_DEP_1)
	v_mad_u64_u32 v[8:9], null, s0, v3, v[4:5]
	v_mov_b32_e32 v4, v8
	s_cbranch_scc0 .LBB100_22
; %bb.20:                               ;   in Loop: Header=BB100_15 Depth=2
	v_dual_mov_b32 v9, v7 :: v_dual_mov_b32 v8, v6
	s_branch .LBB100_15
.LBB100_21:                             ;   in Loop: Header=BB100_3 Depth=1
	s_mov_b32 s14, s31
.LBB100_22:                             ;   in Loop: Header=BB100_3 Depth=1
	s_and_not1_b32 vcc_lo, exec_lo, s36
	s_cbranch_vccnz .LBB100_58
; %bb.23:                               ;   in Loop: Header=BB100_3 Depth=1
	s_add_i32 s16, s14, -7
.LBB100_24:                             ;   Parent Loop BB100_3 Depth=1
                                        ; =>  This Inner Loop Header: Depth=2
	s_delay_alu instid0(SALU_CYCLE_1) | instskip(NEXT) | instid1(SALU_CYCLE_1)
	s_add_i32 s14, s16, 7
                                        ; implicit-def: $vgpr8_vgpr9
	s_lshl_b64 s[18:19], s[14:15], 2
	s_mov_b32 s14, exec_lo
	s_add_u32 s20, s26, s18
	s_addc_u32 s21, s27, s19
	s_load_b32 s41, s[20:21], 0x0
	s_waitcnt lgkmcnt(0)
	s_ashr_i32 s0, s41, 31
	s_delay_alu instid0(SALU_CYCLE_1) | instskip(NEXT) | instid1(VALU_DEP_1)
	v_or_b32_e32 v3, s0, v7
	v_cmpx_ne_u64_e32 0, v[2:3]
	s_xor_b32 s14, exec_lo, s14
	s_cbranch_execz .LBB100_26
; %bb.25:                               ;   in Loop: Header=BB100_24 Depth=2
	s_add_u32 s22, s41, s0
	s_mov_b32 s20, s0
	s_mov_b32 s21, s0
	s_addc_u32 s23, s0, s0
	s_delay_alu instid0(SALU_CYCLE_1) | instskip(NEXT) | instid1(SALU_CYCLE_1)
	s_xor_b64 s[22:23], s[22:23], s[20:21]
	v_cvt_f32_u32_e32 v3, s22
	v_cvt_f32_u32_e32 v5, s23
	s_sub_u32 s0, 0, s22
	s_subb_u32 s17, 0, s23
	s_delay_alu instid0(VALU_DEP_1) | instskip(NEXT) | instid1(VALU_DEP_1)
	v_fmac_f32_e32 v3, 0x4f800000, v5
	v_rcp_f32_e32 v3, v3
	s_waitcnt_depctr 0xfff
	v_mul_f32_e32 v3, 0x5f7ffffc, v3
	s_delay_alu instid0(VALU_DEP_1) | instskip(NEXT) | instid1(VALU_DEP_1)
	v_mul_f32_e32 v5, 0x2f800000, v3
	v_trunc_f32_e32 v5, v5
	s_delay_alu instid0(VALU_DEP_1) | instskip(SKIP_1) | instid1(VALU_DEP_2)
	v_fmac_f32_e32 v3, 0xcf800000, v5
	v_cvt_u32_f32_e32 v5, v5
	v_cvt_u32_f32_e32 v3, v3
	s_delay_alu instid0(VALU_DEP_2) | instskip(NEXT) | instid1(VALU_DEP_2)
	v_mul_lo_u32 v8, s0, v5
	v_mul_hi_u32 v9, s0, v3
	v_mul_lo_u32 v10, s17, v3
	s_delay_alu instid0(VALU_DEP_2) | instskip(SKIP_1) | instid1(VALU_DEP_2)
	v_add_nc_u32_e32 v8, v9, v8
	v_mul_lo_u32 v9, s0, v3
	v_add_nc_u32_e32 v8, v8, v10
	s_delay_alu instid0(VALU_DEP_2) | instskip(NEXT) | instid1(VALU_DEP_2)
	v_mul_hi_u32 v10, v3, v9
	v_mul_lo_u32 v11, v3, v8
	v_mul_hi_u32 v12, v3, v8
	v_mul_hi_u32 v13, v5, v9
	v_mul_lo_u32 v9, v5, v9
	v_mul_hi_u32 v14, v5, v8
	v_mul_lo_u32 v8, v5, v8
	v_add_co_u32 v10, vcc_lo, v10, v11
	v_add_co_ci_u32_e32 v11, vcc_lo, 0, v12, vcc_lo
	s_delay_alu instid0(VALU_DEP_2) | instskip(NEXT) | instid1(VALU_DEP_2)
	v_add_co_u32 v9, vcc_lo, v10, v9
	v_add_co_ci_u32_e32 v9, vcc_lo, v11, v13, vcc_lo
	v_add_co_ci_u32_e32 v10, vcc_lo, 0, v14, vcc_lo
	v_ashrrev_i32_e32 v13, 31, v7
	s_delay_alu instid0(VALU_DEP_3) | instskip(NEXT) | instid1(VALU_DEP_3)
	v_add_co_u32 v8, vcc_lo, v9, v8
	v_add_co_ci_u32_e32 v9, vcc_lo, 0, v10, vcc_lo
	s_delay_alu instid0(VALU_DEP_2) | instskip(NEXT) | instid1(VALU_DEP_2)
	v_add_co_u32 v3, vcc_lo, v3, v8
	v_add_co_ci_u32_e32 v5, vcc_lo, v5, v9, vcc_lo
	s_delay_alu instid0(VALU_DEP_2) | instskip(SKIP_1) | instid1(VALU_DEP_3)
	v_mul_hi_u32 v8, s0, v3
	v_mul_lo_u32 v10, s17, v3
	v_mul_lo_u32 v9, s0, v5
	s_delay_alu instid0(VALU_DEP_1) | instskip(SKIP_1) | instid1(VALU_DEP_2)
	v_add_nc_u32_e32 v8, v8, v9
	v_mul_lo_u32 v9, s0, v3
	v_add_nc_u32_e32 v8, v8, v10
	s_delay_alu instid0(VALU_DEP_2) | instskip(NEXT) | instid1(VALU_DEP_2)
	v_mul_hi_u32 v10, v3, v9
	v_mul_lo_u32 v11, v3, v8
	v_mul_hi_u32 v12, v3, v8
	v_mul_hi_u32 v14, v5, v9
	v_mul_lo_u32 v9, v5, v9
	v_mul_hi_u32 v15, v5, v8
	v_mul_lo_u32 v8, v5, v8
	v_add_co_u32 v10, vcc_lo, v10, v11
	v_add_co_ci_u32_e32 v11, vcc_lo, 0, v12, vcc_lo
	s_delay_alu instid0(VALU_DEP_2) | instskip(NEXT) | instid1(VALU_DEP_2)
	v_add_co_u32 v9, vcc_lo, v10, v9
	v_add_co_ci_u32_e32 v9, vcc_lo, v11, v14, vcc_lo
	v_add_co_ci_u32_e32 v10, vcc_lo, 0, v15, vcc_lo
	v_add_co_u32 v11, vcc_lo, v6, v13
	v_add_co_ci_u32_e32 v7, vcc_lo, v7, v13, vcc_lo
	s_delay_alu instid0(VALU_DEP_4) | instskip(NEXT) | instid1(VALU_DEP_4)
	v_add_co_u32 v8, vcc_lo, v9, v8
	v_add_co_ci_u32_e32 v9, vcc_lo, 0, v10, vcc_lo
	s_delay_alu instid0(VALU_DEP_4) | instskip(NEXT) | instid1(VALU_DEP_3)
	v_xor_b32_e32 v14, v11, v13
	v_add_co_u32 v3, vcc_lo, v3, v8
	s_delay_alu instid0(VALU_DEP_3) | instskip(SKIP_1) | instid1(VALU_DEP_3)
	v_add_co_ci_u32_e32 v5, vcc_lo, v5, v9, vcc_lo
	v_xor_b32_e32 v15, v7, v13
	v_mul_hi_u32 v16, v14, v3
	s_delay_alu instid0(VALU_DEP_3) | instskip(NEXT) | instid1(VALU_DEP_3)
	v_mad_u64_u32 v[7:8], null, v14, v5, 0
	v_mad_u64_u32 v[9:10], null, v15, v3, 0
	;; [unrolled: 1-line block ×3, first 2 shown]
	s_delay_alu instid0(VALU_DEP_3) | instskip(NEXT) | instid1(VALU_DEP_4)
	v_add_co_u32 v3, vcc_lo, v16, v7
	v_add_co_ci_u32_e32 v5, vcc_lo, 0, v8, vcc_lo
	s_delay_alu instid0(VALU_DEP_2) | instskip(NEXT) | instid1(VALU_DEP_2)
	v_add_co_u32 v3, vcc_lo, v3, v9
	v_add_co_ci_u32_e32 v3, vcc_lo, v5, v10, vcc_lo
	v_add_co_ci_u32_e32 v5, vcc_lo, 0, v12, vcc_lo
	s_delay_alu instid0(VALU_DEP_2) | instskip(NEXT) | instid1(VALU_DEP_2)
	v_add_co_u32 v3, vcc_lo, v3, v11
	v_add_co_ci_u32_e32 v5, vcc_lo, 0, v5, vcc_lo
	s_delay_alu instid0(VALU_DEP_2) | instskip(SKIP_1) | instid1(VALU_DEP_3)
	v_mul_lo_u32 v9, s23, v3
	v_mad_u64_u32 v[7:8], null, s22, v3, 0
	v_mul_lo_u32 v10, s22, v5
	s_delay_alu instid0(VALU_DEP_2) | instskip(NEXT) | instid1(VALU_DEP_2)
	v_sub_co_u32 v7, vcc_lo, v14, v7
	v_add3_u32 v8, v8, v10, v9
	s_delay_alu instid0(VALU_DEP_1) | instskip(NEXT) | instid1(VALU_DEP_1)
	v_sub_nc_u32_e32 v9, v15, v8
	v_subrev_co_ci_u32_e64 v9, s0, s23, v9, vcc_lo
	v_add_co_u32 v10, s0, v3, 2
	s_delay_alu instid0(VALU_DEP_1) | instskip(SKIP_3) | instid1(VALU_DEP_3)
	v_add_co_ci_u32_e64 v11, s0, 0, v5, s0
	v_sub_co_u32 v12, s0, v7, s22
	v_sub_co_ci_u32_e32 v8, vcc_lo, v15, v8, vcc_lo
	v_subrev_co_ci_u32_e64 v9, s0, 0, v9, s0
	v_cmp_le_u32_e32 vcc_lo, s22, v12
	s_delay_alu instid0(VALU_DEP_3) | instskip(SKIP_1) | instid1(VALU_DEP_4)
	v_cmp_eq_u32_e64 s0, s23, v8
	v_cndmask_b32_e64 v12, 0, -1, vcc_lo
	v_cmp_le_u32_e32 vcc_lo, s23, v9
	v_cndmask_b32_e64 v14, 0, -1, vcc_lo
	v_cmp_le_u32_e32 vcc_lo, s22, v7
	;; [unrolled: 2-line block ×3, first 2 shown]
	v_cndmask_b32_e64 v15, 0, -1, vcc_lo
	v_cmp_eq_u32_e32 vcc_lo, s23, v9
	s_delay_alu instid0(VALU_DEP_2) | instskip(SKIP_3) | instid1(VALU_DEP_3)
	v_cndmask_b32_e64 v7, v15, v7, s0
	v_cndmask_b32_e32 v9, v14, v12, vcc_lo
	v_add_co_u32 v12, vcc_lo, v3, 1
	v_add_co_ci_u32_e32 v14, vcc_lo, 0, v5, vcc_lo
	v_cmp_ne_u32_e32 vcc_lo, 0, v9
	s_delay_alu instid0(VALU_DEP_2) | instskip(SKIP_2) | instid1(VALU_DEP_3)
	v_dual_cndmask_b32 v8, v14, v11 :: v_dual_cndmask_b32 v9, v12, v10
	v_cmp_ne_u32_e32 vcc_lo, 0, v7
	v_xor_b32_e32 v7, s20, v13
	v_cndmask_b32_e32 v3, v3, v9, vcc_lo
	s_delay_alu instid0(VALU_DEP_4) | instskip(SKIP_1) | instid1(VALU_DEP_3)
	v_cndmask_b32_e32 v5, v5, v8, vcc_lo
	v_xor_b32_e32 v9, s21, v13
	v_xor_b32_e32 v3, v3, v7
	s_delay_alu instid0(VALU_DEP_2) | instskip(NEXT) | instid1(VALU_DEP_2)
	v_xor_b32_e32 v5, v5, v9
	v_sub_co_u32 v8, vcc_lo, v3, v7
	s_delay_alu instid0(VALU_DEP_2)
	v_sub_co_ci_u32_e32 v9, vcc_lo, v5, v9, vcc_lo
.LBB100_26:                             ;   in Loop: Header=BB100_24 Depth=2
	s_and_not1_saveexec_b32 s0, s14
	s_cbranch_execz .LBB100_28
; %bb.27:                               ;   in Loop: Header=BB100_24 Depth=2
	v_cvt_f32_u32_e32 v3, s41
	s_sub_i32 s14, 0, s41
	v_mov_b32_e32 v9, v2
	s_delay_alu instid0(VALU_DEP_2) | instskip(SKIP_2) | instid1(VALU_DEP_1)
	v_rcp_iflag_f32_e32 v3, v3
	s_waitcnt_depctr 0xfff
	v_mul_f32_e32 v3, 0x4f7ffffe, v3
	v_cvt_u32_f32_e32 v3, v3
	s_delay_alu instid0(VALU_DEP_1) | instskip(NEXT) | instid1(VALU_DEP_1)
	v_mul_lo_u32 v5, s14, v3
	v_mul_hi_u32 v5, v3, v5
	s_delay_alu instid0(VALU_DEP_1) | instskip(NEXT) | instid1(VALU_DEP_1)
	v_add_nc_u32_e32 v3, v3, v5
	v_mul_hi_u32 v3, v6, v3
	s_delay_alu instid0(VALU_DEP_1) | instskip(SKIP_1) | instid1(VALU_DEP_2)
	v_mul_lo_u32 v5, v3, s41
	v_add_nc_u32_e32 v7, 1, v3
	v_sub_nc_u32_e32 v5, v6, v5
	s_delay_alu instid0(VALU_DEP_1) | instskip(SKIP_1) | instid1(VALU_DEP_4)
	v_cmp_le_u32_e32 vcc_lo, s41, v5
	v_subrev_nc_u32_e32 v8, s41, v5
	v_cndmask_b32_e32 v3, v3, v7, vcc_lo
	s_delay_alu instid0(VALU_DEP_1) | instskip(NEXT) | instid1(VALU_DEP_3)
	v_add_nc_u32_e32 v7, 1, v3
	v_cndmask_b32_e32 v5, v5, v8, vcc_lo
	s_delay_alu instid0(VALU_DEP_1) | instskip(NEXT) | instid1(VALU_DEP_3)
	v_cmp_le_u32_e32 vcc_lo, s41, v5
	v_cndmask_b32_e32 v8, v3, v7, vcc_lo
.LBB100_28:                             ;   in Loop: Header=BB100_24 Depth=2
	s_or_b32 exec_lo, exec_lo, s0
	s_add_u32 s20, s30, s18
	s_addc_u32 s21, s1, s19
	s_add_i32 s14, s16, 6
                                        ; implicit-def: $vgpr10_vgpr11
	s_delay_alu instid0(SALU_CYCLE_1)
	s_lshl_b64 s[18:19], s[14:15], 2
	s_mov_b32 s14, exec_lo
	s_add_u32 s22, s26, s18
	s_addc_u32 s23, s27, s19
	s_clause 0x1
	s_load_b32 s43, s[22:23], 0x0
	s_load_b32 s42, s[20:21], 0x0
	s_waitcnt lgkmcnt(0)
	s_ashr_i32 s0, s43, 31
	s_delay_alu instid0(SALU_CYCLE_1) | instskip(NEXT) | instid1(VALU_DEP_1)
	v_or_b32_e32 v3, s0, v9
	v_cmpx_ne_u64_e32 0, v[2:3]
	s_xor_b32 s14, exec_lo, s14
	s_cbranch_execz .LBB100_30
; %bb.29:                               ;   in Loop: Header=BB100_24 Depth=2
	s_add_u32 s22, s43, s0
	s_mov_b32 s20, s0
	s_mov_b32 s21, s0
	s_addc_u32 s23, s0, s0
	s_delay_alu instid0(SALU_CYCLE_1) | instskip(NEXT) | instid1(SALU_CYCLE_1)
	s_xor_b64 s[22:23], s[22:23], s[20:21]
	v_cvt_f32_u32_e32 v3, s22
	v_cvt_f32_u32_e32 v5, s23
	s_sub_u32 s0, 0, s22
	s_subb_u32 s17, 0, s23
	s_delay_alu instid0(VALU_DEP_1) | instskip(NEXT) | instid1(VALU_DEP_1)
	v_fmac_f32_e32 v3, 0x4f800000, v5
	v_rcp_f32_e32 v3, v3
	s_waitcnt_depctr 0xfff
	v_mul_f32_e32 v3, 0x5f7ffffc, v3
	s_delay_alu instid0(VALU_DEP_1) | instskip(NEXT) | instid1(VALU_DEP_1)
	v_mul_f32_e32 v5, 0x2f800000, v3
	v_trunc_f32_e32 v5, v5
	s_delay_alu instid0(VALU_DEP_1) | instskip(SKIP_1) | instid1(VALU_DEP_2)
	v_fmac_f32_e32 v3, 0xcf800000, v5
	v_cvt_u32_f32_e32 v5, v5
	v_cvt_u32_f32_e32 v3, v3
	s_delay_alu instid0(VALU_DEP_2) | instskip(NEXT) | instid1(VALU_DEP_2)
	v_mul_lo_u32 v7, s0, v5
	v_mul_hi_u32 v10, s0, v3
	v_mul_lo_u32 v11, s17, v3
	s_delay_alu instid0(VALU_DEP_2) | instskip(SKIP_1) | instid1(VALU_DEP_2)
	v_add_nc_u32_e32 v7, v10, v7
	v_mul_lo_u32 v10, s0, v3
	v_add_nc_u32_e32 v7, v7, v11
	s_delay_alu instid0(VALU_DEP_2) | instskip(NEXT) | instid1(VALU_DEP_2)
	v_mul_hi_u32 v11, v3, v10
	v_mul_lo_u32 v12, v3, v7
	v_mul_hi_u32 v13, v3, v7
	v_mul_hi_u32 v14, v5, v10
	v_mul_lo_u32 v10, v5, v10
	v_mul_hi_u32 v15, v5, v7
	v_mul_lo_u32 v7, v5, v7
	v_add_co_u32 v11, vcc_lo, v11, v12
	v_add_co_ci_u32_e32 v12, vcc_lo, 0, v13, vcc_lo
	s_delay_alu instid0(VALU_DEP_2) | instskip(NEXT) | instid1(VALU_DEP_2)
	v_add_co_u32 v10, vcc_lo, v11, v10
	v_add_co_ci_u32_e32 v10, vcc_lo, v12, v14, vcc_lo
	v_add_co_ci_u32_e32 v11, vcc_lo, 0, v15, vcc_lo
	v_ashrrev_i32_e32 v15, 31, v9
	s_delay_alu instid0(VALU_DEP_3) | instskip(NEXT) | instid1(VALU_DEP_3)
	v_add_co_u32 v7, vcc_lo, v10, v7
	v_add_co_ci_u32_e32 v10, vcc_lo, 0, v11, vcc_lo
	s_delay_alu instid0(VALU_DEP_2) | instskip(NEXT) | instid1(VALU_DEP_2)
	v_add_co_u32 v3, vcc_lo, v3, v7
	v_add_co_ci_u32_e32 v5, vcc_lo, v5, v10, vcc_lo
	s_delay_alu instid0(VALU_DEP_2) | instskip(SKIP_1) | instid1(VALU_DEP_3)
	v_mul_hi_u32 v7, s0, v3
	v_mul_lo_u32 v11, s17, v3
	v_mul_lo_u32 v10, s0, v5
	s_delay_alu instid0(VALU_DEP_1) | instskip(SKIP_1) | instid1(VALU_DEP_2)
	v_add_nc_u32_e32 v7, v7, v10
	v_mul_lo_u32 v10, s0, v3
	v_add_nc_u32_e32 v7, v7, v11
	s_delay_alu instid0(VALU_DEP_2) | instskip(NEXT) | instid1(VALU_DEP_2)
	v_mul_hi_u32 v11, v3, v10
	v_mul_lo_u32 v12, v3, v7
	v_mul_hi_u32 v13, v3, v7
	v_mul_hi_u32 v14, v5, v10
	v_mul_lo_u32 v10, v5, v10
	v_mul_hi_u32 v16, v5, v7
	v_mul_lo_u32 v7, v5, v7
	v_add_co_u32 v11, vcc_lo, v11, v12
	v_add_co_ci_u32_e32 v12, vcc_lo, 0, v13, vcc_lo
	s_delay_alu instid0(VALU_DEP_2) | instskip(NEXT) | instid1(VALU_DEP_2)
	v_add_co_u32 v10, vcc_lo, v11, v10
	v_add_co_ci_u32_e32 v10, vcc_lo, v12, v14, vcc_lo
	v_add_co_ci_u32_e32 v11, vcc_lo, 0, v16, vcc_lo
	v_add_co_u32 v12, vcc_lo, v8, v15
	v_add_co_ci_u32_e32 v9, vcc_lo, v9, v15, vcc_lo
	s_delay_alu instid0(VALU_DEP_4) | instskip(NEXT) | instid1(VALU_DEP_4)
	v_add_co_u32 v7, vcc_lo, v10, v7
	v_add_co_ci_u32_e32 v10, vcc_lo, 0, v11, vcc_lo
	s_delay_alu instid0(VALU_DEP_4) | instskip(NEXT) | instid1(VALU_DEP_3)
	v_xor_b32_e32 v16, v12, v15
	v_add_co_u32 v3, vcc_lo, v3, v7
	s_delay_alu instid0(VALU_DEP_3) | instskip(SKIP_1) | instid1(VALU_DEP_3)
	v_add_co_ci_u32_e32 v5, vcc_lo, v5, v10, vcc_lo
	v_xor_b32_e32 v7, v9, v15
	v_mul_hi_u32 v17, v16, v3
	s_delay_alu instid0(VALU_DEP_3) | instskip(NEXT) | instid1(VALU_DEP_3)
	v_mad_u64_u32 v[9:10], null, v16, v5, 0
	v_mad_u64_u32 v[11:12], null, v7, v3, 0
	v_mad_u64_u32 v[13:14], null, v7, v5, 0
	s_delay_alu instid0(VALU_DEP_3) | instskip(NEXT) | instid1(VALU_DEP_4)
	v_add_co_u32 v3, vcc_lo, v17, v9
	v_add_co_ci_u32_e32 v5, vcc_lo, 0, v10, vcc_lo
	s_delay_alu instid0(VALU_DEP_2) | instskip(NEXT) | instid1(VALU_DEP_2)
	v_add_co_u32 v3, vcc_lo, v3, v11
	v_add_co_ci_u32_e32 v3, vcc_lo, v5, v12, vcc_lo
	v_add_co_ci_u32_e32 v5, vcc_lo, 0, v14, vcc_lo
	s_delay_alu instid0(VALU_DEP_2) | instskip(NEXT) | instid1(VALU_DEP_2)
	v_add_co_u32 v3, vcc_lo, v3, v13
	v_add_co_ci_u32_e32 v5, vcc_lo, 0, v5, vcc_lo
	s_delay_alu instid0(VALU_DEP_2) | instskip(SKIP_1) | instid1(VALU_DEP_3)
	v_mul_lo_u32 v11, s23, v3
	v_mad_u64_u32 v[9:10], null, s22, v3, 0
	v_mul_lo_u32 v12, s22, v5
	s_delay_alu instid0(VALU_DEP_2) | instskip(NEXT) | instid1(VALU_DEP_2)
	v_sub_co_u32 v9, vcc_lo, v16, v9
	v_add3_u32 v10, v10, v12, v11
	s_delay_alu instid0(VALU_DEP_1) | instskip(NEXT) | instid1(VALU_DEP_1)
	v_sub_nc_u32_e32 v11, v7, v10
	v_subrev_co_ci_u32_e64 v11, s0, s23, v11, vcc_lo
	v_add_co_u32 v12, s0, v3, 2
	s_delay_alu instid0(VALU_DEP_1) | instskip(SKIP_3) | instid1(VALU_DEP_3)
	v_add_co_ci_u32_e64 v13, s0, 0, v5, s0
	v_sub_co_u32 v14, s0, v9, s22
	v_sub_co_ci_u32_e32 v7, vcc_lo, v7, v10, vcc_lo
	v_subrev_co_ci_u32_e64 v11, s0, 0, v11, s0
	v_cmp_le_u32_e32 vcc_lo, s22, v14
	s_delay_alu instid0(VALU_DEP_3) | instskip(SKIP_1) | instid1(VALU_DEP_4)
	v_cmp_eq_u32_e64 s0, s23, v7
	v_cndmask_b32_e64 v10, 0, -1, vcc_lo
	v_cmp_le_u32_e32 vcc_lo, s23, v11
	v_cndmask_b32_e64 v14, 0, -1, vcc_lo
	v_cmp_le_u32_e32 vcc_lo, s22, v9
	;; [unrolled: 2-line block ×3, first 2 shown]
	v_cndmask_b32_e64 v16, 0, -1, vcc_lo
	v_cmp_eq_u32_e32 vcc_lo, s23, v11
	s_delay_alu instid0(VALU_DEP_2) | instskip(SKIP_3) | instid1(VALU_DEP_3)
	v_cndmask_b32_e64 v7, v16, v9, s0
	v_cndmask_b32_e32 v10, v14, v10, vcc_lo
	v_add_co_u32 v11, vcc_lo, v3, 1
	v_add_co_ci_u32_e32 v14, vcc_lo, 0, v5, vcc_lo
	v_cmp_ne_u32_e32 vcc_lo, 0, v10
	s_delay_alu instid0(VALU_DEP_2) | instskip(SKIP_2) | instid1(VALU_DEP_3)
	v_dual_cndmask_b32 v10, v11, v12 :: v_dual_cndmask_b32 v9, v14, v13
	v_cmp_ne_u32_e32 vcc_lo, 0, v7
	v_xor_b32_e32 v7, s20, v15
	v_cndmask_b32_e32 v3, v3, v10, vcc_lo
	s_delay_alu instid0(VALU_DEP_4) | instskip(SKIP_1) | instid1(VALU_DEP_3)
	v_cndmask_b32_e32 v5, v5, v9, vcc_lo
	v_xor_b32_e32 v9, s21, v15
	v_xor_b32_e32 v3, v3, v7
	s_delay_alu instid0(VALU_DEP_2) | instskip(NEXT) | instid1(VALU_DEP_2)
	v_xor_b32_e32 v5, v5, v9
	v_sub_co_u32 v10, vcc_lo, v3, v7
	s_delay_alu instid0(VALU_DEP_2)
	v_sub_co_ci_u32_e32 v11, vcc_lo, v5, v9, vcc_lo
.LBB100_30:                             ;   in Loop: Header=BB100_24 Depth=2
	s_and_not1_saveexec_b32 s0, s14
	s_cbranch_execz .LBB100_32
; %bb.31:                               ;   in Loop: Header=BB100_24 Depth=2
	v_cvt_f32_u32_e32 v3, s43
	s_sub_i32 s14, 0, s43
	v_mov_b32_e32 v11, v2
	s_delay_alu instid0(VALU_DEP_2) | instskip(SKIP_2) | instid1(VALU_DEP_1)
	v_rcp_iflag_f32_e32 v3, v3
	s_waitcnt_depctr 0xfff
	v_mul_f32_e32 v3, 0x4f7ffffe, v3
	v_cvt_u32_f32_e32 v3, v3
	s_delay_alu instid0(VALU_DEP_1) | instskip(NEXT) | instid1(VALU_DEP_1)
	v_mul_lo_u32 v5, s14, v3
	v_mul_hi_u32 v5, v3, v5
	s_delay_alu instid0(VALU_DEP_1) | instskip(NEXT) | instid1(VALU_DEP_1)
	v_add_nc_u32_e32 v3, v3, v5
	v_mul_hi_u32 v3, v8, v3
	s_delay_alu instid0(VALU_DEP_1) | instskip(SKIP_1) | instid1(VALU_DEP_2)
	v_mul_lo_u32 v5, v3, s43
	v_add_nc_u32_e32 v7, 1, v3
	v_sub_nc_u32_e32 v5, v8, v5
	s_delay_alu instid0(VALU_DEP_1) | instskip(SKIP_1) | instid1(VALU_DEP_4)
	v_cmp_le_u32_e32 vcc_lo, s43, v5
	v_subrev_nc_u32_e32 v9, s43, v5
	v_cndmask_b32_e32 v3, v3, v7, vcc_lo
	s_delay_alu instid0(VALU_DEP_1) | instskip(NEXT) | instid1(VALU_DEP_3)
	v_add_nc_u32_e32 v7, 1, v3
	v_cndmask_b32_e32 v5, v5, v9, vcc_lo
	s_delay_alu instid0(VALU_DEP_1) | instskip(NEXT) | instid1(VALU_DEP_3)
	v_cmp_le_u32_e32 vcc_lo, s43, v5
	v_cndmask_b32_e32 v10, v3, v7, vcc_lo
.LBB100_32:                             ;   in Loop: Header=BB100_24 Depth=2
	s_or_b32 exec_lo, exec_lo, s0
	s_add_u32 s20, s30, s18
	s_addc_u32 s21, s1, s19
	s_add_i32 s14, s16, 5
                                        ; implicit-def: $vgpr12_vgpr13
	s_delay_alu instid0(SALU_CYCLE_1)
	s_lshl_b64 s[18:19], s[14:15], 2
	s_mov_b32 s14, exec_lo
	s_add_u32 s22, s26, s18
	s_addc_u32 s23, s27, s19
	s_clause 0x1
	s_load_b32 s45, s[22:23], 0x0
	s_load_b32 s44, s[20:21], 0x0
	s_waitcnt lgkmcnt(0)
	s_ashr_i32 s0, s45, 31
	s_delay_alu instid0(SALU_CYCLE_1) | instskip(NEXT) | instid1(VALU_DEP_1)
	v_or_b32_e32 v3, s0, v11
	v_cmpx_ne_u64_e32 0, v[2:3]
	s_xor_b32 s14, exec_lo, s14
	s_cbranch_execz .LBB100_34
; %bb.33:                               ;   in Loop: Header=BB100_24 Depth=2
	s_add_u32 s22, s45, s0
	s_mov_b32 s20, s0
	s_mov_b32 s21, s0
	s_addc_u32 s23, s0, s0
	v_ashrrev_i32_e32 v17, 31, v11
	s_xor_b64 s[22:23], s[22:23], s[20:21]
	s_delay_alu instid0(SALU_CYCLE_1) | instskip(SKIP_3) | instid1(VALU_DEP_1)
	v_cvt_f32_u32_e32 v3, s22
	v_cvt_f32_u32_e32 v5, s23
	s_sub_u32 s0, 0, s22
	s_subb_u32 s17, 0, s23
	v_fmac_f32_e32 v3, 0x4f800000, v5
	s_delay_alu instid0(VALU_DEP_1) | instskip(SKIP_2) | instid1(VALU_DEP_1)
	v_rcp_f32_e32 v3, v3
	s_waitcnt_depctr 0xfff
	v_mul_f32_e32 v3, 0x5f7ffffc, v3
	v_mul_f32_e32 v5, 0x2f800000, v3
	s_delay_alu instid0(VALU_DEP_1) | instskip(NEXT) | instid1(VALU_DEP_1)
	v_trunc_f32_e32 v5, v5
	v_fmac_f32_e32 v3, 0xcf800000, v5
	v_cvt_u32_f32_e32 v5, v5
	s_delay_alu instid0(VALU_DEP_2) | instskip(NEXT) | instid1(VALU_DEP_2)
	v_cvt_u32_f32_e32 v3, v3
	v_mul_lo_u32 v7, s0, v5
	s_delay_alu instid0(VALU_DEP_2) | instskip(SKIP_1) | instid1(VALU_DEP_2)
	v_mul_hi_u32 v9, s0, v3
	v_mul_lo_u32 v12, s17, v3
	v_add_nc_u32_e32 v7, v9, v7
	v_mul_lo_u32 v9, s0, v3
	s_delay_alu instid0(VALU_DEP_2) | instskip(NEXT) | instid1(VALU_DEP_2)
	v_add_nc_u32_e32 v7, v7, v12
	v_mul_hi_u32 v12, v3, v9
	s_delay_alu instid0(VALU_DEP_2)
	v_mul_lo_u32 v13, v3, v7
	v_mul_hi_u32 v14, v3, v7
	v_mul_hi_u32 v15, v5, v9
	v_mul_lo_u32 v9, v5, v9
	v_mul_hi_u32 v16, v5, v7
	v_mul_lo_u32 v7, v5, v7
	v_add_co_u32 v12, vcc_lo, v12, v13
	v_add_co_ci_u32_e32 v13, vcc_lo, 0, v14, vcc_lo
	s_delay_alu instid0(VALU_DEP_2) | instskip(NEXT) | instid1(VALU_DEP_2)
	v_add_co_u32 v9, vcc_lo, v12, v9
	v_add_co_ci_u32_e32 v9, vcc_lo, v13, v15, vcc_lo
	v_add_co_ci_u32_e32 v12, vcc_lo, 0, v16, vcc_lo
	s_delay_alu instid0(VALU_DEP_2) | instskip(NEXT) | instid1(VALU_DEP_2)
	v_add_co_u32 v7, vcc_lo, v9, v7
	v_add_co_ci_u32_e32 v9, vcc_lo, 0, v12, vcc_lo
	s_delay_alu instid0(VALU_DEP_2) | instskip(NEXT) | instid1(VALU_DEP_2)
	v_add_co_u32 v3, vcc_lo, v3, v7
	v_add_co_ci_u32_e32 v5, vcc_lo, v5, v9, vcc_lo
	s_delay_alu instid0(VALU_DEP_2) | instskip(SKIP_1) | instid1(VALU_DEP_3)
	v_mul_hi_u32 v7, s0, v3
	v_mul_lo_u32 v12, s17, v3
	v_mul_lo_u32 v9, s0, v5
	s_delay_alu instid0(VALU_DEP_1) | instskip(SKIP_1) | instid1(VALU_DEP_2)
	v_add_nc_u32_e32 v7, v7, v9
	v_mul_lo_u32 v9, s0, v3
	v_add_nc_u32_e32 v7, v7, v12
	s_delay_alu instid0(VALU_DEP_2) | instskip(NEXT) | instid1(VALU_DEP_2)
	v_mul_hi_u32 v12, v3, v9
	v_mul_lo_u32 v13, v3, v7
	v_mul_hi_u32 v14, v3, v7
	v_mul_hi_u32 v15, v5, v9
	v_mul_lo_u32 v9, v5, v9
	v_mul_hi_u32 v16, v5, v7
	v_mul_lo_u32 v7, v5, v7
	v_add_co_u32 v12, vcc_lo, v12, v13
	v_add_co_ci_u32_e32 v13, vcc_lo, 0, v14, vcc_lo
	s_delay_alu instid0(VALU_DEP_2) | instskip(NEXT) | instid1(VALU_DEP_2)
	v_add_co_u32 v9, vcc_lo, v12, v9
	v_add_co_ci_u32_e32 v9, vcc_lo, v13, v15, vcc_lo
	v_add_co_ci_u32_e32 v12, vcc_lo, 0, v16, vcc_lo
	v_add_co_u32 v13, vcc_lo, v10, v17
	v_add_co_ci_u32_e32 v11, vcc_lo, v11, v17, vcc_lo
	s_delay_alu instid0(VALU_DEP_4) | instskip(NEXT) | instid1(VALU_DEP_4)
	v_add_co_u32 v7, vcc_lo, v9, v7
	v_add_co_ci_u32_e32 v9, vcc_lo, 0, v12, vcc_lo
	s_delay_alu instid0(VALU_DEP_4) | instskip(NEXT) | instid1(VALU_DEP_3)
	v_xor_b32_e32 v18, v13, v17
	v_add_co_u32 v3, vcc_lo, v3, v7
	s_delay_alu instid0(VALU_DEP_3) | instskip(SKIP_1) | instid1(VALU_DEP_3)
	v_add_co_ci_u32_e32 v5, vcc_lo, v5, v9, vcc_lo
	v_xor_b32_e32 v7, v11, v17
	v_mul_hi_u32 v9, v18, v3
	s_delay_alu instid0(VALU_DEP_3) | instskip(NEXT) | instid1(VALU_DEP_3)
	v_mad_u64_u32 v[11:12], null, v18, v5, 0
	v_mad_u64_u32 v[13:14], null, v7, v3, 0
	;; [unrolled: 1-line block ×3, first 2 shown]
	s_delay_alu instid0(VALU_DEP_3) | instskip(NEXT) | instid1(VALU_DEP_4)
	v_add_co_u32 v3, vcc_lo, v9, v11
	v_add_co_ci_u32_e32 v5, vcc_lo, 0, v12, vcc_lo
	s_delay_alu instid0(VALU_DEP_2) | instskip(NEXT) | instid1(VALU_DEP_2)
	v_add_co_u32 v3, vcc_lo, v3, v13
	v_add_co_ci_u32_e32 v3, vcc_lo, v5, v14, vcc_lo
	v_add_co_ci_u32_e32 v5, vcc_lo, 0, v16, vcc_lo
	s_delay_alu instid0(VALU_DEP_2) | instskip(NEXT) | instid1(VALU_DEP_2)
	v_add_co_u32 v3, vcc_lo, v3, v15
	v_add_co_ci_u32_e32 v5, vcc_lo, 0, v5, vcc_lo
	s_delay_alu instid0(VALU_DEP_2) | instskip(SKIP_1) | instid1(VALU_DEP_3)
	v_mul_lo_u32 v9, s23, v3
	v_mad_u64_u32 v[11:12], null, s22, v3, 0
	v_mul_lo_u32 v13, s22, v5
	s_delay_alu instid0(VALU_DEP_2) | instskip(NEXT) | instid1(VALU_DEP_2)
	v_sub_co_u32 v11, vcc_lo, v18, v11
	v_add3_u32 v9, v12, v13, v9
	s_delay_alu instid0(VALU_DEP_1) | instskip(NEXT) | instid1(VALU_DEP_1)
	v_sub_nc_u32_e32 v12, v7, v9
	v_subrev_co_ci_u32_e64 v12, s0, s23, v12, vcc_lo
	v_add_co_u32 v13, s0, v3, 2
	s_delay_alu instid0(VALU_DEP_1) | instskip(SKIP_3) | instid1(VALU_DEP_3)
	v_add_co_ci_u32_e64 v14, s0, 0, v5, s0
	v_sub_co_u32 v15, s0, v11, s22
	v_sub_co_ci_u32_e32 v7, vcc_lo, v7, v9, vcc_lo
	v_subrev_co_ci_u32_e64 v12, s0, 0, v12, s0
	v_cmp_le_u32_e32 vcc_lo, s22, v15
	s_delay_alu instid0(VALU_DEP_3) | instskip(SKIP_1) | instid1(VALU_DEP_4)
	v_cmp_eq_u32_e64 s0, s23, v7
	v_cndmask_b32_e64 v9, 0, -1, vcc_lo
	v_cmp_le_u32_e32 vcc_lo, s23, v12
	v_cndmask_b32_e64 v15, 0, -1, vcc_lo
	v_cmp_le_u32_e32 vcc_lo, s22, v11
	;; [unrolled: 2-line block ×3, first 2 shown]
	v_cndmask_b32_e64 v16, 0, -1, vcc_lo
	v_cmp_eq_u32_e32 vcc_lo, s23, v12
	s_delay_alu instid0(VALU_DEP_2) | instskip(SKIP_3) | instid1(VALU_DEP_3)
	v_cndmask_b32_e64 v7, v16, v11, s0
	v_cndmask_b32_e32 v9, v15, v9, vcc_lo
	v_add_co_u32 v12, vcc_lo, v3, 1
	v_add_co_ci_u32_e32 v15, vcc_lo, 0, v5, vcc_lo
	v_cmp_ne_u32_e32 vcc_lo, 0, v9
	s_delay_alu instid0(VALU_DEP_2) | instskip(NEXT) | instid1(VALU_DEP_4)
	v_cndmask_b32_e32 v9, v15, v14, vcc_lo
	v_cndmask_b32_e32 v11, v12, v13, vcc_lo
	v_cmp_ne_u32_e32 vcc_lo, 0, v7
	v_xor_b32_e32 v7, s20, v17
	s_delay_alu instid0(VALU_DEP_3) | instskip(SKIP_2) | instid1(VALU_DEP_3)
	v_cndmask_b32_e32 v3, v3, v11, vcc_lo
	v_cndmask_b32_e32 v5, v5, v9, vcc_lo
	v_xor_b32_e32 v9, s21, v17
	v_xor_b32_e32 v3, v3, v7
	s_delay_alu instid0(VALU_DEP_2) | instskip(NEXT) | instid1(VALU_DEP_2)
	v_xor_b32_e32 v5, v5, v9
	v_sub_co_u32 v12, vcc_lo, v3, v7
	s_delay_alu instid0(VALU_DEP_2)
	v_sub_co_ci_u32_e32 v13, vcc_lo, v5, v9, vcc_lo
.LBB100_34:                             ;   in Loop: Header=BB100_24 Depth=2
	s_and_not1_saveexec_b32 s0, s14
	s_cbranch_execz .LBB100_36
; %bb.35:                               ;   in Loop: Header=BB100_24 Depth=2
	v_cvt_f32_u32_e32 v3, s45
	s_sub_i32 s14, 0, s45
	v_mov_b32_e32 v13, v2
	s_delay_alu instid0(VALU_DEP_2) | instskip(SKIP_2) | instid1(VALU_DEP_1)
	v_rcp_iflag_f32_e32 v3, v3
	s_waitcnt_depctr 0xfff
	v_mul_f32_e32 v3, 0x4f7ffffe, v3
	v_cvt_u32_f32_e32 v3, v3
	s_delay_alu instid0(VALU_DEP_1) | instskip(NEXT) | instid1(VALU_DEP_1)
	v_mul_lo_u32 v5, s14, v3
	v_mul_hi_u32 v5, v3, v5
	s_delay_alu instid0(VALU_DEP_1) | instskip(NEXT) | instid1(VALU_DEP_1)
	v_add_nc_u32_e32 v3, v3, v5
	v_mul_hi_u32 v3, v10, v3
	s_delay_alu instid0(VALU_DEP_1) | instskip(SKIP_1) | instid1(VALU_DEP_2)
	v_mul_lo_u32 v5, v3, s45
	v_add_nc_u32_e32 v7, 1, v3
	v_sub_nc_u32_e32 v5, v10, v5
	s_delay_alu instid0(VALU_DEP_1) | instskip(SKIP_1) | instid1(VALU_DEP_4)
	v_cmp_le_u32_e32 vcc_lo, s45, v5
	v_subrev_nc_u32_e32 v9, s45, v5
	v_cndmask_b32_e32 v3, v3, v7, vcc_lo
	s_delay_alu instid0(VALU_DEP_1) | instskip(NEXT) | instid1(VALU_DEP_3)
	v_add_nc_u32_e32 v7, 1, v3
	v_cndmask_b32_e32 v5, v5, v9, vcc_lo
	s_delay_alu instid0(VALU_DEP_1) | instskip(NEXT) | instid1(VALU_DEP_3)
	v_cmp_le_u32_e32 vcc_lo, s45, v5
	v_cndmask_b32_e32 v12, v3, v7, vcc_lo
.LBB100_36:                             ;   in Loop: Header=BB100_24 Depth=2
	s_or_b32 exec_lo, exec_lo, s0
	s_add_u32 s20, s30, s18
	s_addc_u32 s21, s1, s19
	s_add_i32 s14, s16, 4
                                        ; implicit-def: $vgpr14_vgpr15
	s_delay_alu instid0(SALU_CYCLE_1)
	s_lshl_b64 s[18:19], s[14:15], 2
	s_mov_b32 s14, exec_lo
	s_add_u32 s22, s26, s18
	s_addc_u32 s23, s27, s19
	s_clause 0x1
	s_load_b32 s47, s[22:23], 0x0
	s_load_b32 s46, s[20:21], 0x0
	s_waitcnt lgkmcnt(0)
	s_ashr_i32 s0, s47, 31
	s_delay_alu instid0(SALU_CYCLE_1) | instskip(NEXT) | instid1(VALU_DEP_1)
	v_or_b32_e32 v3, s0, v13
	v_cmpx_ne_u64_e32 0, v[2:3]
	s_xor_b32 s14, exec_lo, s14
	s_cbranch_execz .LBB100_38
; %bb.37:                               ;   in Loop: Header=BB100_24 Depth=2
	s_add_u32 s22, s47, s0
	s_mov_b32 s20, s0
	s_mov_b32 s21, s0
	s_addc_u32 s23, s0, s0
	v_ashrrev_i32_e32 v19, 31, v13
	s_xor_b64 s[22:23], s[22:23], s[20:21]
	s_delay_alu instid0(SALU_CYCLE_1) | instskip(SKIP_3) | instid1(VALU_DEP_1)
	v_cvt_f32_u32_e32 v3, s22
	v_cvt_f32_u32_e32 v5, s23
	s_sub_u32 s0, 0, s22
	s_subb_u32 s17, 0, s23
	v_fmac_f32_e32 v3, 0x4f800000, v5
	s_delay_alu instid0(VALU_DEP_1) | instskip(SKIP_2) | instid1(VALU_DEP_1)
	v_rcp_f32_e32 v3, v3
	s_waitcnt_depctr 0xfff
	v_mul_f32_e32 v3, 0x5f7ffffc, v3
	v_mul_f32_e32 v5, 0x2f800000, v3
	s_delay_alu instid0(VALU_DEP_1) | instskip(NEXT) | instid1(VALU_DEP_1)
	v_trunc_f32_e32 v5, v5
	v_fmac_f32_e32 v3, 0xcf800000, v5
	v_cvt_u32_f32_e32 v5, v5
	s_delay_alu instid0(VALU_DEP_2) | instskip(NEXT) | instid1(VALU_DEP_2)
	v_cvt_u32_f32_e32 v3, v3
	v_mul_lo_u32 v7, s0, v5
	s_delay_alu instid0(VALU_DEP_2) | instskip(SKIP_1) | instid1(VALU_DEP_2)
	v_mul_hi_u32 v9, s0, v3
	v_mul_lo_u32 v11, s17, v3
	v_add_nc_u32_e32 v7, v9, v7
	v_mul_lo_u32 v9, s0, v3
	s_delay_alu instid0(VALU_DEP_2) | instskip(NEXT) | instid1(VALU_DEP_2)
	v_add_nc_u32_e32 v7, v7, v11
	v_mul_hi_u32 v11, v3, v9
	s_delay_alu instid0(VALU_DEP_2)
	v_mul_lo_u32 v14, v3, v7
	v_mul_hi_u32 v15, v3, v7
	v_mul_hi_u32 v16, v5, v9
	v_mul_lo_u32 v9, v5, v9
	v_mul_hi_u32 v17, v5, v7
	v_mul_lo_u32 v7, v5, v7
	v_add_co_u32 v11, vcc_lo, v11, v14
	v_add_co_ci_u32_e32 v14, vcc_lo, 0, v15, vcc_lo
	s_delay_alu instid0(VALU_DEP_2) | instskip(NEXT) | instid1(VALU_DEP_2)
	v_add_co_u32 v9, vcc_lo, v11, v9
	v_add_co_ci_u32_e32 v9, vcc_lo, v14, v16, vcc_lo
	v_add_co_ci_u32_e32 v11, vcc_lo, 0, v17, vcc_lo
	s_delay_alu instid0(VALU_DEP_2) | instskip(NEXT) | instid1(VALU_DEP_2)
	v_add_co_u32 v7, vcc_lo, v9, v7
	v_add_co_ci_u32_e32 v9, vcc_lo, 0, v11, vcc_lo
	s_delay_alu instid0(VALU_DEP_2) | instskip(NEXT) | instid1(VALU_DEP_2)
	v_add_co_u32 v3, vcc_lo, v3, v7
	v_add_co_ci_u32_e32 v5, vcc_lo, v5, v9, vcc_lo
	s_delay_alu instid0(VALU_DEP_2) | instskip(SKIP_1) | instid1(VALU_DEP_3)
	v_mul_hi_u32 v7, s0, v3
	v_mul_lo_u32 v11, s17, v3
	v_mul_lo_u32 v9, s0, v5
	s_delay_alu instid0(VALU_DEP_1) | instskip(SKIP_1) | instid1(VALU_DEP_2)
	v_add_nc_u32_e32 v7, v7, v9
	v_mul_lo_u32 v9, s0, v3
	v_add_nc_u32_e32 v7, v7, v11
	s_delay_alu instid0(VALU_DEP_2) | instskip(NEXT) | instid1(VALU_DEP_2)
	v_mul_hi_u32 v11, v3, v9
	v_mul_lo_u32 v14, v3, v7
	v_mul_hi_u32 v15, v3, v7
	v_mul_hi_u32 v16, v5, v9
	v_mul_lo_u32 v9, v5, v9
	v_mul_hi_u32 v17, v5, v7
	v_mul_lo_u32 v7, v5, v7
	v_add_co_u32 v11, vcc_lo, v11, v14
	v_add_co_ci_u32_e32 v14, vcc_lo, 0, v15, vcc_lo
	s_delay_alu instid0(VALU_DEP_2) | instskip(NEXT) | instid1(VALU_DEP_2)
	v_add_co_u32 v9, vcc_lo, v11, v9
	v_add_co_ci_u32_e32 v9, vcc_lo, v14, v16, vcc_lo
	v_add_co_ci_u32_e32 v11, vcc_lo, 0, v17, vcc_lo
	v_add_co_u32 v14, vcc_lo, v12, v19
	v_add_co_ci_u32_e32 v13, vcc_lo, v13, v19, vcc_lo
	s_delay_alu instid0(VALU_DEP_4) | instskip(NEXT) | instid1(VALU_DEP_4)
	v_add_co_u32 v7, vcc_lo, v9, v7
	v_add_co_ci_u32_e32 v9, vcc_lo, 0, v11, vcc_lo
	s_delay_alu instid0(VALU_DEP_4) | instskip(NEXT) | instid1(VALU_DEP_3)
	v_xor_b32_e32 v11, v14, v19
	v_add_co_u32 v3, vcc_lo, v3, v7
	s_delay_alu instid0(VALU_DEP_3) | instskip(SKIP_1) | instid1(VALU_DEP_3)
	v_add_co_ci_u32_e32 v5, vcc_lo, v5, v9, vcc_lo
	v_xor_b32_e32 v7, v13, v19
	v_mul_hi_u32 v9, v11, v3
	s_delay_alu instid0(VALU_DEP_3) | instskip(NEXT) | instid1(VALU_DEP_3)
	v_mad_u64_u32 v[13:14], null, v11, v5, 0
	v_mad_u64_u32 v[15:16], null, v7, v3, 0
	;; [unrolled: 1-line block ×3, first 2 shown]
	s_delay_alu instid0(VALU_DEP_3) | instskip(NEXT) | instid1(VALU_DEP_4)
	v_add_co_u32 v3, vcc_lo, v9, v13
	v_add_co_ci_u32_e32 v5, vcc_lo, 0, v14, vcc_lo
	s_delay_alu instid0(VALU_DEP_2) | instskip(NEXT) | instid1(VALU_DEP_2)
	v_add_co_u32 v3, vcc_lo, v3, v15
	v_add_co_ci_u32_e32 v3, vcc_lo, v5, v16, vcc_lo
	v_add_co_ci_u32_e32 v5, vcc_lo, 0, v18, vcc_lo
	s_delay_alu instid0(VALU_DEP_2) | instskip(NEXT) | instid1(VALU_DEP_2)
	v_add_co_u32 v3, vcc_lo, v3, v17
	v_add_co_ci_u32_e32 v5, vcc_lo, 0, v5, vcc_lo
	s_delay_alu instid0(VALU_DEP_2) | instskip(SKIP_1) | instid1(VALU_DEP_3)
	v_mul_lo_u32 v9, s23, v3
	v_mad_u64_u32 v[13:14], null, s22, v3, 0
	v_mul_lo_u32 v15, s22, v5
	s_delay_alu instid0(VALU_DEP_2) | instskip(NEXT) | instid1(VALU_DEP_2)
	v_sub_co_u32 v11, vcc_lo, v11, v13
	v_add3_u32 v9, v14, v15, v9
	s_delay_alu instid0(VALU_DEP_1) | instskip(NEXT) | instid1(VALU_DEP_1)
	v_sub_nc_u32_e32 v14, v7, v9
	v_subrev_co_ci_u32_e64 v13, s0, s23, v14, vcc_lo
	v_add_co_u32 v14, s0, v3, 2
	s_delay_alu instid0(VALU_DEP_1) | instskip(SKIP_3) | instid1(VALU_DEP_3)
	v_add_co_ci_u32_e64 v15, s0, 0, v5, s0
	v_sub_co_u32 v16, s0, v11, s22
	v_sub_co_ci_u32_e32 v7, vcc_lo, v7, v9, vcc_lo
	v_subrev_co_ci_u32_e64 v13, s0, 0, v13, s0
	v_cmp_le_u32_e32 vcc_lo, s22, v16
	s_delay_alu instid0(VALU_DEP_3) | instskip(SKIP_1) | instid1(VALU_DEP_4)
	v_cmp_eq_u32_e64 s0, s23, v7
	v_cndmask_b32_e64 v9, 0, -1, vcc_lo
	v_cmp_le_u32_e32 vcc_lo, s23, v13
	v_cndmask_b32_e64 v16, 0, -1, vcc_lo
	v_cmp_le_u32_e32 vcc_lo, s22, v11
	;; [unrolled: 2-line block ×3, first 2 shown]
	v_cndmask_b32_e64 v17, 0, -1, vcc_lo
	v_cmp_eq_u32_e32 vcc_lo, s23, v13
	s_delay_alu instid0(VALU_DEP_2) | instskip(SKIP_3) | instid1(VALU_DEP_3)
	v_cndmask_b32_e64 v7, v17, v11, s0
	v_cndmask_b32_e32 v9, v16, v9, vcc_lo
	v_add_co_u32 v13, vcc_lo, v3, 1
	v_add_co_ci_u32_e32 v16, vcc_lo, 0, v5, vcc_lo
	v_cmp_ne_u32_e32 vcc_lo, 0, v9
	s_delay_alu instid0(VALU_DEP_2) | instskip(NEXT) | instid1(VALU_DEP_4)
	v_cndmask_b32_e32 v9, v16, v15, vcc_lo
	v_cndmask_b32_e32 v11, v13, v14, vcc_lo
	v_cmp_ne_u32_e32 vcc_lo, 0, v7
	v_xor_b32_e32 v7, s20, v19
	s_delay_alu instid0(VALU_DEP_3) | instskip(SKIP_2) | instid1(VALU_DEP_3)
	v_cndmask_b32_e32 v3, v3, v11, vcc_lo
	v_cndmask_b32_e32 v5, v5, v9, vcc_lo
	v_xor_b32_e32 v9, s21, v19
	v_xor_b32_e32 v3, v3, v7
	s_delay_alu instid0(VALU_DEP_2) | instskip(NEXT) | instid1(VALU_DEP_2)
	v_xor_b32_e32 v5, v5, v9
	v_sub_co_u32 v14, vcc_lo, v3, v7
	s_delay_alu instid0(VALU_DEP_2)
	v_sub_co_ci_u32_e32 v15, vcc_lo, v5, v9, vcc_lo
.LBB100_38:                             ;   in Loop: Header=BB100_24 Depth=2
	s_and_not1_saveexec_b32 s0, s14
	s_cbranch_execz .LBB100_40
; %bb.39:                               ;   in Loop: Header=BB100_24 Depth=2
	v_cvt_f32_u32_e32 v3, s47
	s_sub_i32 s14, 0, s47
	v_mov_b32_e32 v15, v2
	s_delay_alu instid0(VALU_DEP_2) | instskip(SKIP_2) | instid1(VALU_DEP_1)
	v_rcp_iflag_f32_e32 v3, v3
	s_waitcnt_depctr 0xfff
	v_mul_f32_e32 v3, 0x4f7ffffe, v3
	v_cvt_u32_f32_e32 v3, v3
	s_delay_alu instid0(VALU_DEP_1) | instskip(NEXT) | instid1(VALU_DEP_1)
	v_mul_lo_u32 v5, s14, v3
	v_mul_hi_u32 v5, v3, v5
	s_delay_alu instid0(VALU_DEP_1) | instskip(NEXT) | instid1(VALU_DEP_1)
	v_add_nc_u32_e32 v3, v3, v5
	v_mul_hi_u32 v3, v12, v3
	s_delay_alu instid0(VALU_DEP_1) | instskip(SKIP_1) | instid1(VALU_DEP_2)
	v_mul_lo_u32 v5, v3, s47
	v_add_nc_u32_e32 v7, 1, v3
	v_sub_nc_u32_e32 v5, v12, v5
	s_delay_alu instid0(VALU_DEP_1) | instskip(SKIP_1) | instid1(VALU_DEP_4)
	v_cmp_le_u32_e32 vcc_lo, s47, v5
	v_subrev_nc_u32_e32 v9, s47, v5
	v_cndmask_b32_e32 v3, v3, v7, vcc_lo
	s_delay_alu instid0(VALU_DEP_1) | instskip(NEXT) | instid1(VALU_DEP_3)
	v_add_nc_u32_e32 v7, 1, v3
	v_cndmask_b32_e32 v5, v5, v9, vcc_lo
	s_delay_alu instid0(VALU_DEP_1) | instskip(NEXT) | instid1(VALU_DEP_3)
	v_cmp_le_u32_e32 vcc_lo, s47, v5
	v_cndmask_b32_e32 v14, v3, v7, vcc_lo
.LBB100_40:                             ;   in Loop: Header=BB100_24 Depth=2
	s_or_b32 exec_lo, exec_lo, s0
	s_add_u32 s20, s30, s18
	s_addc_u32 s21, s1, s19
	s_add_i32 s14, s16, 3
                                        ; implicit-def: $vgpr16_vgpr17
	s_delay_alu instid0(SALU_CYCLE_1)
	s_lshl_b64 s[18:19], s[14:15], 2
	s_mov_b32 s14, exec_lo
	s_add_u32 s22, s26, s18
	s_addc_u32 s23, s27, s19
	s_clause 0x1
	s_load_b32 s49, s[22:23], 0x0
	s_load_b32 s48, s[20:21], 0x0
	s_waitcnt lgkmcnt(0)
	s_ashr_i32 s0, s49, 31
	s_delay_alu instid0(SALU_CYCLE_1) | instskip(NEXT) | instid1(VALU_DEP_1)
	v_or_b32_e32 v3, s0, v15
	v_cmpx_ne_u64_e32 0, v[2:3]
	s_xor_b32 s14, exec_lo, s14
	s_cbranch_execz .LBB100_42
; %bb.41:                               ;   in Loop: Header=BB100_24 Depth=2
	s_add_u32 s22, s49, s0
	s_mov_b32 s20, s0
	s_mov_b32 s21, s0
	s_addc_u32 s23, s0, s0
	v_ashrrev_i32_e32 v21, 31, v15
	s_xor_b64 s[22:23], s[22:23], s[20:21]
	s_delay_alu instid0(SALU_CYCLE_1) | instskip(SKIP_3) | instid1(VALU_DEP_1)
	v_cvt_f32_u32_e32 v3, s22
	v_cvt_f32_u32_e32 v5, s23
	s_sub_u32 s0, 0, s22
	s_subb_u32 s17, 0, s23
	v_fmac_f32_e32 v3, 0x4f800000, v5
	s_delay_alu instid0(VALU_DEP_1) | instskip(SKIP_2) | instid1(VALU_DEP_1)
	v_rcp_f32_e32 v3, v3
	s_waitcnt_depctr 0xfff
	v_mul_f32_e32 v3, 0x5f7ffffc, v3
	v_mul_f32_e32 v5, 0x2f800000, v3
	s_delay_alu instid0(VALU_DEP_1) | instskip(NEXT) | instid1(VALU_DEP_1)
	v_trunc_f32_e32 v5, v5
	v_fmac_f32_e32 v3, 0xcf800000, v5
	v_cvt_u32_f32_e32 v5, v5
	s_delay_alu instid0(VALU_DEP_2) | instskip(NEXT) | instid1(VALU_DEP_2)
	v_cvt_u32_f32_e32 v3, v3
	v_mul_lo_u32 v7, s0, v5
	s_delay_alu instid0(VALU_DEP_2) | instskip(SKIP_1) | instid1(VALU_DEP_2)
	v_mul_hi_u32 v9, s0, v3
	v_mul_lo_u32 v11, s17, v3
	v_add_nc_u32_e32 v7, v9, v7
	v_mul_lo_u32 v9, s0, v3
	s_delay_alu instid0(VALU_DEP_2) | instskip(NEXT) | instid1(VALU_DEP_2)
	v_add_nc_u32_e32 v7, v7, v11
	v_mul_hi_u32 v11, v3, v9
	s_delay_alu instid0(VALU_DEP_2)
	v_mul_lo_u32 v13, v3, v7
	v_mul_hi_u32 v16, v3, v7
	v_mul_hi_u32 v17, v5, v9
	v_mul_lo_u32 v9, v5, v9
	v_mul_hi_u32 v18, v5, v7
	v_mul_lo_u32 v7, v5, v7
	v_add_co_u32 v11, vcc_lo, v11, v13
	v_add_co_ci_u32_e32 v13, vcc_lo, 0, v16, vcc_lo
	s_delay_alu instid0(VALU_DEP_2) | instskip(NEXT) | instid1(VALU_DEP_2)
	v_add_co_u32 v9, vcc_lo, v11, v9
	v_add_co_ci_u32_e32 v9, vcc_lo, v13, v17, vcc_lo
	v_add_co_ci_u32_e32 v11, vcc_lo, 0, v18, vcc_lo
	s_delay_alu instid0(VALU_DEP_2) | instskip(NEXT) | instid1(VALU_DEP_2)
	v_add_co_u32 v7, vcc_lo, v9, v7
	v_add_co_ci_u32_e32 v9, vcc_lo, 0, v11, vcc_lo
	s_delay_alu instid0(VALU_DEP_2) | instskip(NEXT) | instid1(VALU_DEP_2)
	v_add_co_u32 v3, vcc_lo, v3, v7
	v_add_co_ci_u32_e32 v5, vcc_lo, v5, v9, vcc_lo
	s_delay_alu instid0(VALU_DEP_2) | instskip(SKIP_1) | instid1(VALU_DEP_3)
	v_mul_hi_u32 v7, s0, v3
	v_mul_lo_u32 v11, s17, v3
	v_mul_lo_u32 v9, s0, v5
	s_delay_alu instid0(VALU_DEP_1) | instskip(SKIP_1) | instid1(VALU_DEP_2)
	v_add_nc_u32_e32 v7, v7, v9
	v_mul_lo_u32 v9, s0, v3
	v_add_nc_u32_e32 v7, v7, v11
	s_delay_alu instid0(VALU_DEP_2) | instskip(NEXT) | instid1(VALU_DEP_2)
	v_mul_hi_u32 v11, v3, v9
	v_mul_lo_u32 v13, v3, v7
	v_mul_hi_u32 v16, v3, v7
	v_mul_hi_u32 v17, v5, v9
	v_mul_lo_u32 v9, v5, v9
	v_mul_hi_u32 v18, v5, v7
	v_mul_lo_u32 v7, v5, v7
	v_add_co_u32 v11, vcc_lo, v11, v13
	v_add_co_ci_u32_e32 v13, vcc_lo, 0, v16, vcc_lo
	s_delay_alu instid0(VALU_DEP_2) | instskip(NEXT) | instid1(VALU_DEP_2)
	v_add_co_u32 v9, vcc_lo, v11, v9
	v_add_co_ci_u32_e32 v9, vcc_lo, v13, v17, vcc_lo
	v_add_co_ci_u32_e32 v11, vcc_lo, 0, v18, vcc_lo
	v_add_co_u32 v13, vcc_lo, v14, v21
	v_add_co_ci_u32_e32 v15, vcc_lo, v15, v21, vcc_lo
	s_delay_alu instid0(VALU_DEP_4) | instskip(NEXT) | instid1(VALU_DEP_4)
	v_add_co_u32 v7, vcc_lo, v9, v7
	v_add_co_ci_u32_e32 v9, vcc_lo, 0, v11, vcc_lo
	s_delay_alu instid0(VALU_DEP_4) | instskip(NEXT) | instid1(VALU_DEP_3)
	v_xor_b32_e32 v11, v13, v21
	v_add_co_u32 v3, vcc_lo, v3, v7
	s_delay_alu instid0(VALU_DEP_3) | instskip(SKIP_1) | instid1(VALU_DEP_3)
	v_add_co_ci_u32_e32 v5, vcc_lo, v5, v9, vcc_lo
	v_xor_b32_e32 v7, v15, v21
	v_mul_hi_u32 v9, v11, v3
	s_delay_alu instid0(VALU_DEP_3) | instskip(NEXT) | instid1(VALU_DEP_3)
	v_mad_u64_u32 v[15:16], null, v11, v5, 0
	v_mad_u64_u32 v[17:18], null, v7, v3, 0
	;; [unrolled: 1-line block ×3, first 2 shown]
	s_delay_alu instid0(VALU_DEP_3) | instskip(NEXT) | instid1(VALU_DEP_4)
	v_add_co_u32 v3, vcc_lo, v9, v15
	v_add_co_ci_u32_e32 v5, vcc_lo, 0, v16, vcc_lo
	s_delay_alu instid0(VALU_DEP_2) | instskip(NEXT) | instid1(VALU_DEP_2)
	v_add_co_u32 v3, vcc_lo, v3, v17
	v_add_co_ci_u32_e32 v3, vcc_lo, v5, v18, vcc_lo
	v_add_co_ci_u32_e32 v5, vcc_lo, 0, v20, vcc_lo
	s_delay_alu instid0(VALU_DEP_2) | instskip(NEXT) | instid1(VALU_DEP_2)
	v_add_co_u32 v3, vcc_lo, v3, v19
	v_add_co_ci_u32_e32 v5, vcc_lo, 0, v5, vcc_lo
	s_delay_alu instid0(VALU_DEP_2) | instskip(SKIP_1) | instid1(VALU_DEP_3)
	v_mul_lo_u32 v9, s23, v3
	v_mad_u64_u32 v[15:16], null, s22, v3, 0
	v_mul_lo_u32 v13, s22, v5
	s_delay_alu instid0(VALU_DEP_2) | instskip(NEXT) | instid1(VALU_DEP_2)
	v_sub_co_u32 v11, vcc_lo, v11, v15
	v_add3_u32 v9, v16, v13, v9
	s_delay_alu instid0(VALU_DEP_1) | instskip(NEXT) | instid1(VALU_DEP_1)
	v_sub_nc_u32_e32 v13, v7, v9
	v_subrev_co_ci_u32_e64 v13, s0, s23, v13, vcc_lo
	v_add_co_u32 v15, s0, v3, 2
	s_delay_alu instid0(VALU_DEP_1) | instskip(SKIP_3) | instid1(VALU_DEP_3)
	v_add_co_ci_u32_e64 v16, s0, 0, v5, s0
	v_sub_co_u32 v17, s0, v11, s22
	v_sub_co_ci_u32_e32 v7, vcc_lo, v7, v9, vcc_lo
	v_subrev_co_ci_u32_e64 v13, s0, 0, v13, s0
	v_cmp_le_u32_e32 vcc_lo, s22, v17
	s_delay_alu instid0(VALU_DEP_3) | instskip(SKIP_1) | instid1(VALU_DEP_4)
	v_cmp_eq_u32_e64 s0, s23, v7
	v_cndmask_b32_e64 v9, 0, -1, vcc_lo
	v_cmp_le_u32_e32 vcc_lo, s23, v13
	v_cndmask_b32_e64 v17, 0, -1, vcc_lo
	v_cmp_le_u32_e32 vcc_lo, s22, v11
	;; [unrolled: 2-line block ×3, first 2 shown]
	v_cndmask_b32_e64 v18, 0, -1, vcc_lo
	v_cmp_eq_u32_e32 vcc_lo, s23, v13
	s_delay_alu instid0(VALU_DEP_2) | instskip(SKIP_3) | instid1(VALU_DEP_3)
	v_cndmask_b32_e64 v7, v18, v11, s0
	v_cndmask_b32_e32 v9, v17, v9, vcc_lo
	v_add_co_u32 v13, vcc_lo, v3, 1
	v_add_co_ci_u32_e32 v17, vcc_lo, 0, v5, vcc_lo
	v_cmp_ne_u32_e32 vcc_lo, 0, v9
	s_delay_alu instid0(VALU_DEP_2) | instskip(NEXT) | instid1(VALU_DEP_4)
	v_cndmask_b32_e32 v9, v17, v16, vcc_lo
	v_cndmask_b32_e32 v11, v13, v15, vcc_lo
	v_cmp_ne_u32_e32 vcc_lo, 0, v7
	v_xor_b32_e32 v7, s20, v21
	s_delay_alu instid0(VALU_DEP_3) | instskip(SKIP_2) | instid1(VALU_DEP_3)
	v_cndmask_b32_e32 v3, v3, v11, vcc_lo
	v_cndmask_b32_e32 v5, v5, v9, vcc_lo
	v_xor_b32_e32 v9, s21, v21
	v_xor_b32_e32 v3, v3, v7
	s_delay_alu instid0(VALU_DEP_2) | instskip(NEXT) | instid1(VALU_DEP_2)
	v_xor_b32_e32 v5, v5, v9
	v_sub_co_u32 v16, vcc_lo, v3, v7
	s_delay_alu instid0(VALU_DEP_2)
	v_sub_co_ci_u32_e32 v17, vcc_lo, v5, v9, vcc_lo
.LBB100_42:                             ;   in Loop: Header=BB100_24 Depth=2
	s_and_not1_saveexec_b32 s0, s14
	s_cbranch_execz .LBB100_44
; %bb.43:                               ;   in Loop: Header=BB100_24 Depth=2
	v_cvt_f32_u32_e32 v3, s49
	s_sub_i32 s14, 0, s49
	v_mov_b32_e32 v17, v2
	s_delay_alu instid0(VALU_DEP_2) | instskip(SKIP_2) | instid1(VALU_DEP_1)
	v_rcp_iflag_f32_e32 v3, v3
	s_waitcnt_depctr 0xfff
	v_mul_f32_e32 v3, 0x4f7ffffe, v3
	v_cvt_u32_f32_e32 v3, v3
	s_delay_alu instid0(VALU_DEP_1) | instskip(NEXT) | instid1(VALU_DEP_1)
	v_mul_lo_u32 v5, s14, v3
	v_mul_hi_u32 v5, v3, v5
	s_delay_alu instid0(VALU_DEP_1) | instskip(NEXT) | instid1(VALU_DEP_1)
	v_add_nc_u32_e32 v3, v3, v5
	v_mul_hi_u32 v3, v14, v3
	s_delay_alu instid0(VALU_DEP_1) | instskip(SKIP_1) | instid1(VALU_DEP_2)
	v_mul_lo_u32 v5, v3, s49
	v_add_nc_u32_e32 v7, 1, v3
	v_sub_nc_u32_e32 v5, v14, v5
	s_delay_alu instid0(VALU_DEP_1) | instskip(SKIP_1) | instid1(VALU_DEP_4)
	v_cmp_le_u32_e32 vcc_lo, s49, v5
	v_subrev_nc_u32_e32 v9, s49, v5
	v_cndmask_b32_e32 v3, v3, v7, vcc_lo
	s_delay_alu instid0(VALU_DEP_1) | instskip(NEXT) | instid1(VALU_DEP_3)
	v_add_nc_u32_e32 v7, 1, v3
	v_cndmask_b32_e32 v5, v5, v9, vcc_lo
	s_delay_alu instid0(VALU_DEP_1) | instskip(NEXT) | instid1(VALU_DEP_3)
	v_cmp_le_u32_e32 vcc_lo, s49, v5
	v_cndmask_b32_e32 v16, v3, v7, vcc_lo
.LBB100_44:                             ;   in Loop: Header=BB100_24 Depth=2
	s_or_b32 exec_lo, exec_lo, s0
	s_add_u32 s20, s30, s18
	s_addc_u32 s21, s1, s19
	s_add_i32 s14, s16, 2
                                        ; implicit-def: $vgpr18_vgpr19
	s_delay_alu instid0(SALU_CYCLE_1)
	s_lshl_b64 s[18:19], s[14:15], 2
	s_mov_b32 s14, exec_lo
	s_add_u32 s22, s26, s18
	s_addc_u32 s23, s27, s19
	s_clause 0x1
	s_load_b32 s51, s[22:23], 0x0
	s_load_b32 s50, s[20:21], 0x0
	s_waitcnt lgkmcnt(0)
	s_ashr_i32 s0, s51, 31
	s_delay_alu instid0(SALU_CYCLE_1) | instskip(NEXT) | instid1(VALU_DEP_1)
	v_or_b32_e32 v3, s0, v17
	v_cmpx_ne_u64_e32 0, v[2:3]
	s_xor_b32 s14, exec_lo, s14
	s_cbranch_execz .LBB100_46
; %bb.45:                               ;   in Loop: Header=BB100_24 Depth=2
	s_add_u32 s22, s51, s0
	s_mov_b32 s20, s0
	s_mov_b32 s21, s0
	s_addc_u32 s23, s0, s0
	v_ashrrev_i32_e32 v23, 31, v17
	s_xor_b64 s[22:23], s[22:23], s[20:21]
	s_delay_alu instid0(SALU_CYCLE_1) | instskip(SKIP_3) | instid1(VALU_DEP_1)
	v_cvt_f32_u32_e32 v3, s22
	v_cvt_f32_u32_e32 v5, s23
	s_sub_u32 s0, 0, s22
	s_subb_u32 s17, 0, s23
	v_fmac_f32_e32 v3, 0x4f800000, v5
	s_delay_alu instid0(VALU_DEP_1) | instskip(SKIP_2) | instid1(VALU_DEP_1)
	v_rcp_f32_e32 v3, v3
	s_waitcnt_depctr 0xfff
	v_mul_f32_e32 v3, 0x5f7ffffc, v3
	v_mul_f32_e32 v5, 0x2f800000, v3
	s_delay_alu instid0(VALU_DEP_1) | instskip(NEXT) | instid1(VALU_DEP_1)
	v_trunc_f32_e32 v5, v5
	v_fmac_f32_e32 v3, 0xcf800000, v5
	v_cvt_u32_f32_e32 v5, v5
	s_delay_alu instid0(VALU_DEP_2) | instskip(NEXT) | instid1(VALU_DEP_2)
	v_cvt_u32_f32_e32 v3, v3
	v_mul_lo_u32 v7, s0, v5
	s_delay_alu instid0(VALU_DEP_2) | instskip(SKIP_1) | instid1(VALU_DEP_2)
	v_mul_hi_u32 v9, s0, v3
	v_mul_lo_u32 v11, s17, v3
	v_add_nc_u32_e32 v7, v9, v7
	v_mul_lo_u32 v9, s0, v3
	s_delay_alu instid0(VALU_DEP_2) | instskip(NEXT) | instid1(VALU_DEP_2)
	v_add_nc_u32_e32 v7, v7, v11
	v_mul_hi_u32 v11, v3, v9
	s_delay_alu instid0(VALU_DEP_2)
	v_mul_lo_u32 v13, v3, v7
	v_mul_hi_u32 v15, v3, v7
	v_mul_hi_u32 v18, v5, v9
	v_mul_lo_u32 v9, v5, v9
	v_mul_hi_u32 v19, v5, v7
	v_mul_lo_u32 v7, v5, v7
	v_add_co_u32 v11, vcc_lo, v11, v13
	v_add_co_ci_u32_e32 v13, vcc_lo, 0, v15, vcc_lo
	s_delay_alu instid0(VALU_DEP_2) | instskip(NEXT) | instid1(VALU_DEP_2)
	v_add_co_u32 v9, vcc_lo, v11, v9
	v_add_co_ci_u32_e32 v9, vcc_lo, v13, v18, vcc_lo
	v_add_co_ci_u32_e32 v11, vcc_lo, 0, v19, vcc_lo
	s_delay_alu instid0(VALU_DEP_2) | instskip(NEXT) | instid1(VALU_DEP_2)
	v_add_co_u32 v7, vcc_lo, v9, v7
	v_add_co_ci_u32_e32 v9, vcc_lo, 0, v11, vcc_lo
	s_delay_alu instid0(VALU_DEP_2) | instskip(NEXT) | instid1(VALU_DEP_2)
	v_add_co_u32 v3, vcc_lo, v3, v7
	v_add_co_ci_u32_e32 v5, vcc_lo, v5, v9, vcc_lo
	s_delay_alu instid0(VALU_DEP_2) | instskip(SKIP_1) | instid1(VALU_DEP_3)
	v_mul_hi_u32 v7, s0, v3
	v_mul_lo_u32 v11, s17, v3
	v_mul_lo_u32 v9, s0, v5
	s_delay_alu instid0(VALU_DEP_1) | instskip(SKIP_1) | instid1(VALU_DEP_2)
	v_add_nc_u32_e32 v7, v7, v9
	v_mul_lo_u32 v9, s0, v3
	v_add_nc_u32_e32 v7, v7, v11
	s_delay_alu instid0(VALU_DEP_2) | instskip(NEXT) | instid1(VALU_DEP_2)
	v_mul_hi_u32 v11, v3, v9
	v_mul_lo_u32 v13, v3, v7
	v_mul_hi_u32 v15, v3, v7
	v_mul_hi_u32 v18, v5, v9
	v_mul_lo_u32 v9, v5, v9
	v_mul_hi_u32 v19, v5, v7
	v_mul_lo_u32 v7, v5, v7
	v_add_co_u32 v11, vcc_lo, v11, v13
	v_add_co_ci_u32_e32 v13, vcc_lo, 0, v15, vcc_lo
	s_delay_alu instid0(VALU_DEP_2) | instskip(NEXT) | instid1(VALU_DEP_2)
	v_add_co_u32 v9, vcc_lo, v11, v9
	v_add_co_ci_u32_e32 v9, vcc_lo, v13, v18, vcc_lo
	v_add_co_ci_u32_e32 v11, vcc_lo, 0, v19, vcc_lo
	v_add_co_u32 v13, vcc_lo, v16, v23
	v_add_co_ci_u32_e32 v15, vcc_lo, v17, v23, vcc_lo
	s_delay_alu instid0(VALU_DEP_4) | instskip(NEXT) | instid1(VALU_DEP_4)
	v_add_co_u32 v7, vcc_lo, v9, v7
	v_add_co_ci_u32_e32 v9, vcc_lo, 0, v11, vcc_lo
	s_delay_alu instid0(VALU_DEP_4) | instskip(NEXT) | instid1(VALU_DEP_3)
	v_xor_b32_e32 v11, v13, v23
	v_add_co_u32 v3, vcc_lo, v3, v7
	s_delay_alu instid0(VALU_DEP_3) | instskip(SKIP_1) | instid1(VALU_DEP_3)
	v_add_co_ci_u32_e32 v5, vcc_lo, v5, v9, vcc_lo
	v_xor_b32_e32 v7, v15, v23
	v_mul_hi_u32 v9, v11, v3
	s_delay_alu instid0(VALU_DEP_3) | instskip(NEXT) | instid1(VALU_DEP_3)
	v_mad_u64_u32 v[17:18], null, v11, v5, 0
	v_mad_u64_u32 v[19:20], null, v7, v3, 0
	;; [unrolled: 1-line block ×3, first 2 shown]
	s_delay_alu instid0(VALU_DEP_3) | instskip(NEXT) | instid1(VALU_DEP_4)
	v_add_co_u32 v3, vcc_lo, v9, v17
	v_add_co_ci_u32_e32 v5, vcc_lo, 0, v18, vcc_lo
	s_delay_alu instid0(VALU_DEP_2) | instskip(NEXT) | instid1(VALU_DEP_2)
	v_add_co_u32 v3, vcc_lo, v3, v19
	v_add_co_ci_u32_e32 v3, vcc_lo, v5, v20, vcc_lo
	v_add_co_ci_u32_e32 v5, vcc_lo, 0, v22, vcc_lo
	s_delay_alu instid0(VALU_DEP_2) | instskip(NEXT) | instid1(VALU_DEP_2)
	v_add_co_u32 v3, vcc_lo, v3, v21
	v_add_co_ci_u32_e32 v5, vcc_lo, 0, v5, vcc_lo
	s_delay_alu instid0(VALU_DEP_2) | instskip(SKIP_1) | instid1(VALU_DEP_3)
	v_mul_lo_u32 v9, s23, v3
	v_mad_u64_u32 v[17:18], null, s22, v3, 0
	v_mul_lo_u32 v13, s22, v5
	s_delay_alu instid0(VALU_DEP_2) | instskip(NEXT) | instid1(VALU_DEP_2)
	v_sub_co_u32 v11, vcc_lo, v11, v17
	v_add3_u32 v9, v18, v13, v9
	s_delay_alu instid0(VALU_DEP_1) | instskip(NEXT) | instid1(VALU_DEP_1)
	v_sub_nc_u32_e32 v13, v7, v9
	v_subrev_co_ci_u32_e64 v13, s0, s23, v13, vcc_lo
	v_add_co_u32 v15, s0, v3, 2
	s_delay_alu instid0(VALU_DEP_1) | instskip(SKIP_3) | instid1(VALU_DEP_3)
	v_add_co_ci_u32_e64 v17, s0, 0, v5, s0
	v_sub_co_u32 v18, s0, v11, s22
	v_sub_co_ci_u32_e32 v7, vcc_lo, v7, v9, vcc_lo
	v_subrev_co_ci_u32_e64 v13, s0, 0, v13, s0
	v_cmp_le_u32_e32 vcc_lo, s22, v18
	s_delay_alu instid0(VALU_DEP_3) | instskip(SKIP_1) | instid1(VALU_DEP_4)
	v_cmp_eq_u32_e64 s0, s23, v7
	v_cndmask_b32_e64 v9, 0, -1, vcc_lo
	v_cmp_le_u32_e32 vcc_lo, s23, v13
	v_cndmask_b32_e64 v18, 0, -1, vcc_lo
	v_cmp_le_u32_e32 vcc_lo, s22, v11
	;; [unrolled: 2-line block ×3, first 2 shown]
	v_cndmask_b32_e64 v19, 0, -1, vcc_lo
	v_cmp_eq_u32_e32 vcc_lo, s23, v13
	s_delay_alu instid0(VALU_DEP_2) | instskip(SKIP_3) | instid1(VALU_DEP_3)
	v_cndmask_b32_e64 v7, v19, v11, s0
	v_cndmask_b32_e32 v9, v18, v9, vcc_lo
	v_add_co_u32 v13, vcc_lo, v3, 1
	v_add_co_ci_u32_e32 v18, vcc_lo, 0, v5, vcc_lo
	v_cmp_ne_u32_e32 vcc_lo, 0, v9
	s_delay_alu instid0(VALU_DEP_2) | instskip(NEXT) | instid1(VALU_DEP_4)
	v_cndmask_b32_e32 v9, v18, v17, vcc_lo
	v_cndmask_b32_e32 v11, v13, v15, vcc_lo
	v_cmp_ne_u32_e32 vcc_lo, 0, v7
	v_xor_b32_e32 v7, s20, v23
	s_delay_alu instid0(VALU_DEP_3) | instskip(SKIP_2) | instid1(VALU_DEP_3)
	v_cndmask_b32_e32 v3, v3, v11, vcc_lo
	v_cndmask_b32_e32 v5, v5, v9, vcc_lo
	v_xor_b32_e32 v9, s21, v23
	v_xor_b32_e32 v3, v3, v7
	s_delay_alu instid0(VALU_DEP_2) | instskip(NEXT) | instid1(VALU_DEP_2)
	v_xor_b32_e32 v5, v5, v9
	v_sub_co_u32 v18, vcc_lo, v3, v7
	s_delay_alu instid0(VALU_DEP_2)
	v_sub_co_ci_u32_e32 v19, vcc_lo, v5, v9, vcc_lo
.LBB100_46:                             ;   in Loop: Header=BB100_24 Depth=2
	s_and_not1_saveexec_b32 s0, s14
	s_cbranch_execz .LBB100_48
; %bb.47:                               ;   in Loop: Header=BB100_24 Depth=2
	v_cvt_f32_u32_e32 v3, s51
	s_sub_i32 s14, 0, s51
	v_mov_b32_e32 v19, v2
	s_delay_alu instid0(VALU_DEP_2) | instskip(SKIP_2) | instid1(VALU_DEP_1)
	v_rcp_iflag_f32_e32 v3, v3
	s_waitcnt_depctr 0xfff
	v_mul_f32_e32 v3, 0x4f7ffffe, v3
	v_cvt_u32_f32_e32 v3, v3
	s_delay_alu instid0(VALU_DEP_1) | instskip(NEXT) | instid1(VALU_DEP_1)
	v_mul_lo_u32 v5, s14, v3
	v_mul_hi_u32 v5, v3, v5
	s_delay_alu instid0(VALU_DEP_1) | instskip(NEXT) | instid1(VALU_DEP_1)
	v_add_nc_u32_e32 v3, v3, v5
	v_mul_hi_u32 v3, v16, v3
	s_delay_alu instid0(VALU_DEP_1) | instskip(SKIP_1) | instid1(VALU_DEP_2)
	v_mul_lo_u32 v5, v3, s51
	v_add_nc_u32_e32 v7, 1, v3
	v_sub_nc_u32_e32 v5, v16, v5
	s_delay_alu instid0(VALU_DEP_1) | instskip(SKIP_1) | instid1(VALU_DEP_4)
	v_cmp_le_u32_e32 vcc_lo, s51, v5
	v_subrev_nc_u32_e32 v9, s51, v5
	v_cndmask_b32_e32 v3, v3, v7, vcc_lo
	s_delay_alu instid0(VALU_DEP_1) | instskip(NEXT) | instid1(VALU_DEP_3)
	v_add_nc_u32_e32 v7, 1, v3
	v_cndmask_b32_e32 v5, v5, v9, vcc_lo
	s_delay_alu instid0(VALU_DEP_1) | instskip(NEXT) | instid1(VALU_DEP_3)
	v_cmp_le_u32_e32 vcc_lo, s51, v5
	v_cndmask_b32_e32 v18, v3, v7, vcc_lo
.LBB100_48:                             ;   in Loop: Header=BB100_24 Depth=2
	s_or_b32 exec_lo, exec_lo, s0
	s_add_u32 s20, s30, s18
	s_addc_u32 s21, s1, s19
	s_add_i32 s14, s16, 1
	s_mov_b32 s17, exec_lo
	s_lshl_b64 s[18:19], s[14:15], 2
                                        ; implicit-def: $vgpr20_vgpr21
	s_delay_alu instid0(SALU_CYCLE_1)
	s_add_u32 s22, s26, s18
	s_addc_u32 s23, s27, s19
	s_clause 0x1
	s_load_b32 s52, s[22:23], 0x0
	s_load_b32 s14, s[20:21], 0x0
	s_waitcnt lgkmcnt(0)
	s_ashr_i32 s0, s52, 31
	s_delay_alu instid0(SALU_CYCLE_1) | instskip(NEXT) | instid1(VALU_DEP_1)
	v_or_b32_e32 v3, s0, v19
	v_cmpx_ne_u64_e32 0, v[2:3]
	s_xor_b32 s17, exec_lo, s17
	s_cbranch_execz .LBB100_50
; %bb.49:                               ;   in Loop: Header=BB100_24 Depth=2
	s_add_u32 s22, s52, s0
	s_mov_b32 s20, s0
	s_mov_b32 s21, s0
	s_addc_u32 s23, s0, s0
	s_delay_alu instid0(SALU_CYCLE_1) | instskip(NEXT) | instid1(SALU_CYCLE_1)
	s_xor_b64 s[22:23], s[22:23], s[20:21]
	v_cvt_f32_u32_e32 v3, s22
	v_cvt_f32_u32_e32 v5, s23
	s_sub_u32 s0, 0, s22
	s_subb_u32 s53, 0, s23
	s_delay_alu instid0(VALU_DEP_1) | instskip(NEXT) | instid1(VALU_DEP_1)
	v_fmac_f32_e32 v3, 0x4f800000, v5
	v_rcp_f32_e32 v3, v3
	s_waitcnt_depctr 0xfff
	v_mul_f32_e32 v3, 0x5f7ffffc, v3
	s_delay_alu instid0(VALU_DEP_1) | instskip(NEXT) | instid1(VALU_DEP_1)
	v_mul_f32_e32 v5, 0x2f800000, v3
	v_trunc_f32_e32 v5, v5
	s_delay_alu instid0(VALU_DEP_1) | instskip(SKIP_1) | instid1(VALU_DEP_2)
	v_fmac_f32_e32 v3, 0xcf800000, v5
	v_cvt_u32_f32_e32 v5, v5
	v_cvt_u32_f32_e32 v3, v3
	s_delay_alu instid0(VALU_DEP_2) | instskip(NEXT) | instid1(VALU_DEP_2)
	v_mul_lo_u32 v7, s0, v5
	v_mul_hi_u32 v9, s0, v3
	v_mul_lo_u32 v11, s53, v3
	s_delay_alu instid0(VALU_DEP_2) | instskip(SKIP_1) | instid1(VALU_DEP_2)
	v_add_nc_u32_e32 v7, v9, v7
	v_mul_lo_u32 v9, s0, v3
	v_add_nc_u32_e32 v7, v7, v11
	s_delay_alu instid0(VALU_DEP_2) | instskip(NEXT) | instid1(VALU_DEP_2)
	v_mul_hi_u32 v11, v3, v9
	v_mul_lo_u32 v13, v3, v7
	v_mul_hi_u32 v15, v3, v7
	v_mul_hi_u32 v17, v5, v9
	v_mul_lo_u32 v9, v5, v9
	v_mul_hi_u32 v20, v5, v7
	v_mul_lo_u32 v7, v5, v7
	v_add_co_u32 v11, vcc_lo, v11, v13
	v_add_co_ci_u32_e32 v13, vcc_lo, 0, v15, vcc_lo
	s_delay_alu instid0(VALU_DEP_2) | instskip(NEXT) | instid1(VALU_DEP_2)
	v_add_co_u32 v9, vcc_lo, v11, v9
	v_add_co_ci_u32_e32 v9, vcc_lo, v13, v17, vcc_lo
	v_add_co_ci_u32_e32 v11, vcc_lo, 0, v20, vcc_lo
	v_ashrrev_i32_e32 v17, 31, v19
	s_delay_alu instid0(VALU_DEP_3) | instskip(NEXT) | instid1(VALU_DEP_3)
	v_add_co_u32 v7, vcc_lo, v9, v7
	v_add_co_ci_u32_e32 v9, vcc_lo, 0, v11, vcc_lo
	s_delay_alu instid0(VALU_DEP_2) | instskip(NEXT) | instid1(VALU_DEP_2)
	v_add_co_u32 v3, vcc_lo, v3, v7
	v_add_co_ci_u32_e32 v5, vcc_lo, v5, v9, vcc_lo
	s_delay_alu instid0(VALU_DEP_2) | instskip(SKIP_1) | instid1(VALU_DEP_3)
	v_mul_hi_u32 v7, s0, v3
	v_mul_lo_u32 v11, s53, v3
	v_mul_lo_u32 v9, s0, v5
	s_delay_alu instid0(VALU_DEP_1) | instskip(SKIP_1) | instid1(VALU_DEP_2)
	v_add_nc_u32_e32 v7, v7, v9
	v_mul_lo_u32 v9, s0, v3
	v_add_nc_u32_e32 v7, v7, v11
	s_delay_alu instid0(VALU_DEP_2) | instskip(NEXT) | instid1(VALU_DEP_2)
	v_mul_hi_u32 v11, v3, v9
	v_mul_lo_u32 v13, v3, v7
	v_mul_hi_u32 v15, v3, v7
	v_mul_hi_u32 v20, v5, v9
	v_mul_lo_u32 v9, v5, v9
	v_mul_hi_u32 v21, v5, v7
	v_mul_lo_u32 v7, v5, v7
	v_add_co_u32 v11, vcc_lo, v11, v13
	v_add_co_ci_u32_e32 v13, vcc_lo, 0, v15, vcc_lo
	s_delay_alu instid0(VALU_DEP_2) | instskip(NEXT) | instid1(VALU_DEP_2)
	v_add_co_u32 v9, vcc_lo, v11, v9
	v_add_co_ci_u32_e32 v9, vcc_lo, v13, v20, vcc_lo
	v_add_co_ci_u32_e32 v11, vcc_lo, 0, v21, vcc_lo
	v_add_co_u32 v13, vcc_lo, v18, v17
	v_add_co_ci_u32_e32 v15, vcc_lo, v19, v17, vcc_lo
	s_delay_alu instid0(VALU_DEP_4) | instskip(NEXT) | instid1(VALU_DEP_4)
	v_add_co_u32 v7, vcc_lo, v9, v7
	v_add_co_ci_u32_e32 v9, vcc_lo, 0, v11, vcc_lo
	s_delay_alu instid0(VALU_DEP_4) | instskip(NEXT) | instid1(VALU_DEP_3)
	v_xor_b32_e32 v11, v13, v17
	v_add_co_u32 v3, vcc_lo, v3, v7
	s_delay_alu instid0(VALU_DEP_3) | instskip(SKIP_1) | instid1(VALU_DEP_3)
	v_add_co_ci_u32_e32 v5, vcc_lo, v5, v9, vcc_lo
	v_xor_b32_e32 v7, v15, v17
	v_mul_hi_u32 v9, v11, v3
	s_delay_alu instid0(VALU_DEP_3) | instskip(NEXT) | instid1(VALU_DEP_3)
	v_mad_u64_u32 v[19:20], null, v11, v5, 0
	v_mad_u64_u32 v[21:22], null, v7, v3, 0
	;; [unrolled: 1-line block ×3, first 2 shown]
	s_delay_alu instid0(VALU_DEP_3) | instskip(NEXT) | instid1(VALU_DEP_4)
	v_add_co_u32 v3, vcc_lo, v9, v19
	v_add_co_ci_u32_e32 v5, vcc_lo, 0, v20, vcc_lo
	s_delay_alu instid0(VALU_DEP_2) | instskip(NEXT) | instid1(VALU_DEP_2)
	v_add_co_u32 v3, vcc_lo, v3, v21
	v_add_co_ci_u32_e32 v3, vcc_lo, v5, v22, vcc_lo
	v_add_co_ci_u32_e32 v5, vcc_lo, 0, v28, vcc_lo
	s_delay_alu instid0(VALU_DEP_2) | instskip(NEXT) | instid1(VALU_DEP_2)
	v_add_co_u32 v3, vcc_lo, v3, v27
	v_add_co_ci_u32_e32 v5, vcc_lo, 0, v5, vcc_lo
	s_delay_alu instid0(VALU_DEP_2) | instskip(SKIP_1) | instid1(VALU_DEP_3)
	v_mul_lo_u32 v9, s23, v3
	v_mad_u64_u32 v[19:20], null, s22, v3, 0
	v_mul_lo_u32 v13, s22, v5
	s_delay_alu instid0(VALU_DEP_2) | instskip(NEXT) | instid1(VALU_DEP_2)
	v_sub_co_u32 v11, vcc_lo, v11, v19
	v_add3_u32 v9, v20, v13, v9
	s_delay_alu instid0(VALU_DEP_1) | instskip(NEXT) | instid1(VALU_DEP_1)
	v_sub_nc_u32_e32 v13, v7, v9
	v_subrev_co_ci_u32_e64 v13, s0, s23, v13, vcc_lo
	v_add_co_u32 v15, s0, v3, 2
	s_delay_alu instid0(VALU_DEP_1) | instskip(SKIP_3) | instid1(VALU_DEP_3)
	v_add_co_ci_u32_e64 v19, s0, 0, v5, s0
	v_sub_co_u32 v20, s0, v11, s22
	v_sub_co_ci_u32_e32 v7, vcc_lo, v7, v9, vcc_lo
	v_subrev_co_ci_u32_e64 v13, s0, 0, v13, s0
	v_cmp_le_u32_e32 vcc_lo, s22, v20
	s_delay_alu instid0(VALU_DEP_3) | instskip(SKIP_1) | instid1(VALU_DEP_4)
	v_cmp_eq_u32_e64 s0, s23, v7
	v_cndmask_b32_e64 v9, 0, -1, vcc_lo
	v_cmp_le_u32_e32 vcc_lo, s23, v13
	v_cndmask_b32_e64 v20, 0, -1, vcc_lo
	v_cmp_le_u32_e32 vcc_lo, s22, v11
	;; [unrolled: 2-line block ×3, first 2 shown]
	v_cndmask_b32_e64 v21, 0, -1, vcc_lo
	v_cmp_eq_u32_e32 vcc_lo, s23, v13
	s_delay_alu instid0(VALU_DEP_2) | instskip(SKIP_3) | instid1(VALU_DEP_3)
	v_cndmask_b32_e64 v7, v21, v11, s0
	v_cndmask_b32_e32 v9, v20, v9, vcc_lo
	v_add_co_u32 v13, vcc_lo, v3, 1
	v_add_co_ci_u32_e32 v20, vcc_lo, 0, v5, vcc_lo
	v_cmp_ne_u32_e32 vcc_lo, 0, v9
	s_delay_alu instid0(VALU_DEP_2) | instskip(NEXT) | instid1(VALU_DEP_4)
	v_cndmask_b32_e32 v9, v20, v19, vcc_lo
	v_cndmask_b32_e32 v11, v13, v15, vcc_lo
	v_cmp_ne_u32_e32 vcc_lo, 0, v7
	v_xor_b32_e32 v7, s20, v17
	s_delay_alu instid0(VALU_DEP_3) | instskip(SKIP_2) | instid1(VALU_DEP_3)
	v_cndmask_b32_e32 v3, v3, v11, vcc_lo
	v_cndmask_b32_e32 v5, v5, v9, vcc_lo
	v_xor_b32_e32 v9, s21, v17
	v_xor_b32_e32 v3, v3, v7
	s_delay_alu instid0(VALU_DEP_2) | instskip(NEXT) | instid1(VALU_DEP_2)
	v_xor_b32_e32 v5, v5, v9
	v_sub_co_u32 v20, vcc_lo, v3, v7
	s_delay_alu instid0(VALU_DEP_2)
	v_sub_co_ci_u32_e32 v21, vcc_lo, v5, v9, vcc_lo
.LBB100_50:                             ;   in Loop: Header=BB100_24 Depth=2
	s_and_not1_saveexec_b32 s0, s17
	s_cbranch_execz .LBB100_52
; %bb.51:                               ;   in Loop: Header=BB100_24 Depth=2
	v_cvt_f32_u32_e32 v3, s52
	s_sub_i32 s17, 0, s52
	v_mov_b32_e32 v21, v2
	s_delay_alu instid0(VALU_DEP_2) | instskip(SKIP_2) | instid1(VALU_DEP_1)
	v_rcp_iflag_f32_e32 v3, v3
	s_waitcnt_depctr 0xfff
	v_mul_f32_e32 v3, 0x4f7ffffe, v3
	v_cvt_u32_f32_e32 v3, v3
	s_delay_alu instid0(VALU_DEP_1) | instskip(NEXT) | instid1(VALU_DEP_1)
	v_mul_lo_u32 v5, s17, v3
	v_mul_hi_u32 v5, v3, v5
	s_delay_alu instid0(VALU_DEP_1) | instskip(NEXT) | instid1(VALU_DEP_1)
	v_add_nc_u32_e32 v3, v3, v5
	v_mul_hi_u32 v3, v18, v3
	s_delay_alu instid0(VALU_DEP_1) | instskip(SKIP_1) | instid1(VALU_DEP_2)
	v_mul_lo_u32 v5, v3, s52
	v_add_nc_u32_e32 v7, 1, v3
	v_sub_nc_u32_e32 v5, v18, v5
	s_delay_alu instid0(VALU_DEP_1) | instskip(SKIP_1) | instid1(VALU_DEP_4)
	v_cmp_le_u32_e32 vcc_lo, s52, v5
	v_subrev_nc_u32_e32 v9, s52, v5
	v_cndmask_b32_e32 v3, v3, v7, vcc_lo
	s_delay_alu instid0(VALU_DEP_1) | instskip(NEXT) | instid1(VALU_DEP_3)
	v_add_nc_u32_e32 v7, 1, v3
	v_cndmask_b32_e32 v5, v5, v9, vcc_lo
	s_delay_alu instid0(VALU_DEP_1) | instskip(NEXT) | instid1(VALU_DEP_3)
	v_cmp_le_u32_e32 vcc_lo, s52, v5
	v_cndmask_b32_e32 v20, v3, v7, vcc_lo
.LBB100_52:                             ;   in Loop: Header=BB100_24 Depth=2
	s_or_b32 exec_lo, exec_lo, s0
	s_mov_b32 s17, s15
	s_add_u32 s20, s30, s18
	s_addc_u32 s21, s1, s19
	s_lshl_b64 s[18:19], s[16:17], 2
                                        ; implicit-def: $vgpr22_vgpr23
	s_delay_alu instid0(SALU_CYCLE_1)
	s_add_u32 s22, s26, s18
	s_addc_u32 s23, s27, s19
	s_clause 0x1
	s_load_b32 s53, s[22:23], 0x0
	s_load_b32 s17, s[20:21], 0x0
	s_mov_b32 s20, exec_lo
	s_waitcnt lgkmcnt(0)
	s_ashr_i32 s0, s53, 31
	s_delay_alu instid0(SALU_CYCLE_1) | instskip(NEXT) | instid1(VALU_DEP_1)
	v_or_b32_e32 v3, s0, v21
	v_cmpx_ne_u64_e32 0, v[2:3]
	s_xor_b32 s54, exec_lo, s20
	s_cbranch_execz .LBB100_54
; %bb.53:                               ;   in Loop: Header=BB100_24 Depth=2
	s_add_u32 s22, s53, s0
	s_mov_b32 s20, s0
	s_mov_b32 s21, s0
	s_addc_u32 s23, s0, s0
	s_delay_alu instid0(SALU_CYCLE_1) | instskip(NEXT) | instid1(SALU_CYCLE_1)
	s_xor_b64 s[22:23], s[22:23], s[20:21]
	v_cvt_f32_u32_e32 v3, s22
	v_cvt_f32_u32_e32 v5, s23
	s_sub_u32 s0, 0, s22
	s_subb_u32 s55, 0, s23
	s_delay_alu instid0(VALU_DEP_1) | instskip(NEXT) | instid1(VALU_DEP_1)
	v_fmac_f32_e32 v3, 0x4f800000, v5
	v_rcp_f32_e32 v3, v3
	s_waitcnt_depctr 0xfff
	v_mul_f32_e32 v3, 0x5f7ffffc, v3
	s_delay_alu instid0(VALU_DEP_1) | instskip(NEXT) | instid1(VALU_DEP_1)
	v_mul_f32_e32 v5, 0x2f800000, v3
	v_trunc_f32_e32 v5, v5
	s_delay_alu instid0(VALU_DEP_1) | instskip(SKIP_1) | instid1(VALU_DEP_2)
	v_fmac_f32_e32 v3, 0xcf800000, v5
	v_cvt_u32_f32_e32 v5, v5
	v_cvt_u32_f32_e32 v3, v3
	s_delay_alu instid0(VALU_DEP_2) | instskip(NEXT) | instid1(VALU_DEP_2)
	v_mul_lo_u32 v7, s0, v5
	v_mul_hi_u32 v9, s0, v3
	v_mul_lo_u32 v11, s55, v3
	s_delay_alu instid0(VALU_DEP_2) | instskip(SKIP_1) | instid1(VALU_DEP_2)
	v_add_nc_u32_e32 v7, v9, v7
	v_mul_lo_u32 v9, s0, v3
	v_add_nc_u32_e32 v7, v7, v11
	s_delay_alu instid0(VALU_DEP_2) | instskip(NEXT) | instid1(VALU_DEP_2)
	v_mul_hi_u32 v11, v3, v9
	v_mul_lo_u32 v13, v3, v7
	v_mul_hi_u32 v15, v3, v7
	v_mul_hi_u32 v17, v5, v9
	v_mul_lo_u32 v9, v5, v9
	v_mul_hi_u32 v19, v5, v7
	v_mul_lo_u32 v7, v5, v7
	v_add_co_u32 v11, vcc_lo, v11, v13
	v_add_co_ci_u32_e32 v13, vcc_lo, 0, v15, vcc_lo
	s_delay_alu instid0(VALU_DEP_2) | instskip(NEXT) | instid1(VALU_DEP_2)
	v_add_co_u32 v9, vcc_lo, v11, v9
	v_add_co_ci_u32_e32 v9, vcc_lo, v13, v17, vcc_lo
	v_add_co_ci_u32_e32 v11, vcc_lo, 0, v19, vcc_lo
	v_ashrrev_i32_e32 v17, 31, v21
	s_delay_alu instid0(VALU_DEP_3) | instskip(NEXT) | instid1(VALU_DEP_3)
	v_add_co_u32 v7, vcc_lo, v9, v7
	v_add_co_ci_u32_e32 v9, vcc_lo, 0, v11, vcc_lo
	s_delay_alu instid0(VALU_DEP_2) | instskip(NEXT) | instid1(VALU_DEP_2)
	v_add_co_u32 v3, vcc_lo, v3, v7
	v_add_co_ci_u32_e32 v5, vcc_lo, v5, v9, vcc_lo
	s_delay_alu instid0(VALU_DEP_2) | instskip(SKIP_1) | instid1(VALU_DEP_3)
	v_mul_hi_u32 v7, s0, v3
	v_mul_lo_u32 v11, s55, v3
	v_mul_lo_u32 v9, s0, v5
	s_delay_alu instid0(VALU_DEP_1) | instskip(SKIP_1) | instid1(VALU_DEP_2)
	v_add_nc_u32_e32 v7, v7, v9
	v_mul_lo_u32 v9, s0, v3
	v_add_nc_u32_e32 v7, v7, v11
	s_delay_alu instid0(VALU_DEP_2) | instskip(NEXT) | instid1(VALU_DEP_2)
	v_mul_hi_u32 v11, v3, v9
	v_mul_lo_u32 v13, v3, v7
	v_mul_hi_u32 v15, v3, v7
	v_mul_hi_u32 v19, v5, v9
	v_mul_lo_u32 v9, v5, v9
	v_mul_hi_u32 v22, v5, v7
	v_mul_lo_u32 v7, v5, v7
	v_add_co_u32 v11, vcc_lo, v11, v13
	v_add_co_ci_u32_e32 v13, vcc_lo, 0, v15, vcc_lo
	s_delay_alu instid0(VALU_DEP_2) | instskip(NEXT) | instid1(VALU_DEP_2)
	v_add_co_u32 v9, vcc_lo, v11, v9
	v_add_co_ci_u32_e32 v9, vcc_lo, v13, v19, vcc_lo
	v_add_co_ci_u32_e32 v11, vcc_lo, 0, v22, vcc_lo
	v_add_co_u32 v13, vcc_lo, v20, v17
	v_add_co_ci_u32_e32 v15, vcc_lo, v21, v17, vcc_lo
	s_delay_alu instid0(VALU_DEP_4) | instskip(NEXT) | instid1(VALU_DEP_4)
	v_add_co_u32 v7, vcc_lo, v9, v7
	v_add_co_ci_u32_e32 v9, vcc_lo, 0, v11, vcc_lo
	s_delay_alu instid0(VALU_DEP_4) | instskip(NEXT) | instid1(VALU_DEP_3)
	v_xor_b32_e32 v11, v13, v17
	v_add_co_u32 v3, vcc_lo, v3, v7
	s_delay_alu instid0(VALU_DEP_3) | instskip(SKIP_1) | instid1(VALU_DEP_3)
	v_add_co_ci_u32_e32 v5, vcc_lo, v5, v9, vcc_lo
	v_xor_b32_e32 v7, v15, v17
	v_mul_hi_u32 v9, v11, v3
	s_delay_alu instid0(VALU_DEP_3) | instskip(NEXT) | instid1(VALU_DEP_3)
	v_mad_u64_u32 v[21:22], null, v11, v5, 0
	v_mad_u64_u32 v[27:28], null, v7, v3, 0
	;; [unrolled: 1-line block ×3, first 2 shown]
	s_delay_alu instid0(VALU_DEP_3) | instskip(NEXT) | instid1(VALU_DEP_4)
	v_add_co_u32 v3, vcc_lo, v9, v21
	v_add_co_ci_u32_e32 v5, vcc_lo, 0, v22, vcc_lo
	s_delay_alu instid0(VALU_DEP_2) | instskip(NEXT) | instid1(VALU_DEP_2)
	v_add_co_u32 v3, vcc_lo, v3, v27
	v_add_co_ci_u32_e32 v3, vcc_lo, v5, v28, vcc_lo
	v_add_co_ci_u32_e32 v5, vcc_lo, 0, v30, vcc_lo
	s_delay_alu instid0(VALU_DEP_2) | instskip(NEXT) | instid1(VALU_DEP_2)
	v_add_co_u32 v3, vcc_lo, v3, v29
	v_add_co_ci_u32_e32 v5, vcc_lo, 0, v5, vcc_lo
	s_delay_alu instid0(VALU_DEP_2) | instskip(SKIP_1) | instid1(VALU_DEP_3)
	v_mul_lo_u32 v9, s23, v3
	v_mad_u64_u32 v[21:22], null, s22, v3, 0
	v_mul_lo_u32 v13, s22, v5
	s_delay_alu instid0(VALU_DEP_2) | instskip(NEXT) | instid1(VALU_DEP_2)
	v_sub_co_u32 v11, vcc_lo, v11, v21
	v_add3_u32 v9, v22, v13, v9
	s_delay_alu instid0(VALU_DEP_1) | instskip(NEXT) | instid1(VALU_DEP_1)
	v_sub_nc_u32_e32 v13, v7, v9
	v_subrev_co_ci_u32_e64 v13, s0, s23, v13, vcc_lo
	v_add_co_u32 v15, s0, v3, 2
	s_delay_alu instid0(VALU_DEP_1) | instskip(SKIP_3) | instid1(VALU_DEP_3)
	v_add_co_ci_u32_e64 v19, s0, 0, v5, s0
	v_sub_co_u32 v21, s0, v11, s22
	v_sub_co_ci_u32_e32 v7, vcc_lo, v7, v9, vcc_lo
	v_subrev_co_ci_u32_e64 v13, s0, 0, v13, s0
	v_cmp_le_u32_e32 vcc_lo, s22, v21
	s_delay_alu instid0(VALU_DEP_3) | instskip(SKIP_1) | instid1(VALU_DEP_4)
	v_cmp_eq_u32_e64 s0, s23, v7
	v_cndmask_b32_e64 v9, 0, -1, vcc_lo
	v_cmp_le_u32_e32 vcc_lo, s23, v13
	v_cndmask_b32_e64 v21, 0, -1, vcc_lo
	v_cmp_le_u32_e32 vcc_lo, s22, v11
	;; [unrolled: 2-line block ×3, first 2 shown]
	v_cndmask_b32_e64 v22, 0, -1, vcc_lo
	v_cmp_eq_u32_e32 vcc_lo, s23, v13
	s_delay_alu instid0(VALU_DEP_2) | instskip(SKIP_3) | instid1(VALU_DEP_3)
	v_cndmask_b32_e64 v7, v22, v11, s0
	v_cndmask_b32_e32 v9, v21, v9, vcc_lo
	v_add_co_u32 v13, vcc_lo, v3, 1
	v_add_co_ci_u32_e32 v21, vcc_lo, 0, v5, vcc_lo
	v_cmp_ne_u32_e32 vcc_lo, 0, v9
	s_delay_alu instid0(VALU_DEP_2) | instskip(NEXT) | instid1(VALU_DEP_4)
	v_cndmask_b32_e32 v9, v21, v19, vcc_lo
	v_cndmask_b32_e32 v11, v13, v15, vcc_lo
	v_cmp_ne_u32_e32 vcc_lo, 0, v7
	v_xor_b32_e32 v7, s20, v17
	s_delay_alu instid0(VALU_DEP_3) | instskip(SKIP_2) | instid1(VALU_DEP_3)
	v_cndmask_b32_e32 v3, v3, v11, vcc_lo
	v_cndmask_b32_e32 v5, v5, v9, vcc_lo
	v_xor_b32_e32 v9, s21, v17
	v_xor_b32_e32 v3, v3, v7
	s_delay_alu instid0(VALU_DEP_2) | instskip(NEXT) | instid1(VALU_DEP_2)
	v_xor_b32_e32 v5, v5, v9
	v_sub_co_u32 v22, vcc_lo, v3, v7
	s_delay_alu instid0(VALU_DEP_2)
	v_sub_co_ci_u32_e32 v23, vcc_lo, v5, v9, vcc_lo
.LBB100_54:                             ;   in Loop: Header=BB100_24 Depth=2
	s_and_not1_saveexec_b32 s0, s54
	s_cbranch_execz .LBB100_56
; %bb.55:                               ;   in Loop: Header=BB100_24 Depth=2
	v_cvt_f32_u32_e32 v3, s53
	s_sub_i32 s20, 0, s53
	v_mov_b32_e32 v23, v2
	s_delay_alu instid0(VALU_DEP_2) | instskip(SKIP_2) | instid1(VALU_DEP_1)
	v_rcp_iflag_f32_e32 v3, v3
	s_waitcnt_depctr 0xfff
	v_mul_f32_e32 v3, 0x4f7ffffe, v3
	v_cvt_u32_f32_e32 v3, v3
	s_delay_alu instid0(VALU_DEP_1) | instskip(NEXT) | instid1(VALU_DEP_1)
	v_mul_lo_u32 v5, s20, v3
	v_mul_hi_u32 v5, v3, v5
	s_delay_alu instid0(VALU_DEP_1) | instskip(NEXT) | instid1(VALU_DEP_1)
	v_add_nc_u32_e32 v3, v3, v5
	v_mul_hi_u32 v3, v20, v3
	s_delay_alu instid0(VALU_DEP_1) | instskip(SKIP_1) | instid1(VALU_DEP_2)
	v_mul_lo_u32 v5, v3, s53
	v_add_nc_u32_e32 v7, 1, v3
	v_sub_nc_u32_e32 v5, v20, v5
	s_delay_alu instid0(VALU_DEP_1) | instskip(SKIP_1) | instid1(VALU_DEP_4)
	v_cmp_le_u32_e32 vcc_lo, s53, v5
	v_subrev_nc_u32_e32 v9, s53, v5
	v_cndmask_b32_e32 v3, v3, v7, vcc_lo
	s_delay_alu instid0(VALU_DEP_1) | instskip(NEXT) | instid1(VALU_DEP_3)
	v_add_nc_u32_e32 v7, 1, v3
	v_cndmask_b32_e32 v5, v5, v9, vcc_lo
	s_delay_alu instid0(VALU_DEP_1) | instskip(NEXT) | instid1(VALU_DEP_3)
	v_cmp_le_u32_e32 vcc_lo, s53, v5
	v_cndmask_b32_e32 v22, v3, v7, vcc_lo
.LBB100_56:                             ;   in Loop: Header=BB100_24 Depth=2
	s_or_b32 exec_lo, exec_lo, s0
	v_mul_lo_u32 v3, v8, s41
	v_mul_lo_u32 v5, v10, s43
	;; [unrolled: 1-line block ×4, first 2 shown]
	s_add_u32 s18, s30, s18
	s_addc_u32 s19, s1, s19
	v_mul_lo_u32 v11, v16, s49
	s_load_b32 s0, s[18:19], 0x0
	v_sub_nc_u32_e32 v3, v6, v3
	v_sub_nc_u32_e32 v5, v8, v5
	v_mul_lo_u32 v6, v18, s51
	v_sub_nc_u32_e32 v7, v10, v7
	v_sub_nc_u32_e32 v9, v12, v9
	v_mul_lo_u32 v3, s42, v3
	v_mul_lo_u32 v5, s44, v5
	;; [unrolled: 1-line block ×4, first 2 shown]
	v_sub_nc_u32_e32 v11, v14, v11
	v_sub_nc_u32_e32 v6, v16, v6
	v_mul_lo_u32 v7, s46, v7
	v_mul_lo_u32 v9, s48, v9
	s_add_i32 s16, s16, -8
	v_add3_u32 v3, v3, v4, v5
	v_mul_lo_u32 v4, s50, v11
	v_sub_nc_u32_e32 v5, v18, v8
	v_sub_nc_u32_e32 v8, v20, v10
	v_mul_lo_u32 v6, s14, v6
	s_cmp_eq_u32 s16, -8
	v_add3_u32 v3, v7, v3, v9
	v_mul_lo_u32 v5, s17, v5
	s_waitcnt lgkmcnt(0)
	v_mul_lo_u32 v7, s0, v8
	s_delay_alu instid0(VALU_DEP_3) | instskip(NEXT) | instid1(VALU_DEP_1)
	v_add3_u32 v3, v4, v3, v6
	v_add3_u32 v4, v5, v3, v7
	s_cbranch_scc1 .LBB100_58
; %bb.57:                               ;   in Loop: Header=BB100_24 Depth=2
	v_dual_mov_b32 v6, v22 :: v_dual_mov_b32 v7, v23
	s_branch .LBB100_24
.LBB100_58:                             ;   in Loop: Header=BB100_3 Depth=1
	s_load_b32 s0, s[12:13], 0x0
	s_waitcnt lgkmcnt(0)
	v_cmp_gt_i32_e32 vcc_lo, s0, v26
	s_and_b32 exec_lo, exec_lo, vcc_lo
	s_cbranch_execz .LBB100_2
; %bb.59:                               ;   in Loop: Header=BB100_3 Depth=1
	s_delay_alu instid0(VALU_DEP_2) | instskip(SKIP_2) | instid1(VALU_DEP_3)
	v_ashrrev_i32_e32 v6, 31, v4
	v_add_nc_u32_e32 v3, 1, v26
	v_add_co_u32 v5, vcc_lo, s2, v4
	v_add_co_ci_u32_e32 v6, vcc_lo, s3, v6, vcc_lo
	s_delay_alu instid0(VALU_DEP_3)
	v_cmp_gt_i32_e32 vcc_lo, s0, v3
	global_store_b8 v[5:6], v2, off
	s_and_b32 exec_lo, exec_lo, vcc_lo
	s_cbranch_execz .LBB100_2
; %bb.60:                               ;   in Loop: Header=BB100_3 Depth=1
	v_sub_nc_u32_e32 v5, v3, v25
	s_mov_b32 s14, exec_lo
	s_delay_alu instid0(VALU_DEP_1) | instskip(NEXT) | instid1(VALU_DEP_1)
	v_ashrrev_i32_e32 v6, 31, v5
	v_cmpx_gt_i64_e64 s[4:5], v[5:6]
	s_cbranch_execz .LBB100_62
; %bb.61:                               ;   in Loop: Header=BB100_3 Depth=1
	v_add_nc_u32_e32 v3, s40, v4
	s_delay_alu instid0(VALU_DEP_1) | instskip(SKIP_1) | instid1(VALU_DEP_2)
	v_ashrrev_i32_e32 v6, 31, v3
	v_add_co_u32 v5, vcc_lo, s2, v3
	v_add_co_ci_u32_e32 v6, vcc_lo, s3, v6, vcc_lo
	global_store_b8 v[5:6], v2, off
.LBB100_62:                             ;   in Loop: Header=BB100_3 Depth=1
	s_or_b32 exec_lo, exec_lo, s14
	v_add_nc_u32_e32 v3, 2, v26
	s_delay_alu instid0(VALU_DEP_1)
	v_cmp_gt_i32_e32 vcc_lo, s0, v3
	s_and_b32 exec_lo, exec_lo, vcc_lo
	s_cbranch_execz .LBB100_2
; %bb.63:                               ;   in Loop: Header=BB100_3 Depth=1
	v_sub_nc_u32_e32 v5, v3, v25
	s_mov_b32 s14, exec_lo
	s_delay_alu instid0(VALU_DEP_1) | instskip(NEXT) | instid1(VALU_DEP_1)
	v_ashrrev_i32_e32 v6, 31, v5
	v_cmpx_gt_i64_e64 s[4:5], v[5:6]
	s_cbranch_execz .LBB100_65
; %bb.64:                               ;   in Loop: Header=BB100_3 Depth=1
	v_lshl_add_u32 v3, s40, 1, v4
	s_delay_alu instid0(VALU_DEP_1) | instskip(SKIP_1) | instid1(VALU_DEP_2)
	v_ashrrev_i32_e32 v6, 31, v3
	v_add_co_u32 v5, vcc_lo, s2, v3
	v_add_co_ci_u32_e32 v6, vcc_lo, s3, v6, vcc_lo
	global_store_b8 v[5:6], v2, off
.LBB100_65:                             ;   in Loop: Header=BB100_3 Depth=1
	s_or_b32 exec_lo, exec_lo, s14
	v_add_nc_u32_e32 v3, 3, v26
	s_delay_alu instid0(VALU_DEP_1)
	v_cmp_gt_i32_e32 vcc_lo, s0, v3
	s_and_b32 exec_lo, exec_lo, vcc_lo
	s_cbranch_execz .LBB100_2
; %bb.66:                               ;   in Loop: Header=BB100_3 Depth=1
	v_sub_nc_u32_e32 v5, v3, v25
	s_delay_alu instid0(VALU_DEP_1) | instskip(NEXT) | instid1(VALU_DEP_1)
	v_ashrrev_i32_e32 v6, 31, v5
	v_cmp_gt_i64_e32 vcc_lo, s[4:5], v[5:6]
	s_and_b32 exec_lo, exec_lo, vcc_lo
	s_cbranch_execz .LBB100_2
; %bb.67:                               ;   in Loop: Header=BB100_3 Depth=1
	v_mad_u64_u32 v[5:6], null, s40, 3, v[4:5]
	s_delay_alu instid0(VALU_DEP_1) | instskip(SKIP_1) | instid1(VALU_DEP_2)
	v_ashrrev_i32_e32 v4, 31, v5
	v_add_co_u32 v3, vcc_lo, s2, v5
	v_add_co_ci_u32_e32 v4, vcc_lo, s3, v4, vcc_lo
	global_store_b8 v[3:4], v2, off
	s_branch .LBB100_2
.LBB100_68:
	s_nop 0
	s_sendmsg sendmsg(MSG_DEALLOC_VGPRS)
	s_endpgm
	.section	.rodata,"a",@progbits
	.p2align	6, 0x0
	.amdhsa_kernel _ZN2at6native16triu_tril_kernelIbiLb1ELi4ELb1EEEvNS_4cuda6detail10TensorInfoIT_T0_EENS4_IKS5_S6_EEllS6_
		.amdhsa_group_segment_fixed_size 0
		.amdhsa_private_segment_fixed_size 0
		.amdhsa_kernarg_size 712
		.amdhsa_user_sgpr_count 15
		.amdhsa_user_sgpr_dispatch_ptr 0
		.amdhsa_user_sgpr_queue_ptr 0
		.amdhsa_user_sgpr_kernarg_segment_ptr 1
		.amdhsa_user_sgpr_dispatch_id 0
		.amdhsa_user_sgpr_private_segment_size 0
		.amdhsa_wavefront_size32 1
		.amdhsa_uses_dynamic_stack 0
		.amdhsa_enable_private_segment 0
		.amdhsa_system_sgpr_workgroup_id_x 1
		.amdhsa_system_sgpr_workgroup_id_y 0
		.amdhsa_system_sgpr_workgroup_id_z 0
		.amdhsa_system_sgpr_workgroup_info 0
		.amdhsa_system_vgpr_workitem_id 0
		.amdhsa_next_free_vgpr 31
		.amdhsa_next_free_sgpr 56
		.amdhsa_reserve_vcc 1
		.amdhsa_float_round_mode_32 0
		.amdhsa_float_round_mode_16_64 0
		.amdhsa_float_denorm_mode_32 3
		.amdhsa_float_denorm_mode_16_64 3
		.amdhsa_dx10_clamp 1
		.amdhsa_ieee_mode 1
		.amdhsa_fp16_overflow 0
		.amdhsa_workgroup_processor_mode 1
		.amdhsa_memory_ordered 1
		.amdhsa_forward_progress 0
		.amdhsa_shared_vgpr_count 0
		.amdhsa_exception_fp_ieee_invalid_op 0
		.amdhsa_exception_fp_denorm_src 0
		.amdhsa_exception_fp_ieee_div_zero 0
		.amdhsa_exception_fp_ieee_overflow 0
		.amdhsa_exception_fp_ieee_underflow 0
		.amdhsa_exception_fp_ieee_inexact 0
		.amdhsa_exception_int_div_zero 0
	.end_amdhsa_kernel
	.section	.text._ZN2at6native16triu_tril_kernelIbiLb1ELi4ELb1EEEvNS_4cuda6detail10TensorInfoIT_T0_EENS4_IKS5_S6_EEllS6_,"axG",@progbits,_ZN2at6native16triu_tril_kernelIbiLb1ELi4ELb1EEEvNS_4cuda6detail10TensorInfoIT_T0_EENS4_IKS5_S6_EEllS6_,comdat
.Lfunc_end100:
	.size	_ZN2at6native16triu_tril_kernelIbiLb1ELi4ELb1EEEvNS_4cuda6detail10TensorInfoIT_T0_EENS4_IKS5_S6_EEllS6_, .Lfunc_end100-_ZN2at6native16triu_tril_kernelIbiLb1ELi4ELb1EEEvNS_4cuda6detail10TensorInfoIT_T0_EENS4_IKS5_S6_EEllS6_
                                        ; -- End function
	.section	.AMDGPU.csdata,"",@progbits
; Kernel info:
; codeLenInByte = 12532
; NumSgprs: 58
; NumVgprs: 31
; ScratchSize: 0
; MemoryBound: 0
; FloatMode: 240
; IeeeMode: 1
; LDSByteSize: 0 bytes/workgroup (compile time only)
; SGPRBlocks: 7
; VGPRBlocks: 3
; NumSGPRsForWavesPerEU: 58
; NumVGPRsForWavesPerEU: 31
; Occupancy: 16
; WaveLimiterHint : 0
; COMPUTE_PGM_RSRC2:SCRATCH_EN: 0
; COMPUTE_PGM_RSRC2:USER_SGPR: 15
; COMPUTE_PGM_RSRC2:TRAP_HANDLER: 0
; COMPUTE_PGM_RSRC2:TGID_X_EN: 1
; COMPUTE_PGM_RSRC2:TGID_Y_EN: 0
; COMPUTE_PGM_RSRC2:TGID_Z_EN: 0
; COMPUTE_PGM_RSRC2:TIDIG_COMP_CNT: 0
	.section	.text._ZN2at6native16triu_tril_kernelIbiLb1ELi4ELb0EEEvNS_4cuda6detail10TensorInfoIT_T0_EENS4_IKS5_S6_EEllS6_,"axG",@progbits,_ZN2at6native16triu_tril_kernelIbiLb1ELi4ELb0EEEvNS_4cuda6detail10TensorInfoIT_T0_EENS4_IKS5_S6_EEllS6_,comdat
	.protected	_ZN2at6native16triu_tril_kernelIbiLb1ELi4ELb0EEEvNS_4cuda6detail10TensorInfoIT_T0_EENS4_IKS5_S6_EEllS6_ ; -- Begin function _ZN2at6native16triu_tril_kernelIbiLb1ELi4ELb0EEEvNS_4cuda6detail10TensorInfoIT_T0_EENS4_IKS5_S6_EEllS6_
	.globl	_ZN2at6native16triu_tril_kernelIbiLb1ELi4ELb0EEEvNS_4cuda6detail10TensorInfoIT_T0_EENS4_IKS5_S6_EEllS6_
	.p2align	8
	.type	_ZN2at6native16triu_tril_kernelIbiLb1ELi4ELb0EEEvNS_4cuda6detail10TensorInfoIT_T0_EENS4_IKS5_S6_EEllS6_,@function
_ZN2at6native16triu_tril_kernelIbiLb1ELi4ELb0EEEvNS_4cuda6detail10TensorInfoIT_T0_EENS4_IKS5_S6_EEllS6_: ; @_ZN2at6native16triu_tril_kernelIbiLb1ELi4ELb0EEEvNS_4cuda6detail10TensorInfoIT_T0_EENS4_IKS5_S6_EEllS6_
; %bb.0:
	s_clause 0x1
	s_load_b32 s4, s[0:1], 0x1d4
	s_load_b128 s[8:11], s[0:1], 0x1b0
	v_mov_b32_e32 v2, 0
	s_add_u32 s2, s0, 0x1c8
	s_addc_u32 s3, s1, 0
	s_mov_b32 s5, exec_lo
	s_delay_alu instid0(VALU_DEP_1)
	v_mov_b32_e32 v1, v2
	s_waitcnt lgkmcnt(0)
	s_and_b32 s4, s4, 0xffff
	s_delay_alu instid0(VALU_DEP_1) | instid1(SALU_CYCLE_1)
	v_mad_u64_u32 v[3:4], null, s4, s15, v[0:1]
	s_delay_alu instid0(VALU_DEP_1) | instskip(NEXT) | instid1(VALU_DEP_1)
	v_lshlrev_b64 v[0:1], 2, v[3:4]
	v_cmpx_gt_i64_e64 s[10:11], v[0:1]
	s_cbranch_execz .LBB101_55
; %bb.1:
	s_clause 0x1
	s_load_b32 s20, s[0:1], 0x1a8
	s_load_b32 s26, s[0:1], 0x1c0
	s_add_u32 s27, s0, 0xd8
	s_addc_u32 s28, s1, 0
	s_load_b32 s5, s[2:3], 0x0
	s_clause 0x1
	s_load_b64 s[12:13], s[0:1], 0xd8
	s_load_b64 s[18:19], s[0:1], 0x0
	s_mov_b32 s43, 0
	s_waitcnt lgkmcnt(0)
	s_ashr_i32 s21, s20, 31
	s_ashr_i32 s29, s26, 31
	s_lshl_b64 s[2:3], s[20:21], 2
	v_cvt_f32_u32_e32 v3, s26
	s_add_u32 s16, s2, -8
	s_addc_u32 s17, s3, -1
	s_add_u32 s2, s27, s16
	s_addc_u32 s3, s28, s17
	v_rcp_iflag_f32_e32 v3, v3
	s_clause 0x1
	s_load_b64 s[6:7], s[2:3], 0x8
	s_load_b64 s[14:15], s[2:3], 0x6c
	s_mul_i32 s5, s5, s4
	v_cmp_gt_i64_e64 s39, s[20:21], 2
	s_mov_b32 s21, 0
	s_waitcnt_depctr 0xfff
	v_mul_f32_e32 v3, 0x4f7ffffe, v3
	s_delay_alu instid0(VALU_DEP_1)
	v_cvt_u32_f32_e32 v3, v3
	s_waitcnt lgkmcnt(0)
	s_ashr_i32 s30, s6, 31
	s_add_u32 s31, s0, 0x6c
	s_addc_u32 s33, s1, 0
	s_add_u32 s2, s31, s16
	s_addc_u32 s3, s33, s17
	s_and_b32 s35, s20, 3
	s_add_i32 s34, s20, -3
	s_lshl_b32 s36, s5, 2
	s_cmp_lg_u32 s35, 2
	s_load_b64 s[16:17], s[2:3], 0x0
	s_cselect_b32 s37, -1, 0
	s_cmp_gt_u32 s34, 2
	s_mov_b32 s40, s6
	s_cselect_b32 s38, -1, 0
	s_sub_i32 s2, 0, s26
	s_ashr_i32 s41, s15, 31
	v_mul_lo_u32 v4, s2, v3
	s_delay_alu instid0(VALU_DEP_1) | instskip(SKIP_2) | instid1(VALU_DEP_1)
	v_mul_hi_u32 v4, v3, v4
	s_waitcnt lgkmcnt(0)
	s_ashr_i32 s42, s17, 31
	v_add_nc_u32_e32 v18, v3, v4
	s_branch .LBB101_3
.LBB101_2:                              ;   in Loop: Header=BB101_3 Depth=1
	s_or_b32 exec_lo, exec_lo, s0
	v_add_co_u32 v0, vcc_lo, v0, s36
	v_add_co_ci_u32_e32 v1, vcc_lo, 0, v1, vcc_lo
	s_delay_alu instid0(VALU_DEP_1) | instskip(SKIP_1) | instid1(SALU_CYCLE_1)
	v_cmp_le_i64_e32 vcc_lo, s[10:11], v[0:1]
	s_or_b32 s43, vcc_lo, s43
	s_and_not1_b32 exec_lo, exec_lo, s43
	s_cbranch_execz .LBB101_55
.LBB101_3:                              ; =>This Loop Header: Depth=1
                                        ;     Child Loop BB101_14 Depth 2
                                        ;     Child Loop BB101_22 Depth 2
	v_or_b32_e32 v3, s29, v1
                                        ; implicit-def: $vgpr4_vgpr5
	s_mov_b32 s0, exec_lo
	s_delay_alu instid0(VALU_DEP_1)
	v_cmpx_ne_u64_e32 0, v[2:3]
	s_xor_b32 s1, exec_lo, s0
	s_cbranch_execz .LBB101_5
; %bb.4:                                ;   in Loop: Header=BB101_3 Depth=1
	s_add_u32 s4, s26, s29
	s_mov_b32 s2, s29
	s_mov_b32 s3, s29
	s_addc_u32 s5, s29, s29
	s_delay_alu instid0(SALU_CYCLE_1) | instskip(NEXT) | instid1(SALU_CYCLE_1)
	s_xor_b64 s[4:5], s[4:5], s[2:3]
	v_cvt_f32_u32_e32 v3, s4
	v_cvt_f32_u32_e32 v4, s5
	s_sub_u32 s0, 0, s4
	s_subb_u32 s6, 0, s5
	s_delay_alu instid0(VALU_DEP_1) | instskip(NEXT) | instid1(VALU_DEP_1)
	v_fmac_f32_e32 v3, 0x4f800000, v4
	v_rcp_f32_e32 v3, v3
	s_waitcnt_depctr 0xfff
	v_mul_f32_e32 v3, 0x5f7ffffc, v3
	s_delay_alu instid0(VALU_DEP_1) | instskip(NEXT) | instid1(VALU_DEP_1)
	v_mul_f32_e32 v4, 0x2f800000, v3
	v_trunc_f32_e32 v4, v4
	s_delay_alu instid0(VALU_DEP_1) | instskip(SKIP_1) | instid1(VALU_DEP_2)
	v_fmac_f32_e32 v3, 0xcf800000, v4
	v_cvt_u32_f32_e32 v4, v4
	v_cvt_u32_f32_e32 v3, v3
	s_delay_alu instid0(VALU_DEP_2) | instskip(NEXT) | instid1(VALU_DEP_2)
	v_mul_lo_u32 v5, s0, v4
	v_mul_hi_u32 v6, s0, v3
	v_mul_lo_u32 v7, s6, v3
	s_delay_alu instid0(VALU_DEP_2) | instskip(SKIP_1) | instid1(VALU_DEP_2)
	v_add_nc_u32_e32 v5, v6, v5
	v_mul_lo_u32 v6, s0, v3
	v_add_nc_u32_e32 v5, v5, v7
	s_delay_alu instid0(VALU_DEP_2) | instskip(NEXT) | instid1(VALU_DEP_2)
	v_mul_hi_u32 v7, v3, v6
	v_mul_lo_u32 v8, v3, v5
	v_mul_hi_u32 v9, v3, v5
	v_mul_hi_u32 v10, v4, v6
	v_mul_lo_u32 v6, v4, v6
	v_mul_hi_u32 v11, v4, v5
	v_mul_lo_u32 v5, v4, v5
	v_add_co_u32 v7, vcc_lo, v7, v8
	v_add_co_ci_u32_e32 v8, vcc_lo, 0, v9, vcc_lo
	s_delay_alu instid0(VALU_DEP_2) | instskip(NEXT) | instid1(VALU_DEP_2)
	v_add_co_u32 v6, vcc_lo, v7, v6
	v_add_co_ci_u32_e32 v6, vcc_lo, v8, v10, vcc_lo
	v_add_co_ci_u32_e32 v7, vcc_lo, 0, v11, vcc_lo
	v_ashrrev_i32_e32 v10, 31, v1
	s_delay_alu instid0(VALU_DEP_3) | instskip(NEXT) | instid1(VALU_DEP_3)
	v_add_co_u32 v5, vcc_lo, v6, v5
	v_add_co_ci_u32_e32 v6, vcc_lo, 0, v7, vcc_lo
	s_delay_alu instid0(VALU_DEP_2) | instskip(NEXT) | instid1(VALU_DEP_2)
	v_add_co_u32 v3, vcc_lo, v3, v5
	v_add_co_ci_u32_e32 v4, vcc_lo, v4, v6, vcc_lo
	s_delay_alu instid0(VALU_DEP_2) | instskip(SKIP_1) | instid1(VALU_DEP_3)
	v_mul_hi_u32 v5, s0, v3
	v_mul_lo_u32 v7, s6, v3
	v_mul_lo_u32 v6, s0, v4
	s_delay_alu instid0(VALU_DEP_1) | instskip(SKIP_1) | instid1(VALU_DEP_2)
	v_add_nc_u32_e32 v5, v5, v6
	v_mul_lo_u32 v6, s0, v3
	v_add_nc_u32_e32 v5, v5, v7
	s_delay_alu instid0(VALU_DEP_2) | instskip(NEXT) | instid1(VALU_DEP_2)
	v_mul_hi_u32 v7, v3, v6
	v_mul_lo_u32 v8, v3, v5
	v_mul_hi_u32 v9, v3, v5
	v_mul_hi_u32 v11, v4, v6
	v_mul_lo_u32 v6, v4, v6
	v_mul_hi_u32 v12, v4, v5
	v_mul_lo_u32 v5, v4, v5
	v_add_co_u32 v7, vcc_lo, v7, v8
	v_add_co_ci_u32_e32 v8, vcc_lo, 0, v9, vcc_lo
	s_delay_alu instid0(VALU_DEP_2) | instskip(NEXT) | instid1(VALU_DEP_2)
	v_add_co_u32 v6, vcc_lo, v7, v6
	v_add_co_ci_u32_e32 v6, vcc_lo, v8, v11, vcc_lo
	v_add_co_ci_u32_e32 v7, vcc_lo, 0, v12, vcc_lo
	v_add_co_u32 v8, vcc_lo, v0, v10
	v_add_co_ci_u32_e32 v9, vcc_lo, v1, v10, vcc_lo
	s_delay_alu instid0(VALU_DEP_4) | instskip(NEXT) | instid1(VALU_DEP_4)
	v_add_co_u32 v5, vcc_lo, v6, v5
	v_add_co_ci_u32_e32 v6, vcc_lo, 0, v7, vcc_lo
	s_delay_alu instid0(VALU_DEP_4) | instskip(NEXT) | instid1(VALU_DEP_3)
	v_xor_b32_e32 v11, v8, v10
	v_add_co_u32 v7, vcc_lo, v3, v5
	s_delay_alu instid0(VALU_DEP_3) | instskip(SKIP_1) | instid1(VALU_DEP_3)
	v_add_co_ci_u32_e32 v12, vcc_lo, v4, v6, vcc_lo
	v_xor_b32_e32 v9, v9, v10
	v_mul_hi_u32 v13, v11, v7
	s_delay_alu instid0(VALU_DEP_3) | instskip(NEXT) | instid1(VALU_DEP_3)
	v_mad_u64_u32 v[3:4], null, v11, v12, 0
	v_mad_u64_u32 v[5:6], null, v9, v7, 0
	;; [unrolled: 1-line block ×3, first 2 shown]
	s_delay_alu instid0(VALU_DEP_3) | instskip(NEXT) | instid1(VALU_DEP_4)
	v_add_co_u32 v3, vcc_lo, v13, v3
	v_add_co_ci_u32_e32 v4, vcc_lo, 0, v4, vcc_lo
	s_delay_alu instid0(VALU_DEP_2) | instskip(NEXT) | instid1(VALU_DEP_2)
	v_add_co_u32 v3, vcc_lo, v3, v5
	v_add_co_ci_u32_e32 v3, vcc_lo, v4, v6, vcc_lo
	v_add_co_ci_u32_e32 v4, vcc_lo, 0, v8, vcc_lo
	s_delay_alu instid0(VALU_DEP_2) | instskip(NEXT) | instid1(VALU_DEP_2)
	v_add_co_u32 v5, vcc_lo, v3, v7
	v_add_co_ci_u32_e32 v6, vcc_lo, 0, v4, vcc_lo
	s_delay_alu instid0(VALU_DEP_2) | instskip(SKIP_1) | instid1(VALU_DEP_3)
	v_mul_lo_u32 v7, s5, v5
	v_mad_u64_u32 v[3:4], null, s4, v5, 0
	v_mul_lo_u32 v8, s4, v6
	s_delay_alu instid0(VALU_DEP_2) | instskip(NEXT) | instid1(VALU_DEP_2)
	v_sub_co_u32 v3, vcc_lo, v11, v3
	v_add3_u32 v4, v4, v8, v7
	s_delay_alu instid0(VALU_DEP_1) | instskip(NEXT) | instid1(VALU_DEP_1)
	v_sub_nc_u32_e32 v7, v9, v4
	v_subrev_co_ci_u32_e64 v7, s0, s5, v7, vcc_lo
	v_add_co_u32 v8, s0, v5, 2
	s_delay_alu instid0(VALU_DEP_1) | instskip(SKIP_3) | instid1(VALU_DEP_3)
	v_add_co_ci_u32_e64 v11, s0, 0, v6, s0
	v_sub_co_u32 v12, s0, v3, s4
	v_sub_co_ci_u32_e32 v4, vcc_lo, v9, v4, vcc_lo
	v_subrev_co_ci_u32_e64 v7, s0, 0, v7, s0
	v_cmp_le_u32_e32 vcc_lo, s4, v12
	s_delay_alu instid0(VALU_DEP_3) | instskip(SKIP_1) | instid1(VALU_DEP_4)
	v_cmp_eq_u32_e64 s0, s5, v4
	v_cndmask_b32_e64 v9, 0, -1, vcc_lo
	v_cmp_le_u32_e32 vcc_lo, s5, v7
	v_cndmask_b32_e64 v12, 0, -1, vcc_lo
	v_cmp_le_u32_e32 vcc_lo, s4, v3
	v_cndmask_b32_e64 v3, 0, -1, vcc_lo
	v_cmp_le_u32_e32 vcc_lo, s5, v4
	v_cndmask_b32_e64 v13, 0, -1, vcc_lo
	v_cmp_eq_u32_e32 vcc_lo, s5, v7
	s_delay_alu instid0(VALU_DEP_2) | instskip(SKIP_3) | instid1(VALU_DEP_3)
	v_cndmask_b32_e64 v3, v13, v3, s0
	v_cndmask_b32_e32 v7, v12, v9, vcc_lo
	v_add_co_u32 v9, vcc_lo, v5, 1
	v_add_co_ci_u32_e32 v12, vcc_lo, 0, v6, vcc_lo
	v_cmp_ne_u32_e32 vcc_lo, 0, v7
	s_delay_alu instid0(VALU_DEP_2) | instskip(SKIP_2) | instid1(VALU_DEP_3)
	v_dual_cndmask_b32 v4, v12, v11 :: v_dual_cndmask_b32 v7, v9, v8
	v_cmp_ne_u32_e32 vcc_lo, 0, v3
	v_xor_b32_e32 v3, s2, v10
	v_dual_cndmask_b32 v5, v5, v7 :: v_dual_cndmask_b32 v4, v6, v4
	v_xor_b32_e32 v6, s3, v10
	s_delay_alu instid0(VALU_DEP_2) | instskip(NEXT) | instid1(VALU_DEP_2)
	v_xor_b32_e32 v5, v5, v3
	v_xor_b32_e32 v7, v4, v6
	s_delay_alu instid0(VALU_DEP_2) | instskip(NEXT) | instid1(VALU_DEP_2)
	v_sub_co_u32 v4, vcc_lo, v5, v3
	v_sub_co_ci_u32_e32 v5, vcc_lo, v7, v6, vcc_lo
.LBB101_5:                              ;   in Loop: Header=BB101_3 Depth=1
	s_and_not1_saveexec_b32 s0, s1
; %bb.6:                                ;   in Loop: Header=BB101_3 Depth=1
	v_mul_hi_u32 v3, v0, v18
	s_delay_alu instid0(VALU_DEP_1) | instskip(NEXT) | instid1(VALU_DEP_1)
	v_mul_lo_u32 v4, v3, s26
	v_sub_nc_u32_e32 v4, v0, v4
	s_delay_alu instid0(VALU_DEP_1) | instskip(SKIP_1) | instid1(VALU_DEP_2)
	v_subrev_nc_u32_e32 v6, s26, v4
	v_cmp_le_u32_e32 vcc_lo, s26, v4
	v_dual_cndmask_b32 v4, v4, v6 :: v_dual_add_nc_u32 v5, 1, v3
	s_delay_alu instid0(VALU_DEP_1) | instskip(NEXT) | instid1(VALU_DEP_2)
	v_cndmask_b32_e32 v3, v3, v5, vcc_lo
	v_cmp_le_u32_e32 vcc_lo, s26, v4
	s_delay_alu instid0(VALU_DEP_2) | instskip(NEXT) | instid1(VALU_DEP_1)
	v_add_nc_u32_e32 v5, 1, v3
	v_dual_cndmask_b32 v4, v3, v5 :: v_dual_mov_b32 v5, v2
; %bb.7:                                ;   in Loop: Header=BB101_3 Depth=1
	s_or_b32 exec_lo, exec_lo, s0
	s_delay_alu instid0(VALU_DEP_1) | instskip(SKIP_1) | instid1(VALU_DEP_1)
	v_or_b32_e32 v3, s30, v5
                                        ; implicit-def: $vgpr8_vgpr9
	s_mov_b32 s0, exec_lo
	v_cmpx_ne_u64_e32 0, v[2:3]
	s_xor_b32 s1, exec_lo, s0
	s_cbranch_execz .LBB101_9
; %bb.8:                                ;   in Loop: Header=BB101_3 Depth=1
	s_add_u32 s4, s40, s30
	s_mov_b32 s2, s30
	s_mov_b32 s3, s30
	s_addc_u32 s5, s30, s30
	s_delay_alu instid0(SALU_CYCLE_1) | instskip(NEXT) | instid1(SALU_CYCLE_1)
	s_xor_b64 s[4:5], s[4:5], s[2:3]
	v_cvt_f32_u32_e32 v3, s4
	v_cvt_f32_u32_e32 v6, s5
	s_sub_u32 s0, 0, s4
	s_subb_u32 s6, 0, s5
	s_delay_alu instid0(VALU_DEP_1) | instskip(NEXT) | instid1(VALU_DEP_1)
	v_fmac_f32_e32 v3, 0x4f800000, v6
	v_rcp_f32_e32 v3, v3
	s_waitcnt_depctr 0xfff
	v_mul_f32_e32 v3, 0x5f7ffffc, v3
	s_delay_alu instid0(VALU_DEP_1) | instskip(NEXT) | instid1(VALU_DEP_1)
	v_mul_f32_e32 v6, 0x2f800000, v3
	v_trunc_f32_e32 v6, v6
	s_delay_alu instid0(VALU_DEP_1) | instskip(SKIP_1) | instid1(VALU_DEP_2)
	v_fmac_f32_e32 v3, 0xcf800000, v6
	v_cvt_u32_f32_e32 v6, v6
	v_cvt_u32_f32_e32 v3, v3
	s_delay_alu instid0(VALU_DEP_2) | instskip(NEXT) | instid1(VALU_DEP_2)
	v_mul_lo_u32 v7, s0, v6
	v_mul_hi_u32 v8, s0, v3
	v_mul_lo_u32 v9, s6, v3
	s_delay_alu instid0(VALU_DEP_2) | instskip(SKIP_1) | instid1(VALU_DEP_2)
	v_add_nc_u32_e32 v7, v8, v7
	v_mul_lo_u32 v8, s0, v3
	v_add_nc_u32_e32 v7, v7, v9
	s_delay_alu instid0(VALU_DEP_2) | instskip(NEXT) | instid1(VALU_DEP_2)
	v_mul_hi_u32 v9, v3, v8
	v_mul_lo_u32 v10, v3, v7
	v_mul_hi_u32 v11, v3, v7
	v_mul_hi_u32 v12, v6, v8
	v_mul_lo_u32 v8, v6, v8
	v_mul_hi_u32 v13, v6, v7
	v_mul_lo_u32 v7, v6, v7
	v_add_co_u32 v9, vcc_lo, v9, v10
	v_add_co_ci_u32_e32 v10, vcc_lo, 0, v11, vcc_lo
	s_delay_alu instid0(VALU_DEP_2) | instskip(NEXT) | instid1(VALU_DEP_2)
	v_add_co_u32 v8, vcc_lo, v9, v8
	v_add_co_ci_u32_e32 v8, vcc_lo, v10, v12, vcc_lo
	v_add_co_ci_u32_e32 v9, vcc_lo, 0, v13, vcc_lo
	v_ashrrev_i32_e32 v12, 31, v5
	s_delay_alu instid0(VALU_DEP_3) | instskip(NEXT) | instid1(VALU_DEP_3)
	v_add_co_u32 v7, vcc_lo, v8, v7
	v_add_co_ci_u32_e32 v8, vcc_lo, 0, v9, vcc_lo
	s_delay_alu instid0(VALU_DEP_2) | instskip(NEXT) | instid1(VALU_DEP_2)
	v_add_co_u32 v3, vcc_lo, v3, v7
	v_add_co_ci_u32_e32 v6, vcc_lo, v6, v8, vcc_lo
	s_delay_alu instid0(VALU_DEP_2) | instskip(SKIP_1) | instid1(VALU_DEP_3)
	v_mul_hi_u32 v7, s0, v3
	v_mul_lo_u32 v9, s6, v3
	v_mul_lo_u32 v8, s0, v6
	s_delay_alu instid0(VALU_DEP_1) | instskip(SKIP_1) | instid1(VALU_DEP_2)
	v_add_nc_u32_e32 v7, v7, v8
	v_mul_lo_u32 v8, s0, v3
	v_add_nc_u32_e32 v7, v7, v9
	s_delay_alu instid0(VALU_DEP_2) | instskip(NEXT) | instid1(VALU_DEP_2)
	v_mul_hi_u32 v9, v3, v8
	v_mul_lo_u32 v10, v3, v7
	v_mul_hi_u32 v11, v3, v7
	v_mul_hi_u32 v13, v6, v8
	v_mul_lo_u32 v8, v6, v8
	v_mul_hi_u32 v14, v6, v7
	v_mul_lo_u32 v7, v6, v7
	v_add_co_u32 v9, vcc_lo, v9, v10
	v_add_co_ci_u32_e32 v10, vcc_lo, 0, v11, vcc_lo
	s_delay_alu instid0(VALU_DEP_2) | instskip(NEXT) | instid1(VALU_DEP_2)
	v_add_co_u32 v8, vcc_lo, v9, v8
	v_add_co_ci_u32_e32 v8, vcc_lo, v10, v13, vcc_lo
	v_add_co_ci_u32_e32 v9, vcc_lo, 0, v14, vcc_lo
	v_add_co_u32 v10, vcc_lo, v4, v12
	v_add_co_ci_u32_e32 v5, vcc_lo, v5, v12, vcc_lo
	s_delay_alu instid0(VALU_DEP_4) | instskip(NEXT) | instid1(VALU_DEP_4)
	v_add_co_u32 v7, vcc_lo, v8, v7
	v_add_co_ci_u32_e32 v8, vcc_lo, 0, v9, vcc_lo
	s_delay_alu instid0(VALU_DEP_4) | instskip(NEXT) | instid1(VALU_DEP_3)
	v_xor_b32_e32 v11, v10, v12
	v_add_co_u32 v3, vcc_lo, v3, v7
	s_delay_alu instid0(VALU_DEP_3) | instskip(SKIP_1) | instid1(VALU_DEP_3)
	v_add_co_ci_u32_e32 v13, vcc_lo, v6, v8, vcc_lo
	v_xor_b32_e32 v14, v5, v12
	v_mul_hi_u32 v15, v11, v3
	s_delay_alu instid0(VALU_DEP_3) | instskip(NEXT) | instid1(VALU_DEP_3)
	v_mad_u64_u32 v[5:6], null, v11, v13, 0
	v_mad_u64_u32 v[7:8], null, v14, v3, 0
	v_mad_u64_u32 v[9:10], null, v14, v13, 0
	s_delay_alu instid0(VALU_DEP_3) | instskip(NEXT) | instid1(VALU_DEP_4)
	v_add_co_u32 v3, vcc_lo, v15, v5
	v_add_co_ci_u32_e32 v5, vcc_lo, 0, v6, vcc_lo
	s_delay_alu instid0(VALU_DEP_2) | instskip(NEXT) | instid1(VALU_DEP_2)
	v_add_co_u32 v3, vcc_lo, v3, v7
	v_add_co_ci_u32_e32 v3, vcc_lo, v5, v8, vcc_lo
	v_add_co_ci_u32_e32 v5, vcc_lo, 0, v10, vcc_lo
	s_delay_alu instid0(VALU_DEP_2) | instskip(NEXT) | instid1(VALU_DEP_2)
	v_add_co_u32 v3, vcc_lo, v3, v9
	v_add_co_ci_u32_e32 v7, vcc_lo, 0, v5, vcc_lo
	s_delay_alu instid0(VALU_DEP_2) | instskip(SKIP_1) | instid1(VALU_DEP_3)
	v_mul_lo_u32 v8, s5, v3
	v_mad_u64_u32 v[5:6], null, s4, v3, 0
	v_mul_lo_u32 v9, s4, v7
	s_delay_alu instid0(VALU_DEP_2) | instskip(NEXT) | instid1(VALU_DEP_2)
	v_sub_co_u32 v5, vcc_lo, v11, v5
	v_add3_u32 v6, v6, v9, v8
	s_delay_alu instid0(VALU_DEP_1) | instskip(NEXT) | instid1(VALU_DEP_1)
	v_sub_nc_u32_e32 v8, v14, v6
	v_subrev_co_ci_u32_e64 v8, s0, s5, v8, vcc_lo
	v_add_co_u32 v9, s0, v3, 2
	s_delay_alu instid0(VALU_DEP_1) | instskip(SKIP_3) | instid1(VALU_DEP_3)
	v_add_co_ci_u32_e64 v10, s0, 0, v7, s0
	v_sub_co_u32 v11, s0, v5, s4
	v_sub_co_ci_u32_e32 v6, vcc_lo, v14, v6, vcc_lo
	v_subrev_co_ci_u32_e64 v8, s0, 0, v8, s0
	v_cmp_le_u32_e32 vcc_lo, s4, v11
	s_delay_alu instid0(VALU_DEP_3) | instskip(SKIP_1) | instid1(VALU_DEP_4)
	v_cmp_eq_u32_e64 s0, s5, v6
	v_cndmask_b32_e64 v11, 0, -1, vcc_lo
	v_cmp_le_u32_e32 vcc_lo, s5, v8
	v_cndmask_b32_e64 v13, 0, -1, vcc_lo
	v_cmp_le_u32_e32 vcc_lo, s4, v5
	;; [unrolled: 2-line block ×3, first 2 shown]
	v_cndmask_b32_e64 v14, 0, -1, vcc_lo
	v_cmp_eq_u32_e32 vcc_lo, s5, v8
	s_delay_alu instid0(VALU_DEP_2) | instskip(SKIP_3) | instid1(VALU_DEP_3)
	v_cndmask_b32_e64 v5, v14, v5, s0
	v_cndmask_b32_e32 v8, v13, v11, vcc_lo
	v_add_co_u32 v11, vcc_lo, v3, 1
	v_add_co_ci_u32_e32 v13, vcc_lo, 0, v7, vcc_lo
	v_cmp_ne_u32_e32 vcc_lo, 0, v8
	s_delay_alu instid0(VALU_DEP_3) | instskip(NEXT) | instid1(VALU_DEP_3)
	v_cndmask_b32_e32 v8, v11, v9, vcc_lo
	v_cndmask_b32_e32 v6, v13, v10, vcc_lo
	v_cmp_ne_u32_e32 vcc_lo, 0, v5
	v_xor_b32_e32 v5, s2, v12
	s_delay_alu instid0(VALU_DEP_4) | instskip(NEXT) | instid1(VALU_DEP_4)
	v_cndmask_b32_e32 v3, v3, v8, vcc_lo
	v_cndmask_b32_e32 v6, v7, v6, vcc_lo
	v_xor_b32_e32 v7, s3, v12
	s_delay_alu instid0(VALU_DEP_3) | instskip(NEXT) | instid1(VALU_DEP_2)
	v_xor_b32_e32 v3, v3, v5
	v_xor_b32_e32 v6, v6, v7
	s_delay_alu instid0(VALU_DEP_2) | instskip(NEXT) | instid1(VALU_DEP_2)
	v_sub_co_u32 v8, vcc_lo, v3, v5
	v_sub_co_ci_u32_e32 v9, vcc_lo, v6, v7, vcc_lo
.LBB101_9:                              ;   in Loop: Header=BB101_3 Depth=1
	s_and_not1_saveexec_b32 s0, s1
	s_cbranch_execz .LBB101_11
; %bb.10:                               ;   in Loop: Header=BB101_3 Depth=1
	v_cvt_f32_u32_e32 v3, s40
	s_sub_i32 s1, 0, s40
	v_mov_b32_e32 v9, v2
	s_delay_alu instid0(VALU_DEP_2) | instskip(SKIP_2) | instid1(VALU_DEP_1)
	v_rcp_iflag_f32_e32 v3, v3
	s_waitcnt_depctr 0xfff
	v_mul_f32_e32 v3, 0x4f7ffffe, v3
	v_cvt_u32_f32_e32 v3, v3
	s_delay_alu instid0(VALU_DEP_1) | instskip(NEXT) | instid1(VALU_DEP_1)
	v_mul_lo_u32 v5, s1, v3
	v_mul_hi_u32 v5, v3, v5
	s_delay_alu instid0(VALU_DEP_1) | instskip(NEXT) | instid1(VALU_DEP_1)
	v_add_nc_u32_e32 v3, v3, v5
	v_mul_hi_u32 v3, v4, v3
	s_delay_alu instid0(VALU_DEP_1) | instskip(SKIP_1) | instid1(VALU_DEP_2)
	v_mul_lo_u32 v5, v3, s40
	v_add_nc_u32_e32 v6, 1, v3
	v_sub_nc_u32_e32 v5, v4, v5
	s_delay_alu instid0(VALU_DEP_1) | instskip(SKIP_1) | instid1(VALU_DEP_4)
	v_cmp_le_u32_e32 vcc_lo, s40, v5
	v_subrev_nc_u32_e32 v7, s40, v5
	v_cndmask_b32_e32 v3, v3, v6, vcc_lo
	s_delay_alu instid0(VALU_DEP_1) | instskip(NEXT) | instid1(VALU_DEP_3)
	v_add_nc_u32_e32 v6, 1, v3
	v_cndmask_b32_e32 v5, v5, v7, vcc_lo
	s_delay_alu instid0(VALU_DEP_1) | instskip(NEXT) | instid1(VALU_DEP_3)
	v_cmp_le_u32_e32 vcc_lo, s40, v5
	v_cndmask_b32_e32 v8, v3, v6, vcc_lo
.LBB101_11:                             ;   in Loop: Header=BB101_3 Depth=1
	s_or_b32 exec_lo, exec_lo, s0
	v_mad_u64_u32 v[5:6], null, v4, s26, 0
	s_delay_alu instid0(VALU_DEP_2) | instskip(SKIP_1) | instid1(VALU_DEP_2)
	v_mad_u64_u32 v[6:7], null, v8, s40, 0
	s_and_not1_b32 vcc_lo, exec_lo, s39
	v_sub_co_u32 v19, null, v0, v5
	s_delay_alu instid0(VALU_DEP_2) | instskip(NEXT) | instid1(VALU_DEP_2)
	v_sub_co_u32 v20, null, v4, v6
	v_mul_lo_u32 v3, s15, v19
	v_mul_lo_u32 v10, s17, v19
	s_delay_alu instid0(VALU_DEP_2) | instskip(NEXT) | instid1(VALU_DEP_2)
	v_mad_u64_u32 v[6:7], null, s14, v20, v[3:4]
	v_mad_u64_u32 v[4:5], null, s16, v20, v[10:11]
	s_cbranch_vccnz .LBB101_40
; %bb.12:                               ;   in Loop: Header=BB101_3 Depth=1
	s_and_not1_b32 vcc_lo, exec_lo, s37
	s_mov_b32 s1, 1
	s_cbranch_vccnz .LBB101_20
; %bb.13:                               ;   in Loop: Header=BB101_3 Depth=1
	v_dual_mov_b32 v11, v9 :: v_dual_mov_b32 v10, v8
	s_mov_b32 s20, s34
.LBB101_14:                             ;   Parent Loop BB101_3 Depth=1
                                        ; =>  This Inner Loop Header: Depth=2
	s_delay_alu instid0(SALU_CYCLE_1)
	s_lshl_b64 s[4:5], s[20:21], 2
                                        ; implicit-def: $vgpr8_vgpr9
	s_mov_b32 s22, exec_lo
	s_add_u32 s2, s27, s4
	s_addc_u32 s3, s28, s5
	s_load_b32 s6, s[2:3], 0x8
	s_waitcnt lgkmcnt(0)
	s_ashr_i32 s0, s6, 31
	s_delay_alu instid0(SALU_CYCLE_1) | instskip(NEXT) | instid1(VALU_DEP_1)
	v_or_b32_e32 v3, s0, v11
	v_cmpx_ne_u64_e32 0, v[2:3]
	s_xor_b32 s44, exec_lo, s22
	s_cbranch_execz .LBB101_16
; %bb.15:                               ;   in Loop: Header=BB101_14 Depth=2
	s_add_u32 s24, s6, s0
	s_mov_b32 s22, s0
	s_mov_b32 s23, s0
	s_addc_u32 s25, s0, s0
	s_delay_alu instid0(SALU_CYCLE_1) | instskip(NEXT) | instid1(SALU_CYCLE_1)
	s_xor_b64 s[24:25], s[24:25], s[22:23]
	v_cvt_f32_u32_e32 v3, s24
	v_cvt_f32_u32_e32 v5, s25
	s_sub_u32 s0, 0, s24
	s_subb_u32 s45, 0, s25
	s_delay_alu instid0(VALU_DEP_1) | instskip(NEXT) | instid1(VALU_DEP_1)
	v_fmac_f32_e32 v3, 0x4f800000, v5
	v_rcp_f32_e32 v3, v3
	s_waitcnt_depctr 0xfff
	v_mul_f32_e32 v3, 0x5f7ffffc, v3
	s_delay_alu instid0(VALU_DEP_1) | instskip(NEXT) | instid1(VALU_DEP_1)
	v_mul_f32_e32 v5, 0x2f800000, v3
	v_trunc_f32_e32 v5, v5
	s_delay_alu instid0(VALU_DEP_1) | instskip(SKIP_1) | instid1(VALU_DEP_2)
	v_fmac_f32_e32 v3, 0xcf800000, v5
	v_cvt_u32_f32_e32 v5, v5
	v_cvt_u32_f32_e32 v3, v3
	s_delay_alu instid0(VALU_DEP_2) | instskip(NEXT) | instid1(VALU_DEP_2)
	v_mul_lo_u32 v7, s0, v5
	v_mul_hi_u32 v8, s0, v3
	v_mul_lo_u32 v9, s45, v3
	s_delay_alu instid0(VALU_DEP_2) | instskip(SKIP_1) | instid1(VALU_DEP_2)
	v_add_nc_u32_e32 v7, v8, v7
	v_mul_lo_u32 v8, s0, v3
	v_add_nc_u32_e32 v7, v7, v9
	s_delay_alu instid0(VALU_DEP_2) | instskip(NEXT) | instid1(VALU_DEP_2)
	v_mul_hi_u32 v9, v3, v8
	v_mul_lo_u32 v12, v3, v7
	v_mul_hi_u32 v13, v3, v7
	v_mul_hi_u32 v14, v5, v8
	v_mul_lo_u32 v8, v5, v8
	v_mul_hi_u32 v15, v5, v7
	v_mul_lo_u32 v7, v5, v7
	v_add_co_u32 v9, vcc_lo, v9, v12
	v_add_co_ci_u32_e32 v12, vcc_lo, 0, v13, vcc_lo
	s_delay_alu instid0(VALU_DEP_2) | instskip(NEXT) | instid1(VALU_DEP_2)
	v_add_co_u32 v8, vcc_lo, v9, v8
	v_add_co_ci_u32_e32 v8, vcc_lo, v12, v14, vcc_lo
	v_add_co_ci_u32_e32 v9, vcc_lo, 0, v15, vcc_lo
	v_ashrrev_i32_e32 v15, 31, v11
	s_delay_alu instid0(VALU_DEP_3) | instskip(NEXT) | instid1(VALU_DEP_3)
	v_add_co_u32 v7, vcc_lo, v8, v7
	v_add_co_ci_u32_e32 v8, vcc_lo, 0, v9, vcc_lo
	s_delay_alu instid0(VALU_DEP_2) | instskip(NEXT) | instid1(VALU_DEP_2)
	v_add_co_u32 v3, vcc_lo, v3, v7
	v_add_co_ci_u32_e32 v5, vcc_lo, v5, v8, vcc_lo
	s_delay_alu instid0(VALU_DEP_2) | instskip(SKIP_1) | instid1(VALU_DEP_3)
	v_mul_hi_u32 v7, s0, v3
	v_mul_lo_u32 v9, s45, v3
	v_mul_lo_u32 v8, s0, v5
	s_delay_alu instid0(VALU_DEP_1) | instskip(SKIP_1) | instid1(VALU_DEP_2)
	v_add_nc_u32_e32 v7, v7, v8
	v_mul_lo_u32 v8, s0, v3
	v_add_nc_u32_e32 v7, v7, v9
	s_delay_alu instid0(VALU_DEP_2) | instskip(NEXT) | instid1(VALU_DEP_2)
	v_mul_hi_u32 v9, v3, v8
	v_mul_lo_u32 v12, v3, v7
	v_mul_hi_u32 v13, v3, v7
	v_mul_hi_u32 v14, v5, v8
	v_mul_lo_u32 v8, v5, v8
	v_mul_hi_u32 v16, v5, v7
	v_mul_lo_u32 v7, v5, v7
	v_add_co_u32 v9, vcc_lo, v9, v12
	v_add_co_ci_u32_e32 v12, vcc_lo, 0, v13, vcc_lo
	s_delay_alu instid0(VALU_DEP_2) | instskip(NEXT) | instid1(VALU_DEP_2)
	v_add_co_u32 v8, vcc_lo, v9, v8
	v_add_co_ci_u32_e32 v8, vcc_lo, v12, v14, vcc_lo
	v_add_co_ci_u32_e32 v9, vcc_lo, 0, v16, vcc_lo
	v_add_co_u32 v12, vcc_lo, v10, v15
	v_add_co_ci_u32_e32 v11, vcc_lo, v11, v15, vcc_lo
	s_delay_alu instid0(VALU_DEP_4) | instskip(NEXT) | instid1(VALU_DEP_4)
	v_add_co_u32 v7, vcc_lo, v8, v7
	v_add_co_ci_u32_e32 v8, vcc_lo, 0, v9, vcc_lo
	s_delay_alu instid0(VALU_DEP_4) | instskip(NEXT) | instid1(VALU_DEP_3)
	v_xor_b32_e32 v9, v12, v15
	v_add_co_u32 v3, vcc_lo, v3, v7
	s_delay_alu instid0(VALU_DEP_3) | instskip(SKIP_1) | instid1(VALU_DEP_3)
	v_add_co_ci_u32_e32 v5, vcc_lo, v5, v8, vcc_lo
	v_xor_b32_e32 v16, v11, v15
	v_mul_hi_u32 v17, v9, v3
	s_delay_alu instid0(VALU_DEP_3) | instskip(NEXT) | instid1(VALU_DEP_3)
	v_mad_u64_u32 v[7:8], null, v9, v5, 0
	v_mad_u64_u32 v[11:12], null, v16, v3, 0
	;; [unrolled: 1-line block ×3, first 2 shown]
	s_delay_alu instid0(VALU_DEP_3) | instskip(NEXT) | instid1(VALU_DEP_4)
	v_add_co_u32 v3, vcc_lo, v17, v7
	v_add_co_ci_u32_e32 v5, vcc_lo, 0, v8, vcc_lo
	s_delay_alu instid0(VALU_DEP_2) | instskip(NEXT) | instid1(VALU_DEP_2)
	v_add_co_u32 v3, vcc_lo, v3, v11
	v_add_co_ci_u32_e32 v3, vcc_lo, v5, v12, vcc_lo
	v_add_co_ci_u32_e32 v5, vcc_lo, 0, v14, vcc_lo
	s_delay_alu instid0(VALU_DEP_2) | instskip(NEXT) | instid1(VALU_DEP_2)
	v_add_co_u32 v3, vcc_lo, v3, v13
	v_add_co_ci_u32_e32 v5, vcc_lo, 0, v5, vcc_lo
	s_delay_alu instid0(VALU_DEP_2) | instskip(SKIP_1) | instid1(VALU_DEP_3)
	v_mul_lo_u32 v11, s25, v3
	v_mad_u64_u32 v[7:8], null, s24, v3, 0
	v_mul_lo_u32 v12, s24, v5
	s_delay_alu instid0(VALU_DEP_2) | instskip(NEXT) | instid1(VALU_DEP_2)
	v_sub_co_u32 v7, vcc_lo, v9, v7
	v_add3_u32 v8, v8, v12, v11
	s_delay_alu instid0(VALU_DEP_1) | instskip(NEXT) | instid1(VALU_DEP_1)
	v_sub_nc_u32_e32 v11, v16, v8
	v_subrev_co_ci_u32_e64 v9, s0, s25, v11, vcc_lo
	v_add_co_u32 v11, s0, v3, 2
	s_delay_alu instid0(VALU_DEP_1) | instskip(SKIP_3) | instid1(VALU_DEP_3)
	v_add_co_ci_u32_e64 v12, s0, 0, v5, s0
	v_sub_co_u32 v13, s0, v7, s24
	v_sub_co_ci_u32_e32 v8, vcc_lo, v16, v8, vcc_lo
	v_subrev_co_ci_u32_e64 v9, s0, 0, v9, s0
	v_cmp_le_u32_e32 vcc_lo, s24, v13
	s_delay_alu instid0(VALU_DEP_3) | instskip(SKIP_1) | instid1(VALU_DEP_4)
	v_cmp_eq_u32_e64 s0, s25, v8
	v_cndmask_b32_e64 v13, 0, -1, vcc_lo
	v_cmp_le_u32_e32 vcc_lo, s25, v9
	v_cndmask_b32_e64 v14, 0, -1, vcc_lo
	v_cmp_le_u32_e32 vcc_lo, s24, v7
	;; [unrolled: 2-line block ×3, first 2 shown]
	v_cndmask_b32_e64 v16, 0, -1, vcc_lo
	v_cmp_eq_u32_e32 vcc_lo, s25, v9
	s_delay_alu instid0(VALU_DEP_2) | instskip(SKIP_3) | instid1(VALU_DEP_3)
	v_cndmask_b32_e64 v7, v16, v7, s0
	v_cndmask_b32_e32 v9, v14, v13, vcc_lo
	v_add_co_u32 v13, vcc_lo, v3, 1
	v_add_co_ci_u32_e32 v14, vcc_lo, 0, v5, vcc_lo
	v_cmp_ne_u32_e32 vcc_lo, 0, v9
	s_delay_alu instid0(VALU_DEP_2) | instskip(SKIP_2) | instid1(VALU_DEP_3)
	v_dual_cndmask_b32 v8, v14, v12 :: v_dual_cndmask_b32 v9, v13, v11
	v_cmp_ne_u32_e32 vcc_lo, 0, v7
	v_xor_b32_e32 v7, s22, v15
	v_cndmask_b32_e32 v3, v3, v9, vcc_lo
	s_delay_alu instid0(VALU_DEP_4) | instskip(SKIP_1) | instid1(VALU_DEP_3)
	v_cndmask_b32_e32 v5, v5, v8, vcc_lo
	v_xor_b32_e32 v9, s23, v15
	v_xor_b32_e32 v3, v3, v7
	s_delay_alu instid0(VALU_DEP_2) | instskip(NEXT) | instid1(VALU_DEP_2)
	v_xor_b32_e32 v5, v5, v9
	v_sub_co_u32 v8, vcc_lo, v3, v7
	s_delay_alu instid0(VALU_DEP_2)
	v_sub_co_ci_u32_e32 v9, vcc_lo, v5, v9, vcc_lo
.LBB101_16:                             ;   in Loop: Header=BB101_14 Depth=2
	s_and_not1_saveexec_b32 s0, s44
	s_cbranch_execz .LBB101_18
; %bb.17:                               ;   in Loop: Header=BB101_14 Depth=2
	v_cvt_f32_u32_e32 v3, s6
	s_sub_i32 s22, 0, s6
	v_mov_b32_e32 v9, v2
	s_delay_alu instid0(VALU_DEP_2) | instskip(SKIP_2) | instid1(VALU_DEP_1)
	v_rcp_iflag_f32_e32 v3, v3
	s_waitcnt_depctr 0xfff
	v_mul_f32_e32 v3, 0x4f7ffffe, v3
	v_cvt_u32_f32_e32 v3, v3
	s_delay_alu instid0(VALU_DEP_1) | instskip(NEXT) | instid1(VALU_DEP_1)
	v_mul_lo_u32 v5, s22, v3
	v_mul_hi_u32 v5, v3, v5
	s_delay_alu instid0(VALU_DEP_1) | instskip(NEXT) | instid1(VALU_DEP_1)
	v_add_nc_u32_e32 v3, v3, v5
	v_mul_hi_u32 v3, v10, v3
	s_delay_alu instid0(VALU_DEP_1) | instskip(SKIP_1) | instid1(VALU_DEP_2)
	v_mul_lo_u32 v5, v3, s6
	v_add_nc_u32_e32 v7, 1, v3
	v_sub_nc_u32_e32 v5, v10, v5
	s_delay_alu instid0(VALU_DEP_1) | instskip(SKIP_1) | instid1(VALU_DEP_4)
	v_cmp_le_u32_e32 vcc_lo, s6, v5
	v_subrev_nc_u32_e32 v8, s6, v5
	v_cndmask_b32_e32 v3, v3, v7, vcc_lo
	s_delay_alu instid0(VALU_DEP_1) | instskip(NEXT) | instid1(VALU_DEP_3)
	v_add_nc_u32_e32 v7, 1, v3
	v_cndmask_b32_e32 v5, v5, v8, vcc_lo
	s_delay_alu instid0(VALU_DEP_1) | instskip(NEXT) | instid1(VALU_DEP_3)
	v_cmp_le_u32_e32 vcc_lo, s6, v5
	v_cndmask_b32_e32 v8, v3, v7, vcc_lo
.LBB101_18:                             ;   in Loop: Header=BB101_14 Depth=2
	s_or_b32 exec_lo, exec_lo, s0
	s_add_u32 s4, s31, s4
	s_addc_u32 s5, s33, s5
	s_clause 0x1
	s_load_b32 s0, s[2:3], 0x6c
	s_load_b32 s2, s[4:5], 0x0
	v_mul_lo_u32 v3, v8, s6
	s_add_i32 s20, s20, -1
	s_delay_alu instid0(VALU_DEP_1) | instskip(SKIP_1) | instid1(VALU_DEP_1)
	v_sub_nc_u32_e32 v3, v10, v3
	s_waitcnt lgkmcnt(0)
	v_mad_u64_u32 v[10:11], null, s0, v3, v[6:7]
	v_mad_u64_u32 v[5:6], null, s2, v3, v[4:5]
	s_xor_b32 s0, s35, s1
	s_add_i32 s1, s1, 1
	s_cmp_lg_u32 s0, 2
	s_delay_alu instid0(VALU_DEP_2) | instskip(NEXT) | instid1(VALU_DEP_2)
	v_mov_b32_e32 v6, v10
	v_mov_b32_e32 v4, v5
	s_cbranch_scc0 .LBB101_21
; %bb.19:                               ;   in Loop: Header=BB101_14 Depth=2
	v_dual_mov_b32 v11, v9 :: v_dual_mov_b32 v10, v8
	s_branch .LBB101_14
.LBB101_20:                             ;   in Loop: Header=BB101_3 Depth=1
	s_mov_b32 s20, s34
.LBB101_21:                             ;   in Loop: Header=BB101_3 Depth=1
	s_and_b32 vcc_lo, exec_lo, s38
	s_cbranch_vccz .LBB101_40
.LBB101_22:                             ;   Parent Loop BB101_3 Depth=1
                                        ; =>  This Inner Loop Header: Depth=2
	s_lshl_b64 s[2:3], s[20:21], 2
	s_mov_b32 s6, exec_lo
	s_add_u32 s4, s27, s2
	s_addc_u32 s5, s28, s3
                                        ; implicit-def: $vgpr10_vgpr11
	s_load_b32 s1, s[4:5], 0x8
	s_waitcnt lgkmcnt(0)
	s_ashr_i32 s0, s1, 31
	s_delay_alu instid0(SALU_CYCLE_1) | instskip(NEXT) | instid1(VALU_DEP_1)
	v_or_b32_e32 v3, s0, v9
	v_cmpx_ne_u64_e32 0, v[2:3]
	s_xor_b32 s6, exec_lo, s6
	s_cbranch_execz .LBB101_24
; %bb.23:                               ;   in Loop: Header=BB101_22 Depth=2
	s_add_u32 s24, s1, s0
	s_mov_b32 s22, s0
	s_mov_b32 s23, s0
	s_addc_u32 s25, s0, s0
	s_delay_alu instid0(SALU_CYCLE_1) | instskip(NEXT) | instid1(SALU_CYCLE_1)
	s_xor_b64 s[24:25], s[24:25], s[22:23]
	v_cvt_f32_u32_e32 v3, s24
	v_cvt_f32_u32_e32 v5, s25
	s_sub_u32 s0, 0, s24
	s_subb_u32 s44, 0, s25
	s_delay_alu instid0(VALU_DEP_1) | instskip(NEXT) | instid1(VALU_DEP_1)
	v_fmac_f32_e32 v3, 0x4f800000, v5
	v_rcp_f32_e32 v3, v3
	s_waitcnt_depctr 0xfff
	v_mul_f32_e32 v3, 0x5f7ffffc, v3
	s_delay_alu instid0(VALU_DEP_1) | instskip(NEXT) | instid1(VALU_DEP_1)
	v_mul_f32_e32 v5, 0x2f800000, v3
	v_trunc_f32_e32 v5, v5
	s_delay_alu instid0(VALU_DEP_1) | instskip(SKIP_1) | instid1(VALU_DEP_2)
	v_fmac_f32_e32 v3, 0xcf800000, v5
	v_cvt_u32_f32_e32 v5, v5
	v_cvt_u32_f32_e32 v3, v3
	s_delay_alu instid0(VALU_DEP_2) | instskip(NEXT) | instid1(VALU_DEP_2)
	v_mul_lo_u32 v7, s0, v5
	v_mul_hi_u32 v10, s0, v3
	v_mul_lo_u32 v11, s44, v3
	s_delay_alu instid0(VALU_DEP_2) | instskip(SKIP_1) | instid1(VALU_DEP_2)
	v_add_nc_u32_e32 v7, v10, v7
	v_mul_lo_u32 v10, s0, v3
	v_add_nc_u32_e32 v7, v7, v11
	s_delay_alu instid0(VALU_DEP_2) | instskip(NEXT) | instid1(VALU_DEP_2)
	v_mul_hi_u32 v11, v3, v10
	v_mul_lo_u32 v12, v3, v7
	v_mul_hi_u32 v13, v3, v7
	v_mul_hi_u32 v14, v5, v10
	v_mul_lo_u32 v10, v5, v10
	v_mul_hi_u32 v15, v5, v7
	v_mul_lo_u32 v7, v5, v7
	v_add_co_u32 v11, vcc_lo, v11, v12
	v_add_co_ci_u32_e32 v12, vcc_lo, 0, v13, vcc_lo
	s_delay_alu instid0(VALU_DEP_2) | instskip(NEXT) | instid1(VALU_DEP_2)
	v_add_co_u32 v10, vcc_lo, v11, v10
	v_add_co_ci_u32_e32 v10, vcc_lo, v12, v14, vcc_lo
	v_add_co_ci_u32_e32 v11, vcc_lo, 0, v15, vcc_lo
	v_ashrrev_i32_e32 v15, 31, v9
	s_delay_alu instid0(VALU_DEP_3) | instskip(NEXT) | instid1(VALU_DEP_3)
	v_add_co_u32 v7, vcc_lo, v10, v7
	v_add_co_ci_u32_e32 v10, vcc_lo, 0, v11, vcc_lo
	s_delay_alu instid0(VALU_DEP_2) | instskip(NEXT) | instid1(VALU_DEP_2)
	v_add_co_u32 v3, vcc_lo, v3, v7
	v_add_co_ci_u32_e32 v5, vcc_lo, v5, v10, vcc_lo
	s_delay_alu instid0(VALU_DEP_2) | instskip(SKIP_1) | instid1(VALU_DEP_3)
	v_mul_hi_u32 v7, s0, v3
	v_mul_lo_u32 v11, s44, v3
	v_mul_lo_u32 v10, s0, v5
	s_delay_alu instid0(VALU_DEP_1) | instskip(SKIP_1) | instid1(VALU_DEP_2)
	v_add_nc_u32_e32 v7, v7, v10
	v_mul_lo_u32 v10, s0, v3
	v_add_nc_u32_e32 v7, v7, v11
	s_delay_alu instid0(VALU_DEP_2) | instskip(NEXT) | instid1(VALU_DEP_2)
	v_mul_hi_u32 v11, v3, v10
	v_mul_lo_u32 v12, v3, v7
	v_mul_hi_u32 v13, v3, v7
	v_mul_hi_u32 v14, v5, v10
	v_mul_lo_u32 v10, v5, v10
	v_mul_hi_u32 v16, v5, v7
	v_mul_lo_u32 v7, v5, v7
	v_add_co_u32 v11, vcc_lo, v11, v12
	v_add_co_ci_u32_e32 v12, vcc_lo, 0, v13, vcc_lo
	s_delay_alu instid0(VALU_DEP_2) | instskip(NEXT) | instid1(VALU_DEP_2)
	v_add_co_u32 v10, vcc_lo, v11, v10
	v_add_co_ci_u32_e32 v10, vcc_lo, v12, v14, vcc_lo
	v_add_co_ci_u32_e32 v11, vcc_lo, 0, v16, vcc_lo
	v_add_co_u32 v12, vcc_lo, v8, v15
	v_add_co_ci_u32_e32 v9, vcc_lo, v9, v15, vcc_lo
	s_delay_alu instid0(VALU_DEP_4) | instskip(NEXT) | instid1(VALU_DEP_4)
	v_add_co_u32 v7, vcc_lo, v10, v7
	v_add_co_ci_u32_e32 v10, vcc_lo, 0, v11, vcc_lo
	s_delay_alu instid0(VALU_DEP_4) | instskip(NEXT) | instid1(VALU_DEP_3)
	v_xor_b32_e32 v16, v12, v15
	v_add_co_u32 v3, vcc_lo, v3, v7
	s_delay_alu instid0(VALU_DEP_3) | instskip(SKIP_1) | instid1(VALU_DEP_3)
	v_add_co_ci_u32_e32 v5, vcc_lo, v5, v10, vcc_lo
	v_xor_b32_e32 v7, v9, v15
	v_mul_hi_u32 v17, v16, v3
	s_delay_alu instid0(VALU_DEP_3) | instskip(NEXT) | instid1(VALU_DEP_3)
	v_mad_u64_u32 v[9:10], null, v16, v5, 0
	v_mad_u64_u32 v[11:12], null, v7, v3, 0
	;; [unrolled: 1-line block ×3, first 2 shown]
	s_delay_alu instid0(VALU_DEP_3) | instskip(NEXT) | instid1(VALU_DEP_4)
	v_add_co_u32 v3, vcc_lo, v17, v9
	v_add_co_ci_u32_e32 v5, vcc_lo, 0, v10, vcc_lo
	s_delay_alu instid0(VALU_DEP_2) | instskip(NEXT) | instid1(VALU_DEP_2)
	v_add_co_u32 v3, vcc_lo, v3, v11
	v_add_co_ci_u32_e32 v3, vcc_lo, v5, v12, vcc_lo
	v_add_co_ci_u32_e32 v5, vcc_lo, 0, v14, vcc_lo
	s_delay_alu instid0(VALU_DEP_2) | instskip(NEXT) | instid1(VALU_DEP_2)
	v_add_co_u32 v3, vcc_lo, v3, v13
	v_add_co_ci_u32_e32 v5, vcc_lo, 0, v5, vcc_lo
	s_delay_alu instid0(VALU_DEP_2) | instskip(SKIP_1) | instid1(VALU_DEP_3)
	v_mul_lo_u32 v11, s25, v3
	v_mad_u64_u32 v[9:10], null, s24, v3, 0
	v_mul_lo_u32 v12, s24, v5
	s_delay_alu instid0(VALU_DEP_2) | instskip(NEXT) | instid1(VALU_DEP_2)
	v_sub_co_u32 v9, vcc_lo, v16, v9
	v_add3_u32 v10, v10, v12, v11
	s_delay_alu instid0(VALU_DEP_1) | instskip(NEXT) | instid1(VALU_DEP_1)
	v_sub_nc_u32_e32 v11, v7, v10
	v_subrev_co_ci_u32_e64 v11, s0, s25, v11, vcc_lo
	v_add_co_u32 v12, s0, v3, 2
	s_delay_alu instid0(VALU_DEP_1) | instskip(SKIP_3) | instid1(VALU_DEP_3)
	v_add_co_ci_u32_e64 v13, s0, 0, v5, s0
	v_sub_co_u32 v14, s0, v9, s24
	v_sub_co_ci_u32_e32 v7, vcc_lo, v7, v10, vcc_lo
	v_subrev_co_ci_u32_e64 v11, s0, 0, v11, s0
	v_cmp_le_u32_e32 vcc_lo, s24, v14
	s_delay_alu instid0(VALU_DEP_3) | instskip(SKIP_1) | instid1(VALU_DEP_4)
	v_cmp_eq_u32_e64 s0, s25, v7
	v_cndmask_b32_e64 v10, 0, -1, vcc_lo
	v_cmp_le_u32_e32 vcc_lo, s25, v11
	v_cndmask_b32_e64 v14, 0, -1, vcc_lo
	v_cmp_le_u32_e32 vcc_lo, s24, v9
	;; [unrolled: 2-line block ×3, first 2 shown]
	v_cndmask_b32_e64 v16, 0, -1, vcc_lo
	v_cmp_eq_u32_e32 vcc_lo, s25, v11
	s_delay_alu instid0(VALU_DEP_2) | instskip(SKIP_3) | instid1(VALU_DEP_3)
	v_cndmask_b32_e64 v7, v16, v9, s0
	v_cndmask_b32_e32 v10, v14, v10, vcc_lo
	v_add_co_u32 v11, vcc_lo, v3, 1
	v_add_co_ci_u32_e32 v14, vcc_lo, 0, v5, vcc_lo
	v_cmp_ne_u32_e32 vcc_lo, 0, v10
	s_delay_alu instid0(VALU_DEP_2) | instskip(SKIP_2) | instid1(VALU_DEP_3)
	v_dual_cndmask_b32 v10, v11, v12 :: v_dual_cndmask_b32 v9, v14, v13
	v_cmp_ne_u32_e32 vcc_lo, 0, v7
	v_xor_b32_e32 v7, s22, v15
	v_cndmask_b32_e32 v3, v3, v10, vcc_lo
	s_delay_alu instid0(VALU_DEP_4) | instskip(SKIP_1) | instid1(VALU_DEP_3)
	v_cndmask_b32_e32 v5, v5, v9, vcc_lo
	v_xor_b32_e32 v9, s23, v15
	v_xor_b32_e32 v3, v3, v7
	s_delay_alu instid0(VALU_DEP_2) | instskip(NEXT) | instid1(VALU_DEP_2)
	v_xor_b32_e32 v5, v5, v9
	v_sub_co_u32 v10, vcc_lo, v3, v7
	s_delay_alu instid0(VALU_DEP_2)
	v_sub_co_ci_u32_e32 v11, vcc_lo, v5, v9, vcc_lo
.LBB101_24:                             ;   in Loop: Header=BB101_22 Depth=2
	s_and_not1_saveexec_b32 s0, s6
	s_cbranch_execz .LBB101_26
; %bb.25:                               ;   in Loop: Header=BB101_22 Depth=2
	v_cvt_f32_u32_e32 v3, s1
	s_sub_i32 s6, 0, s1
	v_mov_b32_e32 v11, v2
	s_delay_alu instid0(VALU_DEP_2) | instskip(SKIP_2) | instid1(VALU_DEP_1)
	v_rcp_iflag_f32_e32 v3, v3
	s_waitcnt_depctr 0xfff
	v_mul_f32_e32 v3, 0x4f7ffffe, v3
	v_cvt_u32_f32_e32 v3, v3
	s_delay_alu instid0(VALU_DEP_1) | instskip(NEXT) | instid1(VALU_DEP_1)
	v_mul_lo_u32 v5, s6, v3
	v_mul_hi_u32 v5, v3, v5
	s_delay_alu instid0(VALU_DEP_1) | instskip(NEXT) | instid1(VALU_DEP_1)
	v_add_nc_u32_e32 v3, v3, v5
	v_mul_hi_u32 v3, v8, v3
	s_delay_alu instid0(VALU_DEP_1) | instskip(SKIP_1) | instid1(VALU_DEP_2)
	v_mul_lo_u32 v5, v3, s1
	v_add_nc_u32_e32 v7, 1, v3
	v_sub_nc_u32_e32 v5, v8, v5
	s_delay_alu instid0(VALU_DEP_1) | instskip(SKIP_1) | instid1(VALU_DEP_4)
	v_cmp_le_u32_e32 vcc_lo, s1, v5
	v_subrev_nc_u32_e32 v9, s1, v5
	v_cndmask_b32_e32 v3, v3, v7, vcc_lo
	s_delay_alu instid0(VALU_DEP_1) | instskip(NEXT) | instid1(VALU_DEP_3)
	v_add_nc_u32_e32 v7, 1, v3
	v_cndmask_b32_e32 v5, v5, v9, vcc_lo
	s_delay_alu instid0(VALU_DEP_1) | instskip(NEXT) | instid1(VALU_DEP_3)
	v_cmp_le_u32_e32 vcc_lo, s1, v5
	v_cndmask_b32_e32 v10, v3, v7, vcc_lo
.LBB101_26:                             ;   in Loop: Header=BB101_22 Depth=2
	s_or_b32 exec_lo, exec_lo, s0
	s_add_u32 s24, s31, s2
	s_addc_u32 s25, s33, s3
	s_add_i32 s2, s20, -1
	s_mov_b32 s3, s21
                                        ; implicit-def: $vgpr12_vgpr13
	s_delay_alu instid0(SALU_CYCLE_1) | instskip(NEXT) | instid1(SALU_CYCLE_1)
	s_lshl_b64 s[22:23], s[2:3], 2
	s_add_u32 s2, s27, s22
	s_addc_u32 s3, s28, s23
	s_clause 0x2
	s_load_b32 s45, s[2:3], 0x8
	s_load_b32 s6, s[4:5], 0x6c
	;; [unrolled: 1-line block ×3, first 2 shown]
	s_mov_b32 s4, exec_lo
	s_waitcnt lgkmcnt(0)
	s_ashr_i32 s0, s45, 31
	s_delay_alu instid0(SALU_CYCLE_1) | instskip(NEXT) | instid1(VALU_DEP_1)
	v_or_b32_e32 v3, s0, v11
	v_cmpx_ne_u64_e32 0, v[2:3]
	s_xor_b32 s46, exec_lo, s4
	s_cbranch_execz .LBB101_28
; %bb.27:                               ;   in Loop: Header=BB101_22 Depth=2
	s_add_u32 s24, s45, s0
	s_mov_b32 s4, s0
	s_mov_b32 s5, s0
	s_addc_u32 s25, s0, s0
	v_ashrrev_i32_e32 v17, 31, v11
	s_xor_b64 s[24:25], s[24:25], s[4:5]
	s_delay_alu instid0(SALU_CYCLE_1) | instskip(SKIP_3) | instid1(VALU_DEP_1)
	v_cvt_f32_u32_e32 v3, s24
	v_cvt_f32_u32_e32 v5, s25
	s_sub_u32 s0, 0, s24
	s_subb_u32 s47, 0, s25
	v_fmac_f32_e32 v3, 0x4f800000, v5
	s_delay_alu instid0(VALU_DEP_1) | instskip(SKIP_2) | instid1(VALU_DEP_1)
	v_rcp_f32_e32 v3, v3
	s_waitcnt_depctr 0xfff
	v_mul_f32_e32 v3, 0x5f7ffffc, v3
	v_mul_f32_e32 v5, 0x2f800000, v3
	s_delay_alu instid0(VALU_DEP_1) | instskip(NEXT) | instid1(VALU_DEP_1)
	v_trunc_f32_e32 v5, v5
	v_fmac_f32_e32 v3, 0xcf800000, v5
	v_cvt_u32_f32_e32 v5, v5
	s_delay_alu instid0(VALU_DEP_2) | instskip(NEXT) | instid1(VALU_DEP_2)
	v_cvt_u32_f32_e32 v3, v3
	v_mul_lo_u32 v7, s0, v5
	s_delay_alu instid0(VALU_DEP_2) | instskip(SKIP_1) | instid1(VALU_DEP_2)
	v_mul_hi_u32 v9, s0, v3
	v_mul_lo_u32 v12, s47, v3
	v_add_nc_u32_e32 v7, v9, v7
	v_mul_lo_u32 v9, s0, v3
	s_delay_alu instid0(VALU_DEP_2) | instskip(NEXT) | instid1(VALU_DEP_2)
	v_add_nc_u32_e32 v7, v7, v12
	v_mul_hi_u32 v12, v3, v9
	s_delay_alu instid0(VALU_DEP_2)
	v_mul_lo_u32 v13, v3, v7
	v_mul_hi_u32 v14, v3, v7
	v_mul_hi_u32 v15, v5, v9
	v_mul_lo_u32 v9, v5, v9
	v_mul_hi_u32 v16, v5, v7
	v_mul_lo_u32 v7, v5, v7
	v_add_co_u32 v12, vcc_lo, v12, v13
	v_add_co_ci_u32_e32 v13, vcc_lo, 0, v14, vcc_lo
	s_delay_alu instid0(VALU_DEP_2) | instskip(NEXT) | instid1(VALU_DEP_2)
	v_add_co_u32 v9, vcc_lo, v12, v9
	v_add_co_ci_u32_e32 v9, vcc_lo, v13, v15, vcc_lo
	v_add_co_ci_u32_e32 v12, vcc_lo, 0, v16, vcc_lo
	s_delay_alu instid0(VALU_DEP_2) | instskip(NEXT) | instid1(VALU_DEP_2)
	v_add_co_u32 v7, vcc_lo, v9, v7
	v_add_co_ci_u32_e32 v9, vcc_lo, 0, v12, vcc_lo
	s_delay_alu instid0(VALU_DEP_2) | instskip(NEXT) | instid1(VALU_DEP_2)
	v_add_co_u32 v3, vcc_lo, v3, v7
	v_add_co_ci_u32_e32 v5, vcc_lo, v5, v9, vcc_lo
	s_delay_alu instid0(VALU_DEP_2) | instskip(SKIP_1) | instid1(VALU_DEP_3)
	v_mul_hi_u32 v7, s0, v3
	v_mul_lo_u32 v12, s47, v3
	v_mul_lo_u32 v9, s0, v5
	s_delay_alu instid0(VALU_DEP_1) | instskip(SKIP_1) | instid1(VALU_DEP_2)
	v_add_nc_u32_e32 v7, v7, v9
	v_mul_lo_u32 v9, s0, v3
	v_add_nc_u32_e32 v7, v7, v12
	s_delay_alu instid0(VALU_DEP_2) | instskip(NEXT) | instid1(VALU_DEP_2)
	v_mul_hi_u32 v12, v3, v9
	v_mul_lo_u32 v13, v3, v7
	v_mul_hi_u32 v14, v3, v7
	v_mul_hi_u32 v15, v5, v9
	v_mul_lo_u32 v9, v5, v9
	v_mul_hi_u32 v16, v5, v7
	v_mul_lo_u32 v7, v5, v7
	v_add_co_u32 v12, vcc_lo, v12, v13
	v_add_co_ci_u32_e32 v13, vcc_lo, 0, v14, vcc_lo
	s_delay_alu instid0(VALU_DEP_2) | instskip(NEXT) | instid1(VALU_DEP_2)
	v_add_co_u32 v9, vcc_lo, v12, v9
	v_add_co_ci_u32_e32 v9, vcc_lo, v13, v15, vcc_lo
	v_add_co_ci_u32_e32 v12, vcc_lo, 0, v16, vcc_lo
	v_add_co_u32 v13, vcc_lo, v10, v17
	v_add_co_ci_u32_e32 v11, vcc_lo, v11, v17, vcc_lo
	s_delay_alu instid0(VALU_DEP_4) | instskip(NEXT) | instid1(VALU_DEP_4)
	v_add_co_u32 v7, vcc_lo, v9, v7
	v_add_co_ci_u32_e32 v9, vcc_lo, 0, v12, vcc_lo
	s_delay_alu instid0(VALU_DEP_4) | instskip(NEXT) | instid1(VALU_DEP_3)
	v_xor_b32_e32 v21, v13, v17
	v_add_co_u32 v3, vcc_lo, v3, v7
	s_delay_alu instid0(VALU_DEP_3) | instskip(SKIP_1) | instid1(VALU_DEP_3)
	v_add_co_ci_u32_e32 v5, vcc_lo, v5, v9, vcc_lo
	v_xor_b32_e32 v7, v11, v17
	v_mul_hi_u32 v9, v21, v3
	s_delay_alu instid0(VALU_DEP_3) | instskip(NEXT) | instid1(VALU_DEP_3)
	v_mad_u64_u32 v[11:12], null, v21, v5, 0
	v_mad_u64_u32 v[13:14], null, v7, v3, 0
	;; [unrolled: 1-line block ×3, first 2 shown]
	s_delay_alu instid0(VALU_DEP_3) | instskip(NEXT) | instid1(VALU_DEP_4)
	v_add_co_u32 v3, vcc_lo, v9, v11
	v_add_co_ci_u32_e32 v5, vcc_lo, 0, v12, vcc_lo
	s_delay_alu instid0(VALU_DEP_2) | instskip(NEXT) | instid1(VALU_DEP_2)
	v_add_co_u32 v3, vcc_lo, v3, v13
	v_add_co_ci_u32_e32 v3, vcc_lo, v5, v14, vcc_lo
	v_add_co_ci_u32_e32 v5, vcc_lo, 0, v16, vcc_lo
	s_delay_alu instid0(VALU_DEP_2) | instskip(NEXT) | instid1(VALU_DEP_2)
	v_add_co_u32 v3, vcc_lo, v3, v15
	v_add_co_ci_u32_e32 v5, vcc_lo, 0, v5, vcc_lo
	s_delay_alu instid0(VALU_DEP_2) | instskip(SKIP_1) | instid1(VALU_DEP_3)
	v_mul_lo_u32 v9, s25, v3
	v_mad_u64_u32 v[11:12], null, s24, v3, 0
	v_mul_lo_u32 v13, s24, v5
	s_delay_alu instid0(VALU_DEP_2) | instskip(NEXT) | instid1(VALU_DEP_2)
	v_sub_co_u32 v11, vcc_lo, v21, v11
	v_add3_u32 v9, v12, v13, v9
	s_delay_alu instid0(VALU_DEP_1) | instskip(NEXT) | instid1(VALU_DEP_1)
	v_sub_nc_u32_e32 v12, v7, v9
	v_subrev_co_ci_u32_e64 v12, s0, s25, v12, vcc_lo
	v_add_co_u32 v13, s0, v3, 2
	s_delay_alu instid0(VALU_DEP_1) | instskip(SKIP_3) | instid1(VALU_DEP_3)
	v_add_co_ci_u32_e64 v14, s0, 0, v5, s0
	v_sub_co_u32 v15, s0, v11, s24
	v_sub_co_ci_u32_e32 v7, vcc_lo, v7, v9, vcc_lo
	v_subrev_co_ci_u32_e64 v12, s0, 0, v12, s0
	v_cmp_le_u32_e32 vcc_lo, s24, v15
	s_delay_alu instid0(VALU_DEP_3) | instskip(SKIP_1) | instid1(VALU_DEP_4)
	v_cmp_eq_u32_e64 s0, s25, v7
	v_cndmask_b32_e64 v9, 0, -1, vcc_lo
	v_cmp_le_u32_e32 vcc_lo, s25, v12
	v_cndmask_b32_e64 v15, 0, -1, vcc_lo
	v_cmp_le_u32_e32 vcc_lo, s24, v11
	;; [unrolled: 2-line block ×3, first 2 shown]
	v_cndmask_b32_e64 v16, 0, -1, vcc_lo
	v_cmp_eq_u32_e32 vcc_lo, s25, v12
	s_delay_alu instid0(VALU_DEP_2) | instskip(SKIP_3) | instid1(VALU_DEP_3)
	v_cndmask_b32_e64 v7, v16, v11, s0
	v_cndmask_b32_e32 v9, v15, v9, vcc_lo
	v_add_co_u32 v12, vcc_lo, v3, 1
	v_add_co_ci_u32_e32 v15, vcc_lo, 0, v5, vcc_lo
	v_cmp_ne_u32_e32 vcc_lo, 0, v9
	s_delay_alu instid0(VALU_DEP_2) | instskip(NEXT) | instid1(VALU_DEP_4)
	v_cndmask_b32_e32 v9, v15, v14, vcc_lo
	v_cndmask_b32_e32 v11, v12, v13, vcc_lo
	v_cmp_ne_u32_e32 vcc_lo, 0, v7
	v_xor_b32_e32 v7, s4, v17
	s_delay_alu instid0(VALU_DEP_3) | instskip(SKIP_2) | instid1(VALU_DEP_3)
	v_cndmask_b32_e32 v3, v3, v11, vcc_lo
	v_cndmask_b32_e32 v5, v5, v9, vcc_lo
	v_xor_b32_e32 v9, s5, v17
	v_xor_b32_e32 v3, v3, v7
	s_delay_alu instid0(VALU_DEP_2) | instskip(NEXT) | instid1(VALU_DEP_2)
	v_xor_b32_e32 v5, v5, v9
	v_sub_co_u32 v12, vcc_lo, v3, v7
	s_delay_alu instid0(VALU_DEP_2)
	v_sub_co_ci_u32_e32 v13, vcc_lo, v5, v9, vcc_lo
.LBB101_28:                             ;   in Loop: Header=BB101_22 Depth=2
	s_and_not1_saveexec_b32 s0, s46
	s_cbranch_execz .LBB101_30
; %bb.29:                               ;   in Loop: Header=BB101_22 Depth=2
	v_cvt_f32_u32_e32 v3, s45
	s_sub_i32 s4, 0, s45
	v_mov_b32_e32 v13, v2
	s_delay_alu instid0(VALU_DEP_2) | instskip(SKIP_2) | instid1(VALU_DEP_1)
	v_rcp_iflag_f32_e32 v3, v3
	s_waitcnt_depctr 0xfff
	v_mul_f32_e32 v3, 0x4f7ffffe, v3
	v_cvt_u32_f32_e32 v3, v3
	s_delay_alu instid0(VALU_DEP_1) | instskip(NEXT) | instid1(VALU_DEP_1)
	v_mul_lo_u32 v5, s4, v3
	v_mul_hi_u32 v5, v3, v5
	s_delay_alu instid0(VALU_DEP_1) | instskip(NEXT) | instid1(VALU_DEP_1)
	v_add_nc_u32_e32 v3, v3, v5
	v_mul_hi_u32 v3, v10, v3
	s_delay_alu instid0(VALU_DEP_1) | instskip(SKIP_1) | instid1(VALU_DEP_2)
	v_mul_lo_u32 v5, v3, s45
	v_add_nc_u32_e32 v7, 1, v3
	v_sub_nc_u32_e32 v5, v10, v5
	s_delay_alu instid0(VALU_DEP_1) | instskip(SKIP_1) | instid1(VALU_DEP_4)
	v_cmp_le_u32_e32 vcc_lo, s45, v5
	v_subrev_nc_u32_e32 v9, s45, v5
	v_cndmask_b32_e32 v3, v3, v7, vcc_lo
	s_delay_alu instid0(VALU_DEP_1) | instskip(NEXT) | instid1(VALU_DEP_3)
	v_add_nc_u32_e32 v7, 1, v3
	v_cndmask_b32_e32 v5, v5, v9, vcc_lo
	s_delay_alu instid0(VALU_DEP_1) | instskip(NEXT) | instid1(VALU_DEP_3)
	v_cmp_le_u32_e32 vcc_lo, s45, v5
	v_cndmask_b32_e32 v12, v3, v7, vcc_lo
.LBB101_30:                             ;   in Loop: Header=BB101_22 Depth=2
	s_or_b32 exec_lo, exec_lo, s0
	s_add_u32 s24, s31, s22
	s_addc_u32 s25, s33, s23
	s_add_i32 s4, s20, -2
	s_mov_b32 s5, s21
                                        ; implicit-def: $vgpr14_vgpr15
	s_delay_alu instid0(SALU_CYCLE_1) | instskip(NEXT) | instid1(SALU_CYCLE_1)
	s_lshl_b64 s[4:5], s[4:5], 2
	s_add_u32 s22, s27, s4
	s_addc_u32 s23, s28, s5
	s_clause 0x2
	s_load_b32 s48, s[22:23], 0x8
	s_load_b32 s46, s[2:3], 0x6c
	;; [unrolled: 1-line block ×3, first 2 shown]
	s_mov_b32 s2, exec_lo
	s_waitcnt lgkmcnt(0)
	s_ashr_i32 s0, s48, 31
	s_delay_alu instid0(SALU_CYCLE_1) | instskip(NEXT) | instid1(VALU_DEP_1)
	v_or_b32_e32 v3, s0, v13
	v_cmpx_ne_u64_e32 0, v[2:3]
	s_xor_b32 s49, exec_lo, s2
	s_cbranch_execz .LBB101_32
; %bb.31:                               ;   in Loop: Header=BB101_22 Depth=2
	s_add_u32 s24, s48, s0
	s_mov_b32 s2, s0
	s_mov_b32 s3, s0
	s_addc_u32 s25, s0, s0
	s_delay_alu instid0(SALU_CYCLE_1) | instskip(NEXT) | instid1(SALU_CYCLE_1)
	s_xor_b64 s[24:25], s[24:25], s[2:3]
	v_cvt_f32_u32_e32 v3, s24
	v_cvt_f32_u32_e32 v5, s25
	s_sub_u32 s0, 0, s24
	s_subb_u32 s50, 0, s25
	s_delay_alu instid0(VALU_DEP_1) | instskip(NEXT) | instid1(VALU_DEP_1)
	v_fmac_f32_e32 v3, 0x4f800000, v5
	v_rcp_f32_e32 v3, v3
	s_waitcnt_depctr 0xfff
	v_mul_f32_e32 v3, 0x5f7ffffc, v3
	s_delay_alu instid0(VALU_DEP_1) | instskip(NEXT) | instid1(VALU_DEP_1)
	v_mul_f32_e32 v5, 0x2f800000, v3
	v_trunc_f32_e32 v5, v5
	s_delay_alu instid0(VALU_DEP_1) | instskip(SKIP_1) | instid1(VALU_DEP_2)
	v_fmac_f32_e32 v3, 0xcf800000, v5
	v_cvt_u32_f32_e32 v5, v5
	v_cvt_u32_f32_e32 v3, v3
	s_delay_alu instid0(VALU_DEP_2) | instskip(NEXT) | instid1(VALU_DEP_2)
	v_mul_lo_u32 v7, s0, v5
	v_mul_hi_u32 v9, s0, v3
	v_mul_lo_u32 v11, s50, v3
	s_delay_alu instid0(VALU_DEP_2) | instskip(SKIP_1) | instid1(VALU_DEP_2)
	v_add_nc_u32_e32 v7, v9, v7
	v_mul_lo_u32 v9, s0, v3
	v_add_nc_u32_e32 v7, v7, v11
	s_delay_alu instid0(VALU_DEP_2) | instskip(NEXT) | instid1(VALU_DEP_2)
	v_mul_hi_u32 v11, v3, v9
	v_mul_lo_u32 v14, v3, v7
	v_mul_hi_u32 v15, v3, v7
	v_mul_hi_u32 v16, v5, v9
	v_mul_lo_u32 v9, v5, v9
	v_mul_hi_u32 v17, v5, v7
	v_mul_lo_u32 v7, v5, v7
	v_add_co_u32 v11, vcc_lo, v11, v14
	v_add_co_ci_u32_e32 v14, vcc_lo, 0, v15, vcc_lo
	s_delay_alu instid0(VALU_DEP_2) | instskip(NEXT) | instid1(VALU_DEP_2)
	v_add_co_u32 v9, vcc_lo, v11, v9
	v_add_co_ci_u32_e32 v9, vcc_lo, v14, v16, vcc_lo
	v_add_co_ci_u32_e32 v11, vcc_lo, 0, v17, vcc_lo
	v_ashrrev_i32_e32 v17, 31, v13
	s_delay_alu instid0(VALU_DEP_3) | instskip(NEXT) | instid1(VALU_DEP_3)
	v_add_co_u32 v7, vcc_lo, v9, v7
	v_add_co_ci_u32_e32 v9, vcc_lo, 0, v11, vcc_lo
	s_delay_alu instid0(VALU_DEP_2) | instskip(NEXT) | instid1(VALU_DEP_2)
	v_add_co_u32 v3, vcc_lo, v3, v7
	v_add_co_ci_u32_e32 v5, vcc_lo, v5, v9, vcc_lo
	s_delay_alu instid0(VALU_DEP_2) | instskip(SKIP_1) | instid1(VALU_DEP_3)
	v_mul_hi_u32 v7, s0, v3
	v_mul_lo_u32 v11, s50, v3
	v_mul_lo_u32 v9, s0, v5
	s_delay_alu instid0(VALU_DEP_1) | instskip(SKIP_1) | instid1(VALU_DEP_2)
	v_add_nc_u32_e32 v7, v7, v9
	v_mul_lo_u32 v9, s0, v3
	v_add_nc_u32_e32 v7, v7, v11
	s_delay_alu instid0(VALU_DEP_2) | instskip(NEXT) | instid1(VALU_DEP_2)
	v_mul_hi_u32 v11, v3, v9
	v_mul_lo_u32 v14, v3, v7
	v_mul_hi_u32 v15, v3, v7
	v_mul_hi_u32 v16, v5, v9
	v_mul_lo_u32 v9, v5, v9
	v_mul_hi_u32 v21, v5, v7
	v_mul_lo_u32 v7, v5, v7
	v_add_co_u32 v11, vcc_lo, v11, v14
	v_add_co_ci_u32_e32 v14, vcc_lo, 0, v15, vcc_lo
	s_delay_alu instid0(VALU_DEP_2) | instskip(NEXT) | instid1(VALU_DEP_2)
	v_add_co_u32 v9, vcc_lo, v11, v9
	v_add_co_ci_u32_e32 v9, vcc_lo, v14, v16, vcc_lo
	v_add_co_ci_u32_e32 v11, vcc_lo, 0, v21, vcc_lo
	v_add_co_u32 v14, vcc_lo, v12, v17
	v_add_co_ci_u32_e32 v13, vcc_lo, v13, v17, vcc_lo
	s_delay_alu instid0(VALU_DEP_4) | instskip(NEXT) | instid1(VALU_DEP_4)
	v_add_co_u32 v7, vcc_lo, v9, v7
	v_add_co_ci_u32_e32 v9, vcc_lo, 0, v11, vcc_lo
	s_delay_alu instid0(VALU_DEP_4) | instskip(NEXT) | instid1(VALU_DEP_3)
	v_xor_b32_e32 v11, v14, v17
	v_add_co_u32 v3, vcc_lo, v3, v7
	s_delay_alu instid0(VALU_DEP_3) | instskip(SKIP_1) | instid1(VALU_DEP_3)
	v_add_co_ci_u32_e32 v5, vcc_lo, v5, v9, vcc_lo
	v_xor_b32_e32 v7, v13, v17
	v_mul_hi_u32 v9, v11, v3
	s_delay_alu instid0(VALU_DEP_3) | instskip(NEXT) | instid1(VALU_DEP_3)
	v_mad_u64_u32 v[13:14], null, v11, v5, 0
	v_mad_u64_u32 v[15:16], null, v7, v3, 0
	;; [unrolled: 1-line block ×3, first 2 shown]
	s_delay_alu instid0(VALU_DEP_3) | instskip(NEXT) | instid1(VALU_DEP_4)
	v_add_co_u32 v3, vcc_lo, v9, v13
	v_add_co_ci_u32_e32 v5, vcc_lo, 0, v14, vcc_lo
	s_delay_alu instid0(VALU_DEP_2) | instskip(NEXT) | instid1(VALU_DEP_2)
	v_add_co_u32 v3, vcc_lo, v3, v15
	v_add_co_ci_u32_e32 v3, vcc_lo, v5, v16, vcc_lo
	v_add_co_ci_u32_e32 v5, vcc_lo, 0, v22, vcc_lo
	s_delay_alu instid0(VALU_DEP_2) | instskip(NEXT) | instid1(VALU_DEP_2)
	v_add_co_u32 v3, vcc_lo, v3, v21
	v_add_co_ci_u32_e32 v5, vcc_lo, 0, v5, vcc_lo
	s_delay_alu instid0(VALU_DEP_2) | instskip(SKIP_1) | instid1(VALU_DEP_3)
	v_mul_lo_u32 v9, s25, v3
	v_mad_u64_u32 v[13:14], null, s24, v3, 0
	v_mul_lo_u32 v15, s24, v5
	s_delay_alu instid0(VALU_DEP_2) | instskip(NEXT) | instid1(VALU_DEP_2)
	v_sub_co_u32 v11, vcc_lo, v11, v13
	v_add3_u32 v9, v14, v15, v9
	s_delay_alu instid0(VALU_DEP_1) | instskip(NEXT) | instid1(VALU_DEP_1)
	v_sub_nc_u32_e32 v14, v7, v9
	v_subrev_co_ci_u32_e64 v13, s0, s25, v14, vcc_lo
	v_add_co_u32 v14, s0, v3, 2
	s_delay_alu instid0(VALU_DEP_1) | instskip(SKIP_3) | instid1(VALU_DEP_3)
	v_add_co_ci_u32_e64 v15, s0, 0, v5, s0
	v_sub_co_u32 v16, s0, v11, s24
	v_sub_co_ci_u32_e32 v7, vcc_lo, v7, v9, vcc_lo
	v_subrev_co_ci_u32_e64 v13, s0, 0, v13, s0
	v_cmp_le_u32_e32 vcc_lo, s24, v16
	s_delay_alu instid0(VALU_DEP_3) | instskip(SKIP_1) | instid1(VALU_DEP_4)
	v_cmp_eq_u32_e64 s0, s25, v7
	v_cndmask_b32_e64 v9, 0, -1, vcc_lo
	v_cmp_le_u32_e32 vcc_lo, s25, v13
	v_cndmask_b32_e64 v16, 0, -1, vcc_lo
	v_cmp_le_u32_e32 vcc_lo, s24, v11
	;; [unrolled: 2-line block ×3, first 2 shown]
	v_cndmask_b32_e64 v21, 0, -1, vcc_lo
	v_cmp_eq_u32_e32 vcc_lo, s25, v13
	s_delay_alu instid0(VALU_DEP_2) | instskip(SKIP_3) | instid1(VALU_DEP_3)
	v_cndmask_b32_e64 v7, v21, v11, s0
	v_cndmask_b32_e32 v9, v16, v9, vcc_lo
	v_add_co_u32 v13, vcc_lo, v3, 1
	v_add_co_ci_u32_e32 v16, vcc_lo, 0, v5, vcc_lo
	v_cmp_ne_u32_e32 vcc_lo, 0, v9
	s_delay_alu instid0(VALU_DEP_2) | instskip(NEXT) | instid1(VALU_DEP_4)
	v_cndmask_b32_e32 v9, v16, v15, vcc_lo
	v_cndmask_b32_e32 v11, v13, v14, vcc_lo
	v_cmp_ne_u32_e32 vcc_lo, 0, v7
	v_xor_b32_e32 v7, s2, v17
	s_delay_alu instid0(VALU_DEP_3) | instskip(SKIP_2) | instid1(VALU_DEP_3)
	v_cndmask_b32_e32 v3, v3, v11, vcc_lo
	v_cndmask_b32_e32 v5, v5, v9, vcc_lo
	v_xor_b32_e32 v9, s3, v17
	v_xor_b32_e32 v3, v3, v7
	s_delay_alu instid0(VALU_DEP_2) | instskip(NEXT) | instid1(VALU_DEP_2)
	v_xor_b32_e32 v5, v5, v9
	v_sub_co_u32 v14, vcc_lo, v3, v7
	s_delay_alu instid0(VALU_DEP_2)
	v_sub_co_ci_u32_e32 v15, vcc_lo, v5, v9, vcc_lo
.LBB101_32:                             ;   in Loop: Header=BB101_22 Depth=2
	s_and_not1_saveexec_b32 s0, s49
	s_cbranch_execz .LBB101_34
; %bb.33:                               ;   in Loop: Header=BB101_22 Depth=2
	v_cvt_f32_u32_e32 v3, s48
	s_sub_i32 s2, 0, s48
	v_mov_b32_e32 v15, v2
	s_delay_alu instid0(VALU_DEP_2) | instskip(SKIP_2) | instid1(VALU_DEP_1)
	v_rcp_iflag_f32_e32 v3, v3
	s_waitcnt_depctr 0xfff
	v_mul_f32_e32 v3, 0x4f7ffffe, v3
	v_cvt_u32_f32_e32 v3, v3
	s_delay_alu instid0(VALU_DEP_1) | instskip(NEXT) | instid1(VALU_DEP_1)
	v_mul_lo_u32 v5, s2, v3
	v_mul_hi_u32 v5, v3, v5
	s_delay_alu instid0(VALU_DEP_1) | instskip(NEXT) | instid1(VALU_DEP_1)
	v_add_nc_u32_e32 v3, v3, v5
	v_mul_hi_u32 v3, v12, v3
	s_delay_alu instid0(VALU_DEP_1) | instskip(SKIP_1) | instid1(VALU_DEP_2)
	v_mul_lo_u32 v5, v3, s48
	v_add_nc_u32_e32 v7, 1, v3
	v_sub_nc_u32_e32 v5, v12, v5
	s_delay_alu instid0(VALU_DEP_1) | instskip(SKIP_1) | instid1(VALU_DEP_4)
	v_cmp_le_u32_e32 vcc_lo, s48, v5
	v_subrev_nc_u32_e32 v9, s48, v5
	v_cndmask_b32_e32 v3, v3, v7, vcc_lo
	s_delay_alu instid0(VALU_DEP_1) | instskip(NEXT) | instid1(VALU_DEP_3)
	v_add_nc_u32_e32 v7, 1, v3
	v_cndmask_b32_e32 v5, v5, v9, vcc_lo
	s_delay_alu instid0(VALU_DEP_1) | instskip(NEXT) | instid1(VALU_DEP_3)
	v_cmp_le_u32_e32 vcc_lo, s48, v5
	v_cndmask_b32_e32 v14, v3, v7, vcc_lo
.LBB101_34:                             ;   in Loop: Header=BB101_22 Depth=2
	s_or_b32 exec_lo, exec_lo, s0
	s_add_u32 s24, s31, s4
	s_addc_u32 s25, s33, s5
	s_add_i32 s2, s20, -3
	s_mov_b32 s3, s21
                                        ; implicit-def: $vgpr16_vgpr17
	s_delay_alu instid0(SALU_CYCLE_1) | instskip(NEXT) | instid1(SALU_CYCLE_1)
	s_lshl_b64 s[4:5], s[2:3], 2
	s_add_u32 s2, s27, s4
	s_addc_u32 s3, s28, s5
	s_clause 0x2
	s_load_b32 s51, s[2:3], 0x8
	s_load_b32 s49, s[22:23], 0x6c
	;; [unrolled: 1-line block ×3, first 2 shown]
	s_mov_b32 s22, exec_lo
	s_waitcnt lgkmcnt(0)
	s_ashr_i32 s0, s51, 31
	s_delay_alu instid0(SALU_CYCLE_1) | instskip(NEXT) | instid1(VALU_DEP_1)
	v_or_b32_e32 v3, s0, v15
	v_cmpx_ne_u64_e32 0, v[2:3]
	s_xor_b32 s52, exec_lo, s22
	s_cbranch_execz .LBB101_36
; %bb.35:                               ;   in Loop: Header=BB101_22 Depth=2
	s_add_u32 s24, s51, s0
	s_mov_b32 s22, s0
	s_mov_b32 s23, s0
	s_addc_u32 s25, s0, s0
	s_delay_alu instid0(SALU_CYCLE_1) | instskip(NEXT) | instid1(SALU_CYCLE_1)
	s_xor_b64 s[24:25], s[24:25], s[22:23]
	v_cvt_f32_u32_e32 v3, s24
	v_cvt_f32_u32_e32 v5, s25
	s_sub_u32 s0, 0, s24
	s_subb_u32 s53, 0, s25
	s_delay_alu instid0(VALU_DEP_1) | instskip(NEXT) | instid1(VALU_DEP_1)
	v_fmac_f32_e32 v3, 0x4f800000, v5
	v_rcp_f32_e32 v3, v3
	s_waitcnt_depctr 0xfff
	v_mul_f32_e32 v3, 0x5f7ffffc, v3
	s_delay_alu instid0(VALU_DEP_1) | instskip(NEXT) | instid1(VALU_DEP_1)
	v_mul_f32_e32 v5, 0x2f800000, v3
	v_trunc_f32_e32 v5, v5
	s_delay_alu instid0(VALU_DEP_1) | instskip(SKIP_1) | instid1(VALU_DEP_2)
	v_fmac_f32_e32 v3, 0xcf800000, v5
	v_cvt_u32_f32_e32 v5, v5
	v_cvt_u32_f32_e32 v3, v3
	s_delay_alu instid0(VALU_DEP_2) | instskip(NEXT) | instid1(VALU_DEP_2)
	v_mul_lo_u32 v7, s0, v5
	v_mul_hi_u32 v9, s0, v3
	v_mul_lo_u32 v11, s53, v3
	s_delay_alu instid0(VALU_DEP_2) | instskip(SKIP_1) | instid1(VALU_DEP_2)
	v_add_nc_u32_e32 v7, v9, v7
	v_mul_lo_u32 v9, s0, v3
	v_add_nc_u32_e32 v7, v7, v11
	s_delay_alu instid0(VALU_DEP_2) | instskip(NEXT) | instid1(VALU_DEP_2)
	v_mul_hi_u32 v11, v3, v9
	v_mul_lo_u32 v13, v3, v7
	v_mul_hi_u32 v16, v3, v7
	v_mul_hi_u32 v17, v5, v9
	v_mul_lo_u32 v9, v5, v9
	v_mul_hi_u32 v21, v5, v7
	v_mul_lo_u32 v7, v5, v7
	v_add_co_u32 v11, vcc_lo, v11, v13
	v_add_co_ci_u32_e32 v13, vcc_lo, 0, v16, vcc_lo
	s_delay_alu instid0(VALU_DEP_2) | instskip(NEXT) | instid1(VALU_DEP_2)
	v_add_co_u32 v9, vcc_lo, v11, v9
	v_add_co_ci_u32_e32 v9, vcc_lo, v13, v17, vcc_lo
	v_add_co_ci_u32_e32 v11, vcc_lo, 0, v21, vcc_lo
	v_ashrrev_i32_e32 v17, 31, v15
	s_delay_alu instid0(VALU_DEP_3) | instskip(NEXT) | instid1(VALU_DEP_3)
	v_add_co_u32 v7, vcc_lo, v9, v7
	v_add_co_ci_u32_e32 v9, vcc_lo, 0, v11, vcc_lo
	s_delay_alu instid0(VALU_DEP_2) | instskip(NEXT) | instid1(VALU_DEP_2)
	v_add_co_u32 v3, vcc_lo, v3, v7
	v_add_co_ci_u32_e32 v5, vcc_lo, v5, v9, vcc_lo
	s_delay_alu instid0(VALU_DEP_2) | instskip(SKIP_1) | instid1(VALU_DEP_3)
	v_mul_hi_u32 v7, s0, v3
	v_mul_lo_u32 v11, s53, v3
	v_mul_lo_u32 v9, s0, v5
	s_delay_alu instid0(VALU_DEP_1) | instskip(SKIP_1) | instid1(VALU_DEP_2)
	v_add_nc_u32_e32 v7, v7, v9
	v_mul_lo_u32 v9, s0, v3
	v_add_nc_u32_e32 v7, v7, v11
	s_delay_alu instid0(VALU_DEP_2) | instskip(NEXT) | instid1(VALU_DEP_2)
	v_mul_hi_u32 v11, v3, v9
	v_mul_lo_u32 v13, v3, v7
	v_mul_hi_u32 v16, v3, v7
	v_mul_hi_u32 v21, v5, v9
	v_mul_lo_u32 v9, v5, v9
	v_mul_hi_u32 v22, v5, v7
	v_mul_lo_u32 v7, v5, v7
	v_add_co_u32 v11, vcc_lo, v11, v13
	v_add_co_ci_u32_e32 v13, vcc_lo, 0, v16, vcc_lo
	s_delay_alu instid0(VALU_DEP_2) | instskip(NEXT) | instid1(VALU_DEP_2)
	v_add_co_u32 v9, vcc_lo, v11, v9
	v_add_co_ci_u32_e32 v9, vcc_lo, v13, v21, vcc_lo
	v_add_co_ci_u32_e32 v11, vcc_lo, 0, v22, vcc_lo
	v_add_co_u32 v13, vcc_lo, v14, v17
	v_add_co_ci_u32_e32 v15, vcc_lo, v15, v17, vcc_lo
	s_delay_alu instid0(VALU_DEP_4) | instskip(NEXT) | instid1(VALU_DEP_4)
	v_add_co_u32 v7, vcc_lo, v9, v7
	v_add_co_ci_u32_e32 v9, vcc_lo, 0, v11, vcc_lo
	s_delay_alu instid0(VALU_DEP_4) | instskip(NEXT) | instid1(VALU_DEP_3)
	v_xor_b32_e32 v11, v13, v17
	v_add_co_u32 v3, vcc_lo, v3, v7
	s_delay_alu instid0(VALU_DEP_3) | instskip(SKIP_1) | instid1(VALU_DEP_3)
	v_add_co_ci_u32_e32 v5, vcc_lo, v5, v9, vcc_lo
	v_xor_b32_e32 v7, v15, v17
	v_mul_hi_u32 v9, v11, v3
	s_delay_alu instid0(VALU_DEP_3) | instskip(NEXT) | instid1(VALU_DEP_3)
	v_mad_u64_u32 v[15:16], null, v11, v5, 0
	v_mad_u64_u32 v[21:22], null, v7, v3, 0
	;; [unrolled: 1-line block ×3, first 2 shown]
	s_delay_alu instid0(VALU_DEP_3) | instskip(NEXT) | instid1(VALU_DEP_4)
	v_add_co_u32 v3, vcc_lo, v9, v15
	v_add_co_ci_u32_e32 v5, vcc_lo, 0, v16, vcc_lo
	s_delay_alu instid0(VALU_DEP_2) | instskip(NEXT) | instid1(VALU_DEP_2)
	v_add_co_u32 v3, vcc_lo, v3, v21
	v_add_co_ci_u32_e32 v3, vcc_lo, v5, v22, vcc_lo
	v_add_co_ci_u32_e32 v5, vcc_lo, 0, v24, vcc_lo
	s_delay_alu instid0(VALU_DEP_2) | instskip(NEXT) | instid1(VALU_DEP_2)
	v_add_co_u32 v3, vcc_lo, v3, v23
	v_add_co_ci_u32_e32 v5, vcc_lo, 0, v5, vcc_lo
	s_delay_alu instid0(VALU_DEP_2) | instskip(SKIP_1) | instid1(VALU_DEP_3)
	v_mul_lo_u32 v9, s25, v3
	v_mad_u64_u32 v[15:16], null, s24, v3, 0
	v_mul_lo_u32 v13, s24, v5
	s_delay_alu instid0(VALU_DEP_2) | instskip(NEXT) | instid1(VALU_DEP_2)
	v_sub_co_u32 v11, vcc_lo, v11, v15
	v_add3_u32 v9, v16, v13, v9
	s_delay_alu instid0(VALU_DEP_1) | instskip(NEXT) | instid1(VALU_DEP_1)
	v_sub_nc_u32_e32 v13, v7, v9
	v_subrev_co_ci_u32_e64 v13, s0, s25, v13, vcc_lo
	v_add_co_u32 v15, s0, v3, 2
	s_delay_alu instid0(VALU_DEP_1) | instskip(SKIP_3) | instid1(VALU_DEP_3)
	v_add_co_ci_u32_e64 v16, s0, 0, v5, s0
	v_sub_co_u32 v21, s0, v11, s24
	v_sub_co_ci_u32_e32 v7, vcc_lo, v7, v9, vcc_lo
	v_subrev_co_ci_u32_e64 v13, s0, 0, v13, s0
	v_cmp_le_u32_e32 vcc_lo, s24, v21
	s_delay_alu instid0(VALU_DEP_3) | instskip(SKIP_1) | instid1(VALU_DEP_4)
	v_cmp_eq_u32_e64 s0, s25, v7
	v_cndmask_b32_e64 v9, 0, -1, vcc_lo
	v_cmp_le_u32_e32 vcc_lo, s25, v13
	v_cndmask_b32_e64 v21, 0, -1, vcc_lo
	v_cmp_le_u32_e32 vcc_lo, s24, v11
	;; [unrolled: 2-line block ×3, first 2 shown]
	v_cndmask_b32_e64 v22, 0, -1, vcc_lo
	v_cmp_eq_u32_e32 vcc_lo, s25, v13
	s_delay_alu instid0(VALU_DEP_2) | instskip(SKIP_3) | instid1(VALU_DEP_3)
	v_cndmask_b32_e64 v7, v22, v11, s0
	v_cndmask_b32_e32 v9, v21, v9, vcc_lo
	v_add_co_u32 v13, vcc_lo, v3, 1
	v_add_co_ci_u32_e32 v21, vcc_lo, 0, v5, vcc_lo
	v_cmp_ne_u32_e32 vcc_lo, 0, v9
	s_delay_alu instid0(VALU_DEP_2) | instskip(NEXT) | instid1(VALU_DEP_4)
	v_cndmask_b32_e32 v9, v21, v16, vcc_lo
	v_cndmask_b32_e32 v11, v13, v15, vcc_lo
	v_cmp_ne_u32_e32 vcc_lo, 0, v7
	v_xor_b32_e32 v7, s22, v17
	s_delay_alu instid0(VALU_DEP_3) | instskip(SKIP_2) | instid1(VALU_DEP_3)
	v_cndmask_b32_e32 v3, v3, v11, vcc_lo
	v_cndmask_b32_e32 v5, v5, v9, vcc_lo
	v_xor_b32_e32 v9, s23, v17
	v_xor_b32_e32 v3, v3, v7
	s_delay_alu instid0(VALU_DEP_2) | instskip(NEXT) | instid1(VALU_DEP_2)
	v_xor_b32_e32 v5, v5, v9
	v_sub_co_u32 v16, vcc_lo, v3, v7
	s_delay_alu instid0(VALU_DEP_2)
	v_sub_co_ci_u32_e32 v17, vcc_lo, v5, v9, vcc_lo
.LBB101_36:                             ;   in Loop: Header=BB101_22 Depth=2
	s_and_not1_saveexec_b32 s0, s52
	s_cbranch_execz .LBB101_38
; %bb.37:                               ;   in Loop: Header=BB101_22 Depth=2
	v_cvt_f32_u32_e32 v3, s51
	s_sub_i32 s22, 0, s51
	v_mov_b32_e32 v17, v2
	s_delay_alu instid0(VALU_DEP_2) | instskip(SKIP_2) | instid1(VALU_DEP_1)
	v_rcp_iflag_f32_e32 v3, v3
	s_waitcnt_depctr 0xfff
	v_mul_f32_e32 v3, 0x4f7ffffe, v3
	v_cvt_u32_f32_e32 v3, v3
	s_delay_alu instid0(VALU_DEP_1) | instskip(NEXT) | instid1(VALU_DEP_1)
	v_mul_lo_u32 v5, s22, v3
	v_mul_hi_u32 v5, v3, v5
	s_delay_alu instid0(VALU_DEP_1) | instskip(NEXT) | instid1(VALU_DEP_1)
	v_add_nc_u32_e32 v3, v3, v5
	v_mul_hi_u32 v3, v14, v3
	s_delay_alu instid0(VALU_DEP_1) | instskip(SKIP_1) | instid1(VALU_DEP_2)
	v_mul_lo_u32 v5, v3, s51
	v_add_nc_u32_e32 v7, 1, v3
	v_sub_nc_u32_e32 v5, v14, v5
	s_delay_alu instid0(VALU_DEP_1) | instskip(SKIP_1) | instid1(VALU_DEP_4)
	v_cmp_le_u32_e32 vcc_lo, s51, v5
	v_subrev_nc_u32_e32 v9, s51, v5
	v_cndmask_b32_e32 v3, v3, v7, vcc_lo
	s_delay_alu instid0(VALU_DEP_1) | instskip(NEXT) | instid1(VALU_DEP_3)
	v_add_nc_u32_e32 v7, 1, v3
	v_cndmask_b32_e32 v5, v5, v9, vcc_lo
	s_delay_alu instid0(VALU_DEP_1) | instskip(NEXT) | instid1(VALU_DEP_3)
	v_cmp_le_u32_e32 vcc_lo, s51, v5
	v_cndmask_b32_e32 v16, v3, v7, vcc_lo
.LBB101_38:                             ;   in Loop: Header=BB101_22 Depth=2
	s_or_b32 exec_lo, exec_lo, s0
	s_add_u32 s0, s31, s4
	v_mul_lo_u32 v3, v10, s1
	s_addc_u32 s1, s33, s5
	s_clause 0x1
	s_load_b32 s2, s[2:3], 0x6c
	s_load_b32 s0, s[0:1], 0x0
	v_mul_lo_u32 v5, v12, s45
	v_mul_lo_u32 v7, v14, s48
	;; [unrolled: 1-line block ×3, first 2 shown]
	s_add_i32 s20, s20, -4
	v_sub_nc_u32_e32 v3, v8, v3
	s_cmp_eq_u32 s20, -1
	s_delay_alu instid0(VALU_DEP_4) | instskip(NEXT) | instid1(VALU_DEP_4)
	v_sub_nc_u32_e32 v5, v10, v5
	v_sub_nc_u32_e32 v7, v12, v7
	s_delay_alu instid0(VALU_DEP_4)
	v_sub_nc_u32_e32 v8, v14, v9
	v_mul_lo_u32 v9, s6, v3
	v_mul_lo_u32 v3, s44, v3
	;; [unrolled: 1-line block ×6, first 2 shown]
	s_waitcnt lgkmcnt(0)
	v_mul_lo_u32 v12, s2, v8
	v_mul_lo_u32 v8, s0, v8
	v_add3_u32 v6, v9, v6, v10
	v_add3_u32 v3, v3, v4, v5
	s_delay_alu instid0(VALU_DEP_2) | instskip(NEXT) | instid1(VALU_DEP_2)
	v_add3_u32 v6, v11, v6, v12
	v_add3_u32 v4, v7, v3, v8
	s_cbranch_scc1 .LBB101_40
; %bb.39:                               ;   in Loop: Header=BB101_22 Depth=2
	v_dual_mov_b32 v8, v16 :: v_dual_mov_b32 v9, v17
	s_branch .LBB101_22
.LBB101_40:                             ;   in Loop: Header=BB101_3 Depth=1
	v_sub_nc_u32_e32 v5, v19, v20
	v_mov_b32_e32 v3, 0
	s_mov_b32 s20, exec_lo
	s_delay_alu instid0(VALU_DEP_2) | instskip(NEXT) | instid1(VALU_DEP_1)
	v_add_nc_u32_e32 v7, 4, v5
	v_ashrrev_i32_e32 v8, 31, v7
	s_delay_alu instid0(VALU_DEP_1)
	v_cmpx_le_i64_e64 s[8:9], v[7:8]
	s_cbranch_execz .LBB101_50
; %bb.41:                               ;   in Loop: Header=BB101_3 Depth=1
	v_mov_b32_e32 v3, 0
	s_mov_b32 s0, exec_lo
	v_cmpx_gt_i32_e64 s7, v19
	s_cbranch_execz .LBB101_49
; %bb.42:                               ;   in Loop: Header=BB101_3 Depth=1
	v_ashrrev_i32_e32 v3, 31, v6
	v_add_co_u32 v7, vcc_lo, s12, v6
	v_add_nc_u32_e32 v9, 1, v19
	s_mov_b32 s1, exec_lo
	s_delay_alu instid0(VALU_DEP_3)
	v_add_co_ci_u32_e32 v8, vcc_lo, s13, v3, vcc_lo
	global_load_u8 v3, v[7:8], off
	v_cmpx_gt_i32_e64 s7, v9
	s_xor_b32 s1, exec_lo, s1
	s_cbranch_execz .LBB101_48
; %bb.43:                               ;   in Loop: Header=BB101_3 Depth=1
	v_add_co_u32 v7, vcc_lo, v7, s15
	v_add_co_ci_u32_e32 v8, vcc_lo, s41, v8, vcc_lo
	s_mov_b32 s2, exec_lo
	global_load_u8 v7, v[7:8], off
	s_waitcnt vmcnt(0)
	v_lshlrev_b16 v7, 8, v7
	s_delay_alu instid0(VALU_DEP_1) | instskip(SKIP_1) | instid1(VALU_DEP_2)
	v_or_b32_e32 v3, v3, v7
	v_add_nc_u32_e32 v7, 2, v19
	v_and_b32_e32 v3, 0xffff, v3
	s_delay_alu instid0(VALU_DEP_2)
	v_cmpx_gt_i32_e64 s7, v7
	s_xor_b32 s2, exec_lo, s2
	s_cbranch_execz .LBB101_47
; %bb.44:                               ;   in Loop: Header=BB101_3 Depth=1
	v_add3_u32 v6, s15, s15, v6
	s_mov_b32 s3, exec_lo
	s_delay_alu instid0(VALU_DEP_1) | instskip(SKIP_1) | instid1(VALU_DEP_2)
	v_ashrrev_i32_e32 v8, 31, v6
	v_add_co_u32 v7, vcc_lo, s12, v6
	v_add_co_ci_u32_e32 v8, vcc_lo, s13, v8, vcc_lo
	global_load_u8 v7, v[7:8], off
	v_add_nc_u32_e32 v8, 3, v19
	s_waitcnt vmcnt(0)
	v_lshl_or_b32 v3, v7, 16, v3
	s_delay_alu instid0(VALU_DEP_2)
	v_cmpx_gt_i32_e64 s7, v8
	s_xor_b32 s3, exec_lo, s3
	s_cbranch_execz .LBB101_46
; %bb.45:                               ;   in Loop: Header=BB101_3 Depth=1
	v_add_nc_u32_e32 v6, s15, v6
	s_delay_alu instid0(VALU_DEP_1) | instskip(SKIP_1) | instid1(VALU_DEP_2)
	v_ashrrev_i32_e32 v7, 31, v6
	v_add_co_u32 v6, vcc_lo, s12, v6
	v_add_co_ci_u32_e32 v7, vcc_lo, s13, v7, vcc_lo
	global_load_u8 v6, v[6:7], off
	v_lshrrev_b32_e32 v7, 16, v3
	s_waitcnt vmcnt(0)
	v_lshlrev_b16 v6, 8, v6
	s_delay_alu instid0(VALU_DEP_1) | instskip(NEXT) | instid1(VALU_DEP_1)
	v_or_b32_e32 v6, v7, v6
	v_lshlrev_b32_e32 v6, 16, v6
	s_delay_alu instid0(VALU_DEP_1)
	v_and_or_b32 v3, 0xffff, v3, v6
.LBB101_46:                             ;   in Loop: Header=BB101_3 Depth=1
	s_or_b32 exec_lo, exec_lo, s3
.LBB101_47:                             ;   in Loop: Header=BB101_3 Depth=1
	s_delay_alu instid0(SALU_CYCLE_1)
	s_or_b32 exec_lo, exec_lo, s2
.LBB101_48:                             ;   in Loop: Header=BB101_3 Depth=1
	s_delay_alu instid0(SALU_CYCLE_1)
	s_or_b32 exec_lo, exec_lo, s1
.LBB101_49:                             ;   in Loop: Header=BB101_3 Depth=1
	s_delay_alu instid0(SALU_CYCLE_1)
	s_or_b32 exec_lo, exec_lo, s0
	s_waitcnt vmcnt(0)
	v_lshrrev_b16 v6, 8, v3
	v_add_nc_u32_e32 v7, 1, v5
	v_and_b32_e32 v10, 0x1000000, v3
	v_add_nc_u32_e32 v9, 3, v5
	v_add_nc_u32_e32 v11, 2, v5
	v_and_b32_e32 v6, 1, v6
	v_ashrrev_i32_e32 v8, 31, v7
	v_cmp_ne_u32_e32 vcc_lo, 0, v10
	v_ashrrev_i32_e32 v10, 31, v9
	v_and_b32_e32 v13, 0x10000, v3
	v_cmp_eq_u32_e64 s0, 1, v6
	v_ashrrev_i32_e32 v6, 31, v5
	v_cmp_le_i64_e64 s1, s[8:9], v[7:8]
	v_and_b32_e32 v3, 1, v3
	v_ashrrev_i32_e32 v12, 31, v11
	v_cmp_le_i64_e64 s3, s[8:9], v[9:10]
	v_cmp_le_i64_e64 s5, s[8:9], v[5:6]
	v_cmp_ne_u32_e64 s2, 0, v13
	v_cmp_eq_u32_e64 s4, 1, v3
	s_and_b32 s0, s1, s0
	v_cmp_le_i64_e64 s6, s[8:9], v[11:12]
	v_cndmask_b32_e64 v3, 0, 1, s0
	s_and_b32 s0, s3, vcc_lo
	s_delay_alu instid0(SALU_CYCLE_1) | instskip(SKIP_1) | instid1(VALU_DEP_2)
	v_cndmask_b32_e64 v5, 0, 1, s0
	s_and_b32 s0, s5, s4
	v_lshlrev_b16 v3, 8, v3
	v_cndmask_b32_e64 v6, 0, 1, s0
	s_and_b32 s0, s6, s2
	v_lshlrev_b16 v5, 8, v5
	v_cndmask_b32_e64 v7, 0, 1, s0
	s_delay_alu instid0(VALU_DEP_3) | instskip(NEXT) | instid1(VALU_DEP_2)
	v_or_b32_e32 v3, v6, v3
	v_or_b32_e32 v5, v7, v5
	s_delay_alu instid0(VALU_DEP_2) | instskip(NEXT) | instid1(VALU_DEP_2)
	v_and_b32_e32 v3, 0xffff, v3
	v_lshlrev_b32_e32 v5, 16, v5
	s_delay_alu instid0(VALU_DEP_1)
	v_or_b32_e32 v3, v3, v5
.LBB101_50:                             ;   in Loop: Header=BB101_3 Depth=1
	s_or_b32 exec_lo, exec_lo, s20
	s_delay_alu instid0(SALU_CYCLE_1)
	s_mov_b32 s0, exec_lo
	v_cmpx_gt_i32_e64 s7, v19
	s_cbranch_execz .LBB101_2
; %bb.51:                               ;   in Loop: Header=BB101_3 Depth=1
	v_ashrrev_i32_e32 v6, 31, v4
	v_add_co_u32 v5, vcc_lo, s18, v4
	v_add_nc_u32_e32 v7, 1, v19
	s_mov_b32 s1, exec_lo
	s_delay_alu instid0(VALU_DEP_3)
	v_add_co_ci_u32_e32 v6, vcc_lo, s19, v6, vcc_lo
	global_store_b8 v[5:6], v3, off
	v_cmpx_gt_i32_e64 s7, v7
	s_xor_b32 s1, exec_lo, s1
	s_cbranch_execz .LBB101_2
; %bb.52:                               ;   in Loop: Header=BB101_3 Depth=1
	v_add_co_u32 v5, vcc_lo, v5, s17
	v_lshrrev_b32_e32 v7, 8, v3
	v_add_nc_u32_e32 v8, 2, v19
	v_add_co_ci_u32_e32 v6, vcc_lo, s42, v6, vcc_lo
	s_mov_b32 s1, exec_lo
	global_store_b8 v[5:6], v7, off
	v_cmpx_gt_i32_e64 s7, v8
	s_xor_b32 s1, exec_lo, s1
	s_cbranch_execz .LBB101_2
; %bb.53:                               ;   in Loop: Header=BB101_3 Depth=1
	v_add3_u32 v4, s17, s17, v4
	v_add_nc_u32_e32 v7, 3, v19
	s_mov_b32 s1, exec_lo
	s_delay_alu instid0(VALU_DEP_2) | instskip(SKIP_1) | instid1(VALU_DEP_2)
	v_ashrrev_i32_e32 v6, 31, v4
	v_add_co_u32 v5, vcc_lo, s18, v4
	v_add_co_ci_u32_e32 v6, vcc_lo, s19, v6, vcc_lo
	global_store_d16_hi_b8 v[5:6], v3, off
	v_cmpx_gt_i32_e64 s7, v7
	s_xor_b32 s1, exec_lo, s1
	s_cbranch_execz .LBB101_2
; %bb.54:                               ;   in Loop: Header=BB101_3 Depth=1
	v_add_nc_u32_e32 v4, s17, v4
	v_lshrrev_b32_e32 v6, 24, v3
	s_delay_alu instid0(VALU_DEP_2) | instskip(SKIP_1) | instid1(VALU_DEP_2)
	v_ashrrev_i32_e32 v5, 31, v4
	v_add_co_u32 v3, vcc_lo, s18, v4
	v_add_co_ci_u32_e32 v4, vcc_lo, s19, v5, vcc_lo
	global_store_b8 v[3:4], v6, off
	s_branch .LBB101_2
.LBB101_55:
	s_nop 0
	s_sendmsg sendmsg(MSG_DEALLOC_VGPRS)
	s_endpgm
	.section	.rodata,"a",@progbits
	.p2align	6, 0x0
	.amdhsa_kernel _ZN2at6native16triu_tril_kernelIbiLb1ELi4ELb0EEEvNS_4cuda6detail10TensorInfoIT_T0_EENS4_IKS5_S6_EEllS6_
		.amdhsa_group_segment_fixed_size 0
		.amdhsa_private_segment_fixed_size 0
		.amdhsa_kernarg_size 712
		.amdhsa_user_sgpr_count 15
		.amdhsa_user_sgpr_dispatch_ptr 0
		.amdhsa_user_sgpr_queue_ptr 0
		.amdhsa_user_sgpr_kernarg_segment_ptr 1
		.amdhsa_user_sgpr_dispatch_id 0
		.amdhsa_user_sgpr_private_segment_size 0
		.amdhsa_wavefront_size32 1
		.amdhsa_uses_dynamic_stack 0
		.amdhsa_enable_private_segment 0
		.amdhsa_system_sgpr_workgroup_id_x 1
		.amdhsa_system_sgpr_workgroup_id_y 0
		.amdhsa_system_sgpr_workgroup_id_z 0
		.amdhsa_system_sgpr_workgroup_info 0
		.amdhsa_system_vgpr_workitem_id 0
		.amdhsa_next_free_vgpr 25
		.amdhsa_next_free_sgpr 54
		.amdhsa_reserve_vcc 1
		.amdhsa_float_round_mode_32 0
		.amdhsa_float_round_mode_16_64 0
		.amdhsa_float_denorm_mode_32 3
		.amdhsa_float_denorm_mode_16_64 3
		.amdhsa_dx10_clamp 1
		.amdhsa_ieee_mode 1
		.amdhsa_fp16_overflow 0
		.amdhsa_workgroup_processor_mode 1
		.amdhsa_memory_ordered 1
		.amdhsa_forward_progress 0
		.amdhsa_shared_vgpr_count 0
		.amdhsa_exception_fp_ieee_invalid_op 0
		.amdhsa_exception_fp_denorm_src 0
		.amdhsa_exception_fp_ieee_div_zero 0
		.amdhsa_exception_fp_ieee_overflow 0
		.amdhsa_exception_fp_ieee_underflow 0
		.amdhsa_exception_fp_ieee_inexact 0
		.amdhsa_exception_int_div_zero 0
	.end_amdhsa_kernel
	.section	.text._ZN2at6native16triu_tril_kernelIbiLb1ELi4ELb0EEEvNS_4cuda6detail10TensorInfoIT_T0_EENS4_IKS5_S6_EEllS6_,"axG",@progbits,_ZN2at6native16triu_tril_kernelIbiLb1ELi4ELb0EEEvNS_4cuda6detail10TensorInfoIT_T0_EENS4_IKS5_S6_EEllS6_,comdat
.Lfunc_end101:
	.size	_ZN2at6native16triu_tril_kernelIbiLb1ELi4ELb0EEEvNS_4cuda6detail10TensorInfoIT_T0_EENS4_IKS5_S6_EEllS6_, .Lfunc_end101-_ZN2at6native16triu_tril_kernelIbiLb1ELi4ELb0EEEvNS_4cuda6detail10TensorInfoIT_T0_EENS4_IKS5_S6_EEllS6_
                                        ; -- End function
	.section	.AMDGPU.csdata,"",@progbits
; Kernel info:
; codeLenInByte = 8844
; NumSgprs: 56
; NumVgprs: 25
; ScratchSize: 0
; MemoryBound: 0
; FloatMode: 240
; IeeeMode: 1
; LDSByteSize: 0 bytes/workgroup (compile time only)
; SGPRBlocks: 6
; VGPRBlocks: 3
; NumSGPRsForWavesPerEU: 56
; NumVGPRsForWavesPerEU: 25
; Occupancy: 16
; WaveLimiterHint : 0
; COMPUTE_PGM_RSRC2:SCRATCH_EN: 0
; COMPUTE_PGM_RSRC2:USER_SGPR: 15
; COMPUTE_PGM_RSRC2:TRAP_HANDLER: 0
; COMPUTE_PGM_RSRC2:TGID_X_EN: 1
; COMPUTE_PGM_RSRC2:TGID_Y_EN: 0
; COMPUTE_PGM_RSRC2:TGID_Z_EN: 0
; COMPUTE_PGM_RSRC2:TIDIG_COMP_CNT: 0
	.section	.text._ZN2at6native16triu_tril_kernelIblLb1ELi4ELb1EEEvNS_4cuda6detail10TensorInfoIT_T0_EENS4_IKS5_S6_EEllS6_,"axG",@progbits,_ZN2at6native16triu_tril_kernelIblLb1ELi4ELb1EEEvNS_4cuda6detail10TensorInfoIT_T0_EENS4_IKS5_S6_EEllS6_,comdat
	.protected	_ZN2at6native16triu_tril_kernelIblLb1ELi4ELb1EEEvNS_4cuda6detail10TensorInfoIT_T0_EENS4_IKS5_S6_EEllS6_ ; -- Begin function _ZN2at6native16triu_tril_kernelIblLb1ELi4ELb1EEEvNS_4cuda6detail10TensorInfoIT_T0_EENS4_IKS5_S6_EEllS6_
	.globl	_ZN2at6native16triu_tril_kernelIblLb1ELi4ELb1EEEvNS_4cuda6detail10TensorInfoIT_T0_EENS4_IKS5_S6_EEllS6_
	.p2align	8
	.type	_ZN2at6native16triu_tril_kernelIblLb1ELi4ELb1EEEvNS_4cuda6detail10TensorInfoIT_T0_EENS4_IKS5_S6_EEllS6_,@function
_ZN2at6native16triu_tril_kernelIblLb1ELi4ELb1EEEvNS_4cuda6detail10TensorInfoIT_T0_EENS4_IKS5_S6_EEllS6_: ; @_ZN2at6native16triu_tril_kernelIblLb1ELi4ELb1EEEvNS_4cuda6detail10TensorInfoIT_T0_EENS4_IKS5_S6_EEllS6_
; %bb.0:
	s_clause 0x1
	s_load_b32 s2, s[0:1], 0x364
	s_load_b128 s[4:7], s[0:1], 0x340
	v_mov_b32_e32 v2, 0
	s_add_u32 s8, s0, 0x358
	s_addc_u32 s9, s1, 0
	s_delay_alu instid0(VALU_DEP_1) | instskip(SKIP_3) | instid1(VALU_DEP_1)
	v_mov_b32_e32 v1, v2
	s_waitcnt lgkmcnt(0)
	s_and_b32 s10, s2, 0xffff
	s_mov_b32 s2, exec_lo
	v_mad_u64_u32 v[3:4], null, s10, s15, v[0:1]
	s_delay_alu instid0(VALU_DEP_1) | instskip(NEXT) | instid1(VALU_DEP_1)
	v_lshlrev_b64 v[0:1], 2, v[3:4]
	v_cmpx_gt_i64_e64 s[6:7], v[0:1]
	s_cbranch_execz .LBB102_27
; %bb.1:
	s_clause 0x1
	s_load_b32 s24, s[0:1], 0x338
	s_load_b64 s[2:3], s[0:1], 0x350
	s_load_b32 s11, s[8:9], 0x0
	s_load_b64 s[8:9], s[0:1], 0x0
	s_mov_b32 s45, 0
	s_waitcnt lgkmcnt(0)
	s_ashr_i32 s25, s24, 31
	s_add_u32 s20, s0, 0x1a8
	s_addc_u32 s21, s1, 0
	s_lshl_b64 s[12:13], s[24:25], 3
	v_cvt_f32_u32_e32 v3, s2
	s_add_u32 s14, s12, -16
	s_addc_u32 s15, s13, -1
	s_add_u32 s22, s20, s14
	s_addc_u32 s23, s21, s15
	v_rcp_iflag_f32_e32 v3, v3
	s_add_u32 s17, s12, -8
	s_addc_u32 s18, s13, -1
	s_add_u32 s26, s0, 0xd0
	s_addc_u32 s27, s1, 0
	s_mul_i32 s16, s11, s10
	s_add_u32 s10, s26, s17
	s_addc_u32 s11, s27, s18
	s_add_u32 s12, s26, s14
	s_addc_u32 s13, s27, s15
	s_add_i32 s0, s24, -3
	s_waitcnt_depctr 0xfff
	v_mul_f32_e32 v3, 0x4f7ffffe, v3
	s_ashr_i32 s1, s0, 31
	s_add_u32 s14, s20, s17
	s_addc_u32 s15, s21, s18
	s_lshl_b64 s[18:19], s[0:1], 3
	s_lshl_b32 s33, s16, 2
	s_add_u32 s16, s26, s18
	s_addc_u32 s17, s27, s19
	v_cvt_u32_f32_e32 v3, v3
	s_add_u32 s18, s20, s18
	s_addc_u32 s19, s21, s19
	s_add_u32 s20, s0, 1
	s_addc_u32 s21, s1, 0
	s_sub_i32 s0, 0, s2
	s_load_b64 s[22:23], s[22:23], 0x0
	v_mul_lo_u32 v4, s0, v3
	v_cmp_gt_i64_e64 s44, s[24:25], 2
	s_ashr_i32 s24, s3, 31
	s_delay_alu instid0(VALU_DEP_2) | instskip(NEXT) | instid1(VALU_DEP_1)
	v_mul_hi_u32 v4, v3, v4
	v_add_nc_u32_e32 v14, v3, v4
	s_waitcnt lgkmcnt(0)
	s_ashr_i32 s26, s23, 31
	s_branch .LBB102_3
.LBB102_2:                              ;   in Loop: Header=BB102_3 Depth=1
	s_or_b32 exec_lo, exec_lo, s25
	v_add_co_u32 v0, vcc_lo, v0, s33
	v_add_co_ci_u32_e32 v1, vcc_lo, 0, v1, vcc_lo
	s_delay_alu instid0(VALU_DEP_1) | instskip(SKIP_1) | instid1(SALU_CYCLE_1)
	v_cmp_le_i64_e32 vcc_lo, s[6:7], v[0:1]
	s_or_b32 s45, vcc_lo, s45
	s_and_not1_b32 exec_lo, exec_lo, s45
	s_cbranch_execz .LBB102_27
.LBB102_3:                              ; =>This Loop Header: Depth=1
                                        ;     Child Loop BB102_23 Depth 2
	v_or_b32_e32 v3, s3, v1
                                        ; implicit-def: $vgpr8_vgpr9
	s_mov_b32 s0, exec_lo
	s_delay_alu instid0(VALU_DEP_1)
	v_cmpx_ne_u64_e32 0, v[2:3]
	s_xor_b32 s1, exec_lo, s0
	s_cbranch_execz .LBB102_5
; %bb.4:                                ;   in Loop: Header=BB102_3 Depth=1
	s_add_u32 s28, s2, s24
	s_mov_b32 s25, s24
	s_addc_u32 s29, s3, s24
	s_delay_alu instid0(SALU_CYCLE_1) | instskip(NEXT) | instid1(SALU_CYCLE_1)
	s_xor_b64 s[28:29], s[28:29], s[24:25]
	v_cvt_f32_u32_e32 v3, s28
	v_cvt_f32_u32_e32 v4, s29
	s_sub_u32 s0, 0, s28
	s_subb_u32 s25, 0, s29
	s_delay_alu instid0(VALU_DEP_1) | instskip(NEXT) | instid1(VALU_DEP_1)
	v_fmac_f32_e32 v3, 0x4f800000, v4
	v_rcp_f32_e32 v3, v3
	s_waitcnt_depctr 0xfff
	v_mul_f32_e32 v3, 0x5f7ffffc, v3
	s_delay_alu instid0(VALU_DEP_1) | instskip(NEXT) | instid1(VALU_DEP_1)
	v_mul_f32_e32 v4, 0x2f800000, v3
	v_trunc_f32_e32 v4, v4
	s_delay_alu instid0(VALU_DEP_1) | instskip(SKIP_1) | instid1(VALU_DEP_2)
	v_fmac_f32_e32 v3, 0xcf800000, v4
	v_cvt_u32_f32_e32 v4, v4
	v_cvt_u32_f32_e32 v3, v3
	s_delay_alu instid0(VALU_DEP_2) | instskip(NEXT) | instid1(VALU_DEP_2)
	v_mul_lo_u32 v5, s0, v4
	v_mul_hi_u32 v6, s0, v3
	v_mul_lo_u32 v7, s25, v3
	s_delay_alu instid0(VALU_DEP_2) | instskip(SKIP_1) | instid1(VALU_DEP_2)
	v_add_nc_u32_e32 v5, v6, v5
	v_mul_lo_u32 v6, s0, v3
	v_add_nc_u32_e32 v5, v5, v7
	s_delay_alu instid0(VALU_DEP_2) | instskip(NEXT) | instid1(VALU_DEP_2)
	v_mul_hi_u32 v7, v3, v6
	v_mul_lo_u32 v8, v3, v5
	v_mul_hi_u32 v9, v3, v5
	v_mul_hi_u32 v10, v4, v6
	v_mul_lo_u32 v6, v4, v6
	v_mul_hi_u32 v11, v4, v5
	v_mul_lo_u32 v5, v4, v5
	v_add_co_u32 v7, vcc_lo, v7, v8
	v_add_co_ci_u32_e32 v8, vcc_lo, 0, v9, vcc_lo
	s_delay_alu instid0(VALU_DEP_2) | instskip(NEXT) | instid1(VALU_DEP_2)
	v_add_co_u32 v6, vcc_lo, v7, v6
	v_add_co_ci_u32_e32 v6, vcc_lo, v8, v10, vcc_lo
	v_add_co_ci_u32_e32 v7, vcc_lo, 0, v11, vcc_lo
	v_ashrrev_i32_e32 v10, 31, v1
	s_delay_alu instid0(VALU_DEP_3) | instskip(NEXT) | instid1(VALU_DEP_3)
	v_add_co_u32 v5, vcc_lo, v6, v5
	v_add_co_ci_u32_e32 v6, vcc_lo, 0, v7, vcc_lo
	s_delay_alu instid0(VALU_DEP_2) | instskip(NEXT) | instid1(VALU_DEP_2)
	v_add_co_u32 v3, vcc_lo, v3, v5
	v_add_co_ci_u32_e32 v4, vcc_lo, v4, v6, vcc_lo
	s_delay_alu instid0(VALU_DEP_2) | instskip(SKIP_1) | instid1(VALU_DEP_3)
	v_mul_hi_u32 v5, s0, v3
	v_mul_lo_u32 v7, s25, v3
	v_mul_lo_u32 v6, s0, v4
	s_delay_alu instid0(VALU_DEP_1) | instskip(SKIP_1) | instid1(VALU_DEP_2)
	v_add_nc_u32_e32 v5, v5, v6
	v_mul_lo_u32 v6, s0, v3
	v_add_nc_u32_e32 v5, v5, v7
	s_delay_alu instid0(VALU_DEP_2) | instskip(NEXT) | instid1(VALU_DEP_2)
	v_mul_hi_u32 v7, v3, v6
	v_mul_lo_u32 v8, v3, v5
	v_mul_hi_u32 v9, v3, v5
	v_mul_hi_u32 v11, v4, v6
	v_mul_lo_u32 v6, v4, v6
	v_mul_hi_u32 v12, v4, v5
	v_mul_lo_u32 v5, v4, v5
	v_add_co_u32 v7, vcc_lo, v7, v8
	v_add_co_ci_u32_e32 v8, vcc_lo, 0, v9, vcc_lo
	s_delay_alu instid0(VALU_DEP_2) | instskip(NEXT) | instid1(VALU_DEP_2)
	v_add_co_u32 v6, vcc_lo, v7, v6
	v_add_co_ci_u32_e32 v6, vcc_lo, v8, v11, vcc_lo
	v_add_co_ci_u32_e32 v7, vcc_lo, 0, v12, vcc_lo
	v_add_co_u32 v8, vcc_lo, v0, v10
	v_add_co_ci_u32_e32 v9, vcc_lo, v1, v10, vcc_lo
	s_delay_alu instid0(VALU_DEP_4) | instskip(NEXT) | instid1(VALU_DEP_4)
	v_add_co_u32 v5, vcc_lo, v6, v5
	v_add_co_ci_u32_e32 v6, vcc_lo, 0, v7, vcc_lo
	s_delay_alu instid0(VALU_DEP_4) | instskip(NEXT) | instid1(VALU_DEP_3)
	v_xor_b32_e32 v11, v8, v10
	v_add_co_u32 v7, vcc_lo, v3, v5
	s_delay_alu instid0(VALU_DEP_3) | instskip(SKIP_1) | instid1(VALU_DEP_3)
	v_add_co_ci_u32_e32 v12, vcc_lo, v4, v6, vcc_lo
	v_xor_b32_e32 v9, v9, v10
	v_mul_hi_u32 v13, v11, v7
	s_delay_alu instid0(VALU_DEP_3) | instskip(NEXT) | instid1(VALU_DEP_3)
	v_mad_u64_u32 v[3:4], null, v11, v12, 0
	v_mad_u64_u32 v[5:6], null, v9, v7, 0
	;; [unrolled: 1-line block ×3, first 2 shown]
	s_delay_alu instid0(VALU_DEP_3) | instskip(NEXT) | instid1(VALU_DEP_4)
	v_add_co_u32 v3, vcc_lo, v13, v3
	v_add_co_ci_u32_e32 v4, vcc_lo, 0, v4, vcc_lo
	s_delay_alu instid0(VALU_DEP_2) | instskip(NEXT) | instid1(VALU_DEP_2)
	v_add_co_u32 v3, vcc_lo, v3, v5
	v_add_co_ci_u32_e32 v3, vcc_lo, v4, v6, vcc_lo
	v_add_co_ci_u32_e32 v4, vcc_lo, 0, v8, vcc_lo
	s_delay_alu instid0(VALU_DEP_2) | instskip(NEXT) | instid1(VALU_DEP_2)
	v_add_co_u32 v5, vcc_lo, v3, v7
	v_add_co_ci_u32_e32 v6, vcc_lo, 0, v4, vcc_lo
	s_delay_alu instid0(VALU_DEP_2) | instskip(SKIP_1) | instid1(VALU_DEP_3)
	v_mul_lo_u32 v7, s29, v5
	v_mad_u64_u32 v[3:4], null, s28, v5, 0
	v_mul_lo_u32 v8, s28, v6
	s_delay_alu instid0(VALU_DEP_2) | instskip(NEXT) | instid1(VALU_DEP_2)
	v_sub_co_u32 v3, vcc_lo, v11, v3
	v_add3_u32 v4, v4, v8, v7
	s_delay_alu instid0(VALU_DEP_1) | instskip(NEXT) | instid1(VALU_DEP_1)
	v_sub_nc_u32_e32 v7, v9, v4
	v_subrev_co_ci_u32_e64 v7, s0, s29, v7, vcc_lo
	v_add_co_u32 v8, s0, v5, 2
	s_delay_alu instid0(VALU_DEP_1) | instskip(SKIP_3) | instid1(VALU_DEP_3)
	v_add_co_ci_u32_e64 v11, s0, 0, v6, s0
	v_sub_co_u32 v12, s0, v3, s28
	v_sub_co_ci_u32_e32 v4, vcc_lo, v9, v4, vcc_lo
	v_subrev_co_ci_u32_e64 v7, s0, 0, v7, s0
	v_cmp_le_u32_e32 vcc_lo, s28, v12
	s_delay_alu instid0(VALU_DEP_3) | instskip(SKIP_1) | instid1(VALU_DEP_4)
	v_cmp_eq_u32_e64 s0, s29, v4
	v_cndmask_b32_e64 v9, 0, -1, vcc_lo
	v_cmp_le_u32_e32 vcc_lo, s29, v7
	v_cndmask_b32_e64 v12, 0, -1, vcc_lo
	v_cmp_le_u32_e32 vcc_lo, s28, v3
	;; [unrolled: 2-line block ×3, first 2 shown]
	v_cndmask_b32_e64 v13, 0, -1, vcc_lo
	v_cmp_eq_u32_e32 vcc_lo, s29, v7
	s_delay_alu instid0(VALU_DEP_2) | instskip(SKIP_3) | instid1(VALU_DEP_3)
	v_cndmask_b32_e64 v3, v13, v3, s0
	v_cndmask_b32_e32 v7, v12, v9, vcc_lo
	v_add_co_u32 v9, vcc_lo, v5, 1
	v_add_co_ci_u32_e32 v12, vcc_lo, 0, v6, vcc_lo
	v_cmp_ne_u32_e32 vcc_lo, 0, v7
	s_delay_alu instid0(VALU_DEP_2) | instskip(SKIP_2) | instid1(VALU_DEP_3)
	v_dual_cndmask_b32 v4, v12, v11 :: v_dual_cndmask_b32 v7, v9, v8
	v_cmp_ne_u32_e32 vcc_lo, 0, v3
	v_xor_b32_e32 v3, s24, v10
	v_dual_cndmask_b32 v5, v5, v7 :: v_dual_cndmask_b32 v4, v6, v4
	s_delay_alu instid0(VALU_DEP_1) | instskip(NEXT) | instid1(VALU_DEP_2)
	v_xor_b32_e32 v5, v5, v3
	v_xor_b32_e32 v4, v4, v3
	s_delay_alu instid0(VALU_DEP_2) | instskip(NEXT) | instid1(VALU_DEP_2)
	v_sub_co_u32 v8, vcc_lo, v5, v3
	v_sub_co_ci_u32_e32 v9, vcc_lo, v4, v3, vcc_lo
.LBB102_5:                              ;   in Loop: Header=BB102_3 Depth=1
	s_and_not1_saveexec_b32 s0, s1
; %bb.6:                                ;   in Loop: Header=BB102_3 Depth=1
	v_mul_hi_u32 v3, v0, v14
	v_mov_b32_e32 v9, v2
	s_delay_alu instid0(VALU_DEP_2) | instskip(NEXT) | instid1(VALU_DEP_1)
	v_mul_lo_u32 v4, v3, s2
	v_sub_nc_u32_e32 v4, v0, v4
	s_delay_alu instid0(VALU_DEP_1) | instskip(SKIP_1) | instid1(VALU_DEP_2)
	v_subrev_nc_u32_e32 v6, s2, v4
	v_cmp_le_u32_e32 vcc_lo, s2, v4
	v_dual_cndmask_b32 v4, v4, v6 :: v_dual_add_nc_u32 v5, 1, v3
	s_delay_alu instid0(VALU_DEP_1) | instskip(NEXT) | instid1(VALU_DEP_2)
	v_cndmask_b32_e32 v3, v3, v5, vcc_lo
	v_cmp_le_u32_e32 vcc_lo, s2, v4
	s_delay_alu instid0(VALU_DEP_2) | instskip(NEXT) | instid1(VALU_DEP_1)
	v_add_nc_u32_e32 v5, 1, v3
	v_cndmask_b32_e32 v8, v3, v5, vcc_lo
; %bb.7:                                ;   in Loop: Header=BB102_3 Depth=1
	s_or_b32 exec_lo, exec_lo, s0
	v_or_b32_e32 v3, s23, v9
                                        ; implicit-def: $vgpr6_vgpr7
	s_mov_b32 s0, exec_lo
	s_delay_alu instid0(VALU_DEP_1)
	v_cmpx_ne_u64_e32 0, v[2:3]
	s_xor_b32 s1, exec_lo, s0
	s_cbranch_execz .LBB102_9
; %bb.8:                                ;   in Loop: Header=BB102_3 Depth=1
	s_add_u32 s28, s22, s26
	s_mov_b32 s27, s26
	s_addc_u32 s29, s23, s26
	s_delay_alu instid0(SALU_CYCLE_1) | instskip(NEXT) | instid1(SALU_CYCLE_1)
	s_xor_b64 s[28:29], s[28:29], s[26:27]
	v_cvt_f32_u32_e32 v3, s28
	v_cvt_f32_u32_e32 v4, s29
	s_sub_u32 s0, 0, s28
	s_subb_u32 s25, 0, s29
	s_delay_alu instid0(VALU_DEP_1) | instskip(NEXT) | instid1(VALU_DEP_1)
	v_fmac_f32_e32 v3, 0x4f800000, v4
	v_rcp_f32_e32 v3, v3
	s_waitcnt_depctr 0xfff
	v_mul_f32_e32 v3, 0x5f7ffffc, v3
	s_delay_alu instid0(VALU_DEP_1) | instskip(NEXT) | instid1(VALU_DEP_1)
	v_mul_f32_e32 v4, 0x2f800000, v3
	v_trunc_f32_e32 v4, v4
	s_delay_alu instid0(VALU_DEP_1) | instskip(SKIP_1) | instid1(VALU_DEP_2)
	v_fmac_f32_e32 v3, 0xcf800000, v4
	v_cvt_u32_f32_e32 v4, v4
	v_cvt_u32_f32_e32 v3, v3
	s_delay_alu instid0(VALU_DEP_2) | instskip(NEXT) | instid1(VALU_DEP_2)
	v_mul_lo_u32 v5, s0, v4
	v_mul_hi_u32 v6, s0, v3
	v_mul_lo_u32 v7, s25, v3
	s_delay_alu instid0(VALU_DEP_2) | instskip(SKIP_1) | instid1(VALU_DEP_2)
	v_add_nc_u32_e32 v5, v6, v5
	v_mul_lo_u32 v6, s0, v3
	v_add_nc_u32_e32 v5, v5, v7
	s_delay_alu instid0(VALU_DEP_2) | instskip(NEXT) | instid1(VALU_DEP_2)
	v_mul_hi_u32 v7, v3, v6
	v_mul_lo_u32 v10, v3, v5
	v_mul_hi_u32 v11, v3, v5
	v_mul_hi_u32 v12, v4, v6
	v_mul_lo_u32 v6, v4, v6
	v_mul_hi_u32 v13, v4, v5
	v_mul_lo_u32 v5, v4, v5
	v_add_co_u32 v7, vcc_lo, v7, v10
	v_add_co_ci_u32_e32 v10, vcc_lo, 0, v11, vcc_lo
	s_delay_alu instid0(VALU_DEP_2) | instskip(NEXT) | instid1(VALU_DEP_2)
	v_add_co_u32 v6, vcc_lo, v7, v6
	v_add_co_ci_u32_e32 v6, vcc_lo, v10, v12, vcc_lo
	v_add_co_ci_u32_e32 v7, vcc_lo, 0, v13, vcc_lo
	v_ashrrev_i32_e32 v12, 31, v9
	s_delay_alu instid0(VALU_DEP_3) | instskip(NEXT) | instid1(VALU_DEP_3)
	v_add_co_u32 v5, vcc_lo, v6, v5
	v_add_co_ci_u32_e32 v6, vcc_lo, 0, v7, vcc_lo
	s_delay_alu instid0(VALU_DEP_2) | instskip(NEXT) | instid1(VALU_DEP_2)
	v_add_co_u32 v3, vcc_lo, v3, v5
	v_add_co_ci_u32_e32 v4, vcc_lo, v4, v6, vcc_lo
	s_delay_alu instid0(VALU_DEP_2) | instskip(SKIP_1) | instid1(VALU_DEP_3)
	v_mul_hi_u32 v5, s0, v3
	v_mul_lo_u32 v7, s25, v3
	v_mul_lo_u32 v6, s0, v4
	s_delay_alu instid0(VALU_DEP_1) | instskip(SKIP_1) | instid1(VALU_DEP_2)
	v_add_nc_u32_e32 v5, v5, v6
	v_mul_lo_u32 v6, s0, v3
	v_add_nc_u32_e32 v5, v5, v7
	s_delay_alu instid0(VALU_DEP_2) | instskip(NEXT) | instid1(VALU_DEP_2)
	v_mul_hi_u32 v7, v3, v6
	v_mul_lo_u32 v10, v3, v5
	v_mul_hi_u32 v11, v3, v5
	v_mul_hi_u32 v13, v4, v6
	v_mul_lo_u32 v6, v4, v6
	v_mul_hi_u32 v15, v4, v5
	v_mul_lo_u32 v5, v4, v5
	v_add_co_u32 v7, vcc_lo, v7, v10
	v_add_co_ci_u32_e32 v10, vcc_lo, 0, v11, vcc_lo
	s_delay_alu instid0(VALU_DEP_2) | instskip(NEXT) | instid1(VALU_DEP_2)
	v_add_co_u32 v6, vcc_lo, v7, v6
	v_add_co_ci_u32_e32 v6, vcc_lo, v10, v13, vcc_lo
	v_add_co_ci_u32_e32 v7, vcc_lo, 0, v15, vcc_lo
	v_add_co_u32 v10, vcc_lo, v8, v12
	v_add_co_ci_u32_e32 v11, vcc_lo, v9, v12, vcc_lo
	s_delay_alu instid0(VALU_DEP_4) | instskip(NEXT) | instid1(VALU_DEP_4)
	v_add_co_u32 v5, vcc_lo, v6, v5
	v_add_co_ci_u32_e32 v6, vcc_lo, 0, v7, vcc_lo
	s_delay_alu instid0(VALU_DEP_4) | instskip(NEXT) | instid1(VALU_DEP_3)
	v_xor_b32_e32 v7, v10, v12
	v_add_co_u32 v10, vcc_lo, v3, v5
	s_delay_alu instid0(VALU_DEP_3) | instskip(SKIP_1) | instid1(VALU_DEP_3)
	v_add_co_ci_u32_e32 v13, vcc_lo, v4, v6, vcc_lo
	v_xor_b32_e32 v15, v11, v12
	v_mul_hi_u32 v16, v7, v10
	s_delay_alu instid0(VALU_DEP_3) | instskip(NEXT) | instid1(VALU_DEP_3)
	v_mad_u64_u32 v[3:4], null, v7, v13, 0
	v_mad_u64_u32 v[5:6], null, v15, v10, 0
	;; [unrolled: 1-line block ×3, first 2 shown]
	s_delay_alu instid0(VALU_DEP_3) | instskip(NEXT) | instid1(VALU_DEP_4)
	v_add_co_u32 v3, vcc_lo, v16, v3
	v_add_co_ci_u32_e32 v4, vcc_lo, 0, v4, vcc_lo
	s_delay_alu instid0(VALU_DEP_2) | instskip(NEXT) | instid1(VALU_DEP_2)
	v_add_co_u32 v3, vcc_lo, v3, v5
	v_add_co_ci_u32_e32 v3, vcc_lo, v4, v6, vcc_lo
	v_add_co_ci_u32_e32 v4, vcc_lo, 0, v11, vcc_lo
	s_delay_alu instid0(VALU_DEP_2) | instskip(NEXT) | instid1(VALU_DEP_2)
	v_add_co_u32 v5, vcc_lo, v3, v10
	v_add_co_ci_u32_e32 v6, vcc_lo, 0, v4, vcc_lo
	s_delay_alu instid0(VALU_DEP_2) | instskip(SKIP_1) | instid1(VALU_DEP_3)
	v_mul_lo_u32 v10, s29, v5
	v_mad_u64_u32 v[3:4], null, s28, v5, 0
	v_mul_lo_u32 v11, s28, v6
	s_delay_alu instid0(VALU_DEP_2) | instskip(NEXT) | instid1(VALU_DEP_2)
	v_sub_co_u32 v3, vcc_lo, v7, v3
	v_add3_u32 v4, v4, v11, v10
	s_delay_alu instid0(VALU_DEP_1) | instskip(NEXT) | instid1(VALU_DEP_1)
	v_sub_nc_u32_e32 v10, v15, v4
	v_subrev_co_ci_u32_e64 v7, s0, s29, v10, vcc_lo
	v_add_co_u32 v10, s0, v5, 2
	s_delay_alu instid0(VALU_DEP_1) | instskip(SKIP_3) | instid1(VALU_DEP_3)
	v_add_co_ci_u32_e64 v11, s0, 0, v6, s0
	v_sub_co_u32 v13, s0, v3, s28
	v_sub_co_ci_u32_e32 v4, vcc_lo, v15, v4, vcc_lo
	v_subrev_co_ci_u32_e64 v7, s0, 0, v7, s0
	v_cmp_le_u32_e32 vcc_lo, s28, v13
	s_delay_alu instid0(VALU_DEP_3) | instskip(SKIP_1) | instid1(VALU_DEP_4)
	v_cmp_eq_u32_e64 s0, s29, v4
	v_cndmask_b32_e64 v13, 0, -1, vcc_lo
	v_cmp_le_u32_e32 vcc_lo, s29, v7
	v_cndmask_b32_e64 v15, 0, -1, vcc_lo
	v_cmp_le_u32_e32 vcc_lo, s28, v3
	;; [unrolled: 2-line block ×3, first 2 shown]
	v_cndmask_b32_e64 v16, 0, -1, vcc_lo
	v_cmp_eq_u32_e32 vcc_lo, s29, v7
	s_delay_alu instid0(VALU_DEP_2) | instskip(SKIP_3) | instid1(VALU_DEP_3)
	v_cndmask_b32_e64 v3, v16, v3, s0
	v_cndmask_b32_e32 v7, v15, v13, vcc_lo
	v_add_co_u32 v13, vcc_lo, v5, 1
	v_add_co_ci_u32_e32 v15, vcc_lo, 0, v6, vcc_lo
	v_cmp_ne_u32_e32 vcc_lo, 0, v7
	s_delay_alu instid0(VALU_DEP_2) | instskip(SKIP_2) | instid1(VALU_DEP_3)
	v_dual_cndmask_b32 v4, v15, v11 :: v_dual_cndmask_b32 v7, v13, v10
	v_cmp_ne_u32_e32 vcc_lo, 0, v3
	v_xor_b32_e32 v3, s26, v12
	v_dual_cndmask_b32 v5, v5, v7 :: v_dual_cndmask_b32 v4, v6, v4
	s_delay_alu instid0(VALU_DEP_1) | instskip(NEXT) | instid1(VALU_DEP_2)
	v_xor_b32_e32 v5, v5, v3
	v_xor_b32_e32 v4, v4, v3
	s_delay_alu instid0(VALU_DEP_2) | instskip(NEXT) | instid1(VALU_DEP_2)
	v_sub_co_u32 v6, vcc_lo, v5, v3
	v_sub_co_ci_u32_e32 v7, vcc_lo, v4, v3, vcc_lo
.LBB102_9:                              ;   in Loop: Header=BB102_3 Depth=1
	s_and_not1_saveexec_b32 s0, s1
	s_cbranch_execz .LBB102_11
; %bb.10:                               ;   in Loop: Header=BB102_3 Depth=1
	v_cvt_f32_u32_e32 v3, s22
	s_sub_i32 s1, 0, s22
	v_mov_b32_e32 v7, v2
	s_delay_alu instid0(VALU_DEP_2) | instskip(SKIP_2) | instid1(VALU_DEP_1)
	v_rcp_iflag_f32_e32 v3, v3
	s_waitcnt_depctr 0xfff
	v_mul_f32_e32 v3, 0x4f7ffffe, v3
	v_cvt_u32_f32_e32 v3, v3
	s_delay_alu instid0(VALU_DEP_1) | instskip(NEXT) | instid1(VALU_DEP_1)
	v_mul_lo_u32 v4, s1, v3
	v_mul_hi_u32 v4, v3, v4
	s_delay_alu instid0(VALU_DEP_1) | instskip(NEXT) | instid1(VALU_DEP_1)
	v_add_nc_u32_e32 v3, v3, v4
	v_mul_hi_u32 v3, v8, v3
	s_delay_alu instid0(VALU_DEP_1) | instskip(SKIP_1) | instid1(VALU_DEP_2)
	v_mul_lo_u32 v4, v3, s22
	v_add_nc_u32_e32 v5, 1, v3
	v_sub_nc_u32_e32 v4, v8, v4
	s_delay_alu instid0(VALU_DEP_1) | instskip(SKIP_1) | instid1(VALU_DEP_2)
	v_subrev_nc_u32_e32 v6, s22, v4
	v_cmp_le_u32_e32 vcc_lo, s22, v4
	v_dual_cndmask_b32 v4, v4, v6 :: v_dual_cndmask_b32 v3, v3, v5
	s_delay_alu instid0(VALU_DEP_1) | instskip(NEXT) | instid1(VALU_DEP_2)
	v_cmp_le_u32_e32 vcc_lo, s22, v4
	v_add_nc_u32_e32 v5, 1, v3
	s_delay_alu instid0(VALU_DEP_1)
	v_cndmask_b32_e32 v6, v3, v5, vcc_lo
.LBB102_11:                             ;   in Loop: Header=BB102_3 Depth=1
	s_or_b32 exec_lo, exec_lo, s0
	v_mul_lo_u32 v5, v9, s2
	v_mul_lo_u32 v12, v8, s3
	v_mad_u64_u32 v[3:4], null, v8, s2, 0
	v_mul_lo_u32 v13, v7, s22
	v_mul_lo_u32 v15, v6, s23
	v_mad_u64_u32 v[10:11], null, v6, s22, 0
	s_mov_b32 s25, exec_lo
	s_delay_alu instid0(VALU_DEP_4) | instskip(SKIP_1) | instid1(VALU_DEP_3)
	v_add3_u32 v5, v4, v12, v5
	v_sub_co_u32 v4, vcc_lo, v0, v3
	v_add3_u32 v11, v11, v15, v13
	s_delay_alu instid0(VALU_DEP_3) | instskip(SKIP_1) | instid1(VALU_DEP_3)
	v_sub_co_ci_u32_e32 v5, vcc_lo, v1, v5, vcc_lo
	v_sub_co_u32 v15, vcc_lo, v8, v10
	v_sub_co_ci_u32_e32 v16, vcc_lo, v9, v11, vcc_lo
	s_delay_alu instid0(VALU_DEP_2) | instskip(NEXT) | instid1(VALU_DEP_2)
	v_sub_co_u32 v8, vcc_lo, v4, v15
	v_sub_co_ci_u32_e32 v9, vcc_lo, v5, v16, vcc_lo
	s_delay_alu instid0(VALU_DEP_1)
	v_cmpx_gt_i64_e64 s[4:5], v[8:9]
	s_cbranch_execz .LBB102_2
; %bb.12:                               ;   in Loop: Header=BB102_3 Depth=1
	s_clause 0x1
	s_load_b64 s[28:29], s[10:11], 0x0
	s_load_b64 s[0:1], s[12:13], 0x0
	s_and_b32 vcc_lo, exec_lo, s44
	s_mov_b64 s[30:31], s[20:21]
	s_mov_b64 s[34:35], s[18:19]
	;; [unrolled: 1-line block ×3, first 2 shown]
	s_waitcnt lgkmcnt(0)
	v_mul_lo_u32 v3, s29, v4
	v_mul_lo_u32 v10, s28, v5
	v_mad_u64_u32 v[8:9], null, s28, v4, 0
	s_delay_alu instid0(VALU_DEP_1) | instskip(SKIP_1) | instid1(VALU_DEP_2)
	v_add3_u32 v9, v9, v10, v3
	v_mul_lo_u32 v3, s0, v16
	v_mad_u64_u32 v[12:13], null, s0, v15, v[8:9]
	v_mul_lo_u32 v8, s1, v15
	s_delay_alu instid0(VALU_DEP_1) | instskip(NEXT) | instid1(VALU_DEP_1)
	v_add3_u32 v13, v8, v13, v3
	v_dual_mov_b32 v8, v12 :: v_dual_mov_b32 v9, v13
	s_cbranch_vccnz .LBB102_23
.LBB102_13:                             ;   in Loop: Header=BB102_3 Depth=1
	s_load_b64 s[0:1], s[14:15], 0x0
	s_waitcnt lgkmcnt(0)
	v_cmp_gt_i64_e32 vcc_lo, s[0:1], v[4:5]
	s_and_b32 exec_lo, exec_lo, vcc_lo
	s_cbranch_execz .LBB102_2
; %bb.14:                               ;   in Loop: Header=BB102_3 Depth=1
	v_add_co_u32 v8, vcc_lo, v4, 1
	v_add_co_ci_u32_e32 v9, vcc_lo, 0, v5, vcc_lo
	v_add_co_u32 v6, vcc_lo, s8, v12
	v_add_co_ci_u32_e32 v7, vcc_lo, s9, v13, vcc_lo
	s_delay_alu instid0(VALU_DEP_3)
	v_cmp_gt_i64_e32 vcc_lo, s[0:1], v[8:9]
	global_store_b8 v[6:7], v2, off
	s_and_b32 exec_lo, exec_lo, vcc_lo
	s_cbranch_execz .LBB102_2
; %bb.15:                               ;   in Loop: Header=BB102_3 Depth=1
	v_sub_co_u32 v8, vcc_lo, v8, v15
	v_sub_co_ci_u32_e32 v9, vcc_lo, v9, v16, vcc_lo
	s_mov_b32 s27, exec_lo
	s_delay_alu instid0(VALU_DEP_1)
	v_cmpx_gt_i64_e64 s[4:5], v[8:9]
	s_cbranch_execz .LBB102_17
; %bb.16:                               ;   in Loop: Header=BB102_3 Depth=1
	v_add_co_u32 v8, vcc_lo, v6, s28
	v_add_co_ci_u32_e32 v9, vcc_lo, s29, v7, vcc_lo
	global_store_b8 v[8:9], v2, off
.LBB102_17:                             ;   in Loop: Header=BB102_3 Depth=1
	s_or_b32 exec_lo, exec_lo, s27
	v_add_co_u32 v8, vcc_lo, v4, 2
	v_add_co_ci_u32_e32 v9, vcc_lo, 0, v5, vcc_lo
	s_delay_alu instid0(VALU_DEP_1)
	v_cmp_gt_i64_e32 vcc_lo, s[0:1], v[8:9]
	s_and_b32 exec_lo, exec_lo, vcc_lo
	s_cbranch_execz .LBB102_2
; %bb.18:                               ;   in Loop: Header=BB102_3 Depth=1
	v_sub_co_u32 v8, vcc_lo, v8, v15
	v_sub_co_ci_u32_e32 v9, vcc_lo, v9, v16, vcc_lo
	s_mov_b32 s27, exec_lo
	s_delay_alu instid0(VALU_DEP_1)
	v_cmpx_gt_i64_e64 s[4:5], v[8:9]
	s_cbranch_execz .LBB102_20
; %bb.19:                               ;   in Loop: Header=BB102_3 Depth=1
	s_lshl_b64 s[30:31], s[28:29], 1
	s_delay_alu instid0(SALU_CYCLE_1)
	v_add_co_u32 v8, vcc_lo, v6, s30
	v_add_co_ci_u32_e32 v9, vcc_lo, s31, v7, vcc_lo
	global_store_b8 v[8:9], v2, off
.LBB102_20:                             ;   in Loop: Header=BB102_3 Depth=1
	s_or_b32 exec_lo, exec_lo, s27
	v_add_co_u32 v3, vcc_lo, v4, 3
	v_add_co_ci_u32_e32 v4, vcc_lo, 0, v5, vcc_lo
	s_delay_alu instid0(VALU_DEP_2) | instskip(NEXT) | instid1(VALU_DEP_2)
	v_sub_co_u32 v8, vcc_lo, v3, v15
	v_sub_co_ci_u32_e32 v9, vcc_lo, v4, v16, vcc_lo
	v_cmp_gt_i64_e32 vcc_lo, s[0:1], v[3:4]
	s_delay_alu instid0(VALU_DEP_2) | instskip(NEXT) | instid1(VALU_DEP_1)
	v_cmp_gt_i64_e64 s0, s[4:5], v[8:9]
	s_and_b32 s0, vcc_lo, s0
	s_delay_alu instid0(SALU_CYCLE_1)
	s_and_b32 exec_lo, exec_lo, s0
	s_cbranch_execz .LBB102_2
; %bb.21:                               ;   in Loop: Header=BB102_3 Depth=1
	v_mad_u64_u32 v[3:4], null, s28, 3, v[6:7]
	s_delay_alu instid0(VALU_DEP_1) | instskip(NEXT) | instid1(VALU_DEP_1)
	v_mad_u64_u32 v[5:6], null, s29, 3, v[4:5]
	v_mov_b32_e32 v4, v5
	global_store_b8 v[3:4], v2, off
	s_branch .LBB102_2
.LBB102_22:                             ;   in Loop: Header=BB102_23 Depth=2
	s_or_b32 exec_lo, exec_lo, s0
	s_load_b64 s[0:1], s[36:37], 0x0
	s_delay_alu instid0(VALU_DEP_1)
	v_mul_lo_u32 v3, v11, s38
	v_mul_lo_u32 v17, v10, s39
	v_mad_u64_u32 v[12:13], null, v10, s38, 0
	s_add_u32 s36, s36, -8
	s_addc_u32 s37, s37, -1
	s_add_u32 s34, s34, -8
	s_addc_u32 s35, s35, -1
	;; [unrolled: 2-line block ×3, first 2 shown]
	s_delay_alu instid0(VALU_DEP_1) | instskip(SKIP_1) | instid1(VALU_DEP_2)
	v_add3_u32 v3, v13, v17, v3
	v_sub_co_u32 v6, vcc_lo, v6, v12
	v_sub_co_ci_u32_e32 v3, vcc_lo, v7, v3, vcc_lo
	s_waitcnt lgkmcnt(0)
	s_delay_alu instid0(VALU_DEP_2) | instskip(NEXT) | instid1(VALU_DEP_2)
	v_mul_lo_u32 v7, s1, v6
	v_mul_lo_u32 v3, s0, v3
	v_mad_u64_u32 v[12:13], null, s0, v6, v[8:9]
	v_cmp_lt_i64_e64 s0, s[30:31], 1
	s_delay_alu instid0(VALU_DEP_1) | instskip(NEXT) | instid1(VALU_DEP_2)
	s_and_b32 vcc_lo, exec_lo, s0
	v_add3_u32 v13, v7, v13, v3
	s_delay_alu instid0(VALU_DEP_3) | instskip(SKIP_1) | instid1(VALU_DEP_3)
	v_mov_b32_e32 v8, v12
	v_dual_mov_b32 v6, v10 :: v_dual_mov_b32 v7, v11
	v_mov_b32_e32 v9, v13
	s_cbranch_vccnz .LBB102_13
.LBB102_23:                             ;   Parent Loop BB102_3 Depth=1
                                        ; =>  This Inner Loop Header: Depth=2
	s_load_b64 s[38:39], s[34:35], 0x0
                                        ; implicit-def: $vgpr10_vgpr11
	s_mov_b32 s0, exec_lo
	s_waitcnt lgkmcnt(0)
	v_or_b32_e32 v3, s39, v7
	s_delay_alu instid0(VALU_DEP_1)
	v_cmpx_ne_u64_e32 0, v[2:3]
	s_xor_b32 s1, exec_lo, s0
	s_cbranch_execz .LBB102_25
; %bb.24:                               ;   in Loop: Header=BB102_23 Depth=2
	s_ashr_i32 s40, s39, 31
	s_delay_alu instid0(SALU_CYCLE_1) | instskip(SKIP_2) | instid1(SALU_CYCLE_1)
	s_add_u32 s42, s38, s40
	s_mov_b32 s41, s40
	s_addc_u32 s43, s39, s40
	s_xor_b64 s[42:43], s[42:43], s[40:41]
	s_delay_alu instid0(SALU_CYCLE_1) | instskip(SKIP_3) | instid1(VALU_DEP_1)
	v_cvt_f32_u32_e32 v3, s42
	v_cvt_f32_u32_e32 v10, s43
	s_sub_u32 s0, 0, s42
	s_subb_u32 s27, 0, s43
	v_fmac_f32_e32 v3, 0x4f800000, v10
	s_delay_alu instid0(VALU_DEP_1) | instskip(SKIP_2) | instid1(VALU_DEP_1)
	v_rcp_f32_e32 v3, v3
	s_waitcnt_depctr 0xfff
	v_mul_f32_e32 v3, 0x5f7ffffc, v3
	v_mul_f32_e32 v10, 0x2f800000, v3
	s_delay_alu instid0(VALU_DEP_1) | instskip(NEXT) | instid1(VALU_DEP_1)
	v_trunc_f32_e32 v10, v10
	v_fmac_f32_e32 v3, 0xcf800000, v10
	v_cvt_u32_f32_e32 v10, v10
	s_delay_alu instid0(VALU_DEP_2) | instskip(NEXT) | instid1(VALU_DEP_2)
	v_cvt_u32_f32_e32 v3, v3
	v_mul_lo_u32 v11, s0, v10
	s_delay_alu instid0(VALU_DEP_2) | instskip(SKIP_1) | instid1(VALU_DEP_2)
	v_mul_hi_u32 v12, s0, v3
	v_mul_lo_u32 v13, s27, v3
	v_add_nc_u32_e32 v11, v12, v11
	v_mul_lo_u32 v12, s0, v3
	s_delay_alu instid0(VALU_DEP_2) | instskip(NEXT) | instid1(VALU_DEP_2)
	v_add_nc_u32_e32 v11, v11, v13
	v_mul_hi_u32 v13, v3, v12
	s_delay_alu instid0(VALU_DEP_2)
	v_mul_lo_u32 v17, v3, v11
	v_mul_hi_u32 v18, v3, v11
	v_mul_hi_u32 v19, v10, v12
	v_mul_lo_u32 v12, v10, v12
	v_mul_hi_u32 v20, v10, v11
	v_mul_lo_u32 v11, v10, v11
	v_add_co_u32 v13, vcc_lo, v13, v17
	v_add_co_ci_u32_e32 v17, vcc_lo, 0, v18, vcc_lo
	s_delay_alu instid0(VALU_DEP_2) | instskip(NEXT) | instid1(VALU_DEP_2)
	v_add_co_u32 v12, vcc_lo, v13, v12
	v_add_co_ci_u32_e32 v12, vcc_lo, v17, v19, vcc_lo
	v_add_co_ci_u32_e32 v13, vcc_lo, 0, v20, vcc_lo
	v_ashrrev_i32_e32 v19, 31, v7
	s_delay_alu instid0(VALU_DEP_3) | instskip(NEXT) | instid1(VALU_DEP_3)
	v_add_co_u32 v11, vcc_lo, v12, v11
	v_add_co_ci_u32_e32 v12, vcc_lo, 0, v13, vcc_lo
	s_delay_alu instid0(VALU_DEP_2) | instskip(NEXT) | instid1(VALU_DEP_2)
	v_add_co_u32 v3, vcc_lo, v3, v11
	v_add_co_ci_u32_e32 v10, vcc_lo, v10, v12, vcc_lo
	s_delay_alu instid0(VALU_DEP_2) | instskip(SKIP_1) | instid1(VALU_DEP_3)
	v_mul_hi_u32 v11, s0, v3
	v_mul_lo_u32 v13, s27, v3
	v_mul_lo_u32 v12, s0, v10
	s_delay_alu instid0(VALU_DEP_1) | instskip(SKIP_1) | instid1(VALU_DEP_2)
	v_add_nc_u32_e32 v11, v11, v12
	v_mul_lo_u32 v12, s0, v3
	v_add_nc_u32_e32 v11, v11, v13
	s_delay_alu instid0(VALU_DEP_2) | instskip(NEXT) | instid1(VALU_DEP_2)
	v_mul_hi_u32 v13, v3, v12
	v_mul_lo_u32 v17, v3, v11
	v_mul_hi_u32 v18, v3, v11
	v_mul_hi_u32 v20, v10, v12
	v_mul_lo_u32 v12, v10, v12
	v_mul_hi_u32 v21, v10, v11
	v_mul_lo_u32 v11, v10, v11
	v_add_co_u32 v13, vcc_lo, v13, v17
	v_add_co_ci_u32_e32 v17, vcc_lo, 0, v18, vcc_lo
	s_delay_alu instid0(VALU_DEP_2) | instskip(NEXT) | instid1(VALU_DEP_2)
	v_add_co_u32 v12, vcc_lo, v13, v12
	v_add_co_ci_u32_e32 v12, vcc_lo, v17, v20, vcc_lo
	v_add_co_ci_u32_e32 v13, vcc_lo, 0, v21, vcc_lo
	v_add_co_u32 v17, vcc_lo, v6, v19
	v_add_co_ci_u32_e32 v18, vcc_lo, v7, v19, vcc_lo
	s_delay_alu instid0(VALU_DEP_4) | instskip(NEXT) | instid1(VALU_DEP_4)
	v_add_co_u32 v11, vcc_lo, v12, v11
	v_add_co_ci_u32_e32 v12, vcc_lo, 0, v13, vcc_lo
	s_delay_alu instid0(VALU_DEP_4) | instskip(NEXT) | instid1(VALU_DEP_3)
	v_xor_b32_e32 v20, v17, v19
	v_add_co_u32 v3, vcc_lo, v3, v11
	s_delay_alu instid0(VALU_DEP_3) | instskip(SKIP_1) | instid1(VALU_DEP_3)
	v_add_co_ci_u32_e32 v21, vcc_lo, v10, v12, vcc_lo
	v_xor_b32_e32 v22, v18, v19
	v_mul_hi_u32 v23, v20, v3
	s_delay_alu instid0(VALU_DEP_3) | instskip(NEXT) | instid1(VALU_DEP_3)
	v_mad_u64_u32 v[10:11], null, v20, v21, 0
	v_mad_u64_u32 v[12:13], null, v22, v3, 0
	;; [unrolled: 1-line block ×3, first 2 shown]
	s_delay_alu instid0(VALU_DEP_3) | instskip(NEXT) | instid1(VALU_DEP_4)
	v_add_co_u32 v3, vcc_lo, v23, v10
	v_add_co_ci_u32_e32 v10, vcc_lo, 0, v11, vcc_lo
	s_delay_alu instid0(VALU_DEP_2) | instskip(NEXT) | instid1(VALU_DEP_2)
	v_add_co_u32 v3, vcc_lo, v3, v12
	v_add_co_ci_u32_e32 v3, vcc_lo, v10, v13, vcc_lo
	v_add_co_ci_u32_e32 v10, vcc_lo, 0, v18, vcc_lo
	s_delay_alu instid0(VALU_DEP_2) | instskip(NEXT) | instid1(VALU_DEP_2)
	v_add_co_u32 v3, vcc_lo, v3, v17
	v_add_co_ci_u32_e32 v12, vcc_lo, 0, v10, vcc_lo
	s_delay_alu instid0(VALU_DEP_2) | instskip(SKIP_1) | instid1(VALU_DEP_3)
	v_mul_lo_u32 v13, s43, v3
	v_mad_u64_u32 v[10:11], null, s42, v3, 0
	v_mul_lo_u32 v17, s42, v12
	s_delay_alu instid0(VALU_DEP_2) | instskip(NEXT) | instid1(VALU_DEP_2)
	v_sub_co_u32 v10, vcc_lo, v20, v10
	v_add3_u32 v11, v11, v17, v13
	s_delay_alu instid0(VALU_DEP_1) | instskip(NEXT) | instid1(VALU_DEP_1)
	v_sub_nc_u32_e32 v13, v22, v11
	v_subrev_co_ci_u32_e64 v13, s0, s43, v13, vcc_lo
	v_add_co_u32 v17, s0, v3, 2
	s_delay_alu instid0(VALU_DEP_1) | instskip(SKIP_3) | instid1(VALU_DEP_3)
	v_add_co_ci_u32_e64 v18, s0, 0, v12, s0
	v_sub_co_u32 v20, s0, v10, s42
	v_sub_co_ci_u32_e32 v11, vcc_lo, v22, v11, vcc_lo
	v_subrev_co_ci_u32_e64 v13, s0, 0, v13, s0
	v_cmp_le_u32_e32 vcc_lo, s42, v20
	s_delay_alu instid0(VALU_DEP_3) | instskip(SKIP_1) | instid1(VALU_DEP_4)
	v_cmp_eq_u32_e64 s0, s43, v11
	v_cndmask_b32_e64 v20, 0, -1, vcc_lo
	v_cmp_le_u32_e32 vcc_lo, s43, v13
	v_cndmask_b32_e64 v21, 0, -1, vcc_lo
	v_cmp_le_u32_e32 vcc_lo, s42, v10
	;; [unrolled: 2-line block ×3, first 2 shown]
	v_cndmask_b32_e64 v22, 0, -1, vcc_lo
	v_cmp_eq_u32_e32 vcc_lo, s43, v13
	s_delay_alu instid0(VALU_DEP_2) | instskip(SKIP_3) | instid1(VALU_DEP_3)
	v_cndmask_b32_e64 v10, v22, v10, s0
	v_cndmask_b32_e32 v13, v21, v20, vcc_lo
	v_add_co_u32 v20, vcc_lo, v3, 1
	v_add_co_ci_u32_e32 v21, vcc_lo, 0, v12, vcc_lo
	v_cmp_ne_u32_e32 vcc_lo, 0, v13
	s_delay_alu instid0(VALU_DEP_2) | instskip(NEXT) | instid1(VALU_DEP_4)
	v_cndmask_b32_e32 v11, v21, v18, vcc_lo
	v_cndmask_b32_e32 v13, v20, v17, vcc_lo
	v_cmp_ne_u32_e32 vcc_lo, 0, v10
	v_xor_b32_e32 v17, s40, v19
	s_delay_alu instid0(VALU_DEP_3) | instskip(NEXT) | instid1(VALU_DEP_1)
	v_dual_cndmask_b32 v3, v3, v13 :: v_dual_cndmask_b32 v10, v12, v11
	v_xor_b32_e32 v3, v3, v17
	s_delay_alu instid0(VALU_DEP_2) | instskip(NEXT) | instid1(VALU_DEP_2)
	v_xor_b32_e32 v11, v10, v17
	v_sub_co_u32 v10, vcc_lo, v3, v17
	s_delay_alu instid0(VALU_DEP_2)
	v_sub_co_ci_u32_e32 v11, vcc_lo, v11, v17, vcc_lo
.LBB102_25:                             ;   in Loop: Header=BB102_23 Depth=2
	s_and_not1_saveexec_b32 s0, s1
	s_cbranch_execz .LBB102_22
; %bb.26:                               ;   in Loop: Header=BB102_23 Depth=2
	v_cvt_f32_u32_e32 v3, s38
	s_sub_i32 s1, 0, s38
	s_delay_alu instid0(VALU_DEP_1) | instskip(SKIP_2) | instid1(VALU_DEP_1)
	v_rcp_iflag_f32_e32 v3, v3
	s_waitcnt_depctr 0xfff
	v_mul_f32_e32 v3, 0x4f7ffffe, v3
	v_cvt_u32_f32_e32 v3, v3
	s_delay_alu instid0(VALU_DEP_1) | instskip(NEXT) | instid1(VALU_DEP_1)
	v_mul_lo_u32 v10, s1, v3
	v_mul_hi_u32 v10, v3, v10
	s_delay_alu instid0(VALU_DEP_1) | instskip(NEXT) | instid1(VALU_DEP_1)
	v_add_nc_u32_e32 v3, v3, v10
	v_mul_hi_u32 v3, v6, v3
	s_delay_alu instid0(VALU_DEP_1) | instskip(SKIP_1) | instid1(VALU_DEP_2)
	v_mul_lo_u32 v10, v3, s38
	v_add_nc_u32_e32 v11, 1, v3
	v_sub_nc_u32_e32 v10, v6, v10
	s_delay_alu instid0(VALU_DEP_1) | instskip(SKIP_1) | instid1(VALU_DEP_2)
	v_subrev_nc_u32_e32 v12, s38, v10
	v_cmp_le_u32_e32 vcc_lo, s38, v10
	v_dual_cndmask_b32 v10, v10, v12 :: v_dual_cndmask_b32 v3, v3, v11
	s_delay_alu instid0(VALU_DEP_1) | instskip(NEXT) | instid1(VALU_DEP_2)
	v_cmp_le_u32_e32 vcc_lo, s38, v10
	v_add_nc_u32_e32 v11, 1, v3
	s_delay_alu instid0(VALU_DEP_1)
	v_dual_cndmask_b32 v10, v3, v11 :: v_dual_mov_b32 v11, v2
	s_branch .LBB102_22
.LBB102_27:
	s_nop 0
	s_sendmsg sendmsg(MSG_DEALLOC_VGPRS)
	s_endpgm
	.section	.rodata,"a",@progbits
	.p2align	6, 0x0
	.amdhsa_kernel _ZN2at6native16triu_tril_kernelIblLb1ELi4ELb1EEEvNS_4cuda6detail10TensorInfoIT_T0_EENS4_IKS5_S6_EEllS6_
		.amdhsa_group_segment_fixed_size 0
		.amdhsa_private_segment_fixed_size 0
		.amdhsa_kernarg_size 1112
		.amdhsa_user_sgpr_count 15
		.amdhsa_user_sgpr_dispatch_ptr 0
		.amdhsa_user_sgpr_queue_ptr 0
		.amdhsa_user_sgpr_kernarg_segment_ptr 1
		.amdhsa_user_sgpr_dispatch_id 0
		.amdhsa_user_sgpr_private_segment_size 0
		.amdhsa_wavefront_size32 1
		.amdhsa_uses_dynamic_stack 0
		.amdhsa_enable_private_segment 0
		.amdhsa_system_sgpr_workgroup_id_x 1
		.amdhsa_system_sgpr_workgroup_id_y 0
		.amdhsa_system_sgpr_workgroup_id_z 0
		.amdhsa_system_sgpr_workgroup_info 0
		.amdhsa_system_vgpr_workitem_id 0
		.amdhsa_next_free_vgpr 24
		.amdhsa_next_free_sgpr 46
		.amdhsa_reserve_vcc 1
		.amdhsa_float_round_mode_32 0
		.amdhsa_float_round_mode_16_64 0
		.amdhsa_float_denorm_mode_32 3
		.amdhsa_float_denorm_mode_16_64 3
		.amdhsa_dx10_clamp 1
		.amdhsa_ieee_mode 1
		.amdhsa_fp16_overflow 0
		.amdhsa_workgroup_processor_mode 1
		.amdhsa_memory_ordered 1
		.amdhsa_forward_progress 0
		.amdhsa_shared_vgpr_count 0
		.amdhsa_exception_fp_ieee_invalid_op 0
		.amdhsa_exception_fp_denorm_src 0
		.amdhsa_exception_fp_ieee_div_zero 0
		.amdhsa_exception_fp_ieee_overflow 0
		.amdhsa_exception_fp_ieee_underflow 0
		.amdhsa_exception_fp_ieee_inexact 0
		.amdhsa_exception_int_div_zero 0
	.end_amdhsa_kernel
	.section	.text._ZN2at6native16triu_tril_kernelIblLb1ELi4ELb1EEEvNS_4cuda6detail10TensorInfoIT_T0_EENS4_IKS5_S6_EEllS6_,"axG",@progbits,_ZN2at6native16triu_tril_kernelIblLb1ELi4ELb1EEEvNS_4cuda6detail10TensorInfoIT_T0_EENS4_IKS5_S6_EEllS6_,comdat
.Lfunc_end102:
	.size	_ZN2at6native16triu_tril_kernelIblLb1ELi4ELb1EEEvNS_4cuda6detail10TensorInfoIT_T0_EENS4_IKS5_S6_EEllS6_, .Lfunc_end102-_ZN2at6native16triu_tril_kernelIblLb1ELi4ELb1EEEvNS_4cuda6detail10TensorInfoIT_T0_EENS4_IKS5_S6_EEllS6_
                                        ; -- End function
	.section	.AMDGPU.csdata,"",@progbits
; Kernel info:
; codeLenInByte = 4044
; NumSgprs: 48
; NumVgprs: 24
; ScratchSize: 0
; MemoryBound: 0
; FloatMode: 240
; IeeeMode: 1
; LDSByteSize: 0 bytes/workgroup (compile time only)
; SGPRBlocks: 5
; VGPRBlocks: 2
; NumSGPRsForWavesPerEU: 48
; NumVGPRsForWavesPerEU: 24
; Occupancy: 16
; WaveLimiterHint : 0
; COMPUTE_PGM_RSRC2:SCRATCH_EN: 0
; COMPUTE_PGM_RSRC2:USER_SGPR: 15
; COMPUTE_PGM_RSRC2:TRAP_HANDLER: 0
; COMPUTE_PGM_RSRC2:TGID_X_EN: 1
; COMPUTE_PGM_RSRC2:TGID_Y_EN: 0
; COMPUTE_PGM_RSRC2:TGID_Z_EN: 0
; COMPUTE_PGM_RSRC2:TIDIG_COMP_CNT: 0
	.section	.text._ZN2at6native16triu_tril_kernelIblLb1ELi4ELb0EEEvNS_4cuda6detail10TensorInfoIT_T0_EENS4_IKS5_S6_EEllS6_,"axG",@progbits,_ZN2at6native16triu_tril_kernelIblLb1ELi4ELb0EEEvNS_4cuda6detail10TensorInfoIT_T0_EENS4_IKS5_S6_EEllS6_,comdat
	.protected	_ZN2at6native16triu_tril_kernelIblLb1ELi4ELb0EEEvNS_4cuda6detail10TensorInfoIT_T0_EENS4_IKS5_S6_EEllS6_ ; -- Begin function _ZN2at6native16triu_tril_kernelIblLb1ELi4ELb0EEEvNS_4cuda6detail10TensorInfoIT_T0_EENS4_IKS5_S6_EEllS6_
	.globl	_ZN2at6native16triu_tril_kernelIblLb1ELi4ELb0EEEvNS_4cuda6detail10TensorInfoIT_T0_EENS4_IKS5_S6_EEllS6_
	.p2align	8
	.type	_ZN2at6native16triu_tril_kernelIblLb1ELi4ELb0EEEvNS_4cuda6detail10TensorInfoIT_T0_EENS4_IKS5_S6_EEllS6_,@function
_ZN2at6native16triu_tril_kernelIblLb1ELi4ELb0EEEvNS_4cuda6detail10TensorInfoIT_T0_EENS4_IKS5_S6_EEllS6_: ; @_ZN2at6native16triu_tril_kernelIblLb1ELi4ELb0EEEvNS_4cuda6detail10TensorInfoIT_T0_EENS4_IKS5_S6_EEllS6_
; %bb.0:
	s_clause 0x1
	s_load_b32 s4, s[0:1], 0x364
	s_load_b128 s[8:11], s[0:1], 0x340
	v_mov_b32_e32 v2, 0
	s_add_u32 s2, s0, 0x358
	s_addc_u32 s3, s1, 0
	s_mov_b32 s5, exec_lo
	s_delay_alu instid0(VALU_DEP_1)
	v_mov_b32_e32 v1, v2
	s_waitcnt lgkmcnt(0)
	s_and_b32 s4, s4, 0xffff
	s_delay_alu instid0(VALU_DEP_1) | instid1(SALU_CYCLE_1)
	v_mad_u64_u32 v[3:4], null, s4, s15, v[0:1]
	s_delay_alu instid0(VALU_DEP_1) | instskip(NEXT) | instid1(VALU_DEP_1)
	v_lshlrev_b64 v[0:1], 2, v[3:4]
	v_cmpx_gt_i64_e64 s[10:11], v[0:1]
	s_cbranch_execz .LBB103_32
; %bb.1:
	s_clause 0x1
	s_load_b32 s6, s[0:1], 0x338
	s_load_b64 s[24:25], s[0:1], 0x350
	s_add_u32 s5, s0, 0x1a0
	s_addc_u32 s12, s1, 0
	s_load_b32 s30, s[2:3], 0x0
	s_clause 0x1
	s_load_b64 s[26:27], s[0:1], 0x1a0
	s_load_b64 s[28:29], s[0:1], 0x0
	s_mov_b32 s47, 0
	s_waitcnt lgkmcnt(0)
	s_ashr_i32 s7, s6, 31
	s_add_u32 s34, s0, 0x1a8
	s_addc_u32 s35, s1, 0
	s_lshl_b64 s[2:3], s[6:7], 3
	v_cvt_f32_u32_e32 v3, s24
	s_add_u32 s13, s2, -16
	s_addc_u32 s14, s3, -1
	s_add_u32 s2, s34, s13
	s_addc_u32 s3, s35, s14
	s_add_u32 s16, s5, s13
	s_addc_u32 s17, s12, s14
	;; [unrolled: 2-line block ×4, first 2 shown]
	s_clause 0x2
	s_load_b128 s[12:15], s[2:3], 0x0
	s_load_b128 s[16:19], s[16:17], 0xd0
	;; [unrolled: 1-line block ×3, first 2 shown]
	v_rcp_iflag_f32_e32 v3, v3
	s_add_i32 s0, s6, -3
	s_mul_i32 s30, s30, s4
	s_ashr_i32 s1, s0, 31
	s_lshl_b32 s46, s30, 2
	s_lshl_b64 s[2:3], s[0:1], 3
	v_cmp_gt_i64_e64 s33, s[6:7], 2
	s_add_u32 s30, s5, s2
	s_addc_u32 s31, s31, s3
	s_add_u32 s34, s34, s2
	s_waitcnt_depctr 0xfff
	v_mul_f32_e32 v3, 0x4f7ffffe, v3
	s_addc_u32 s35, s35, s3
	s_add_u32 s36, s0, 1
	s_addc_u32 s37, s1, 0
	s_ashr_i32 s38, s25, 31
	v_cvt_u32_f32_e32 v18, v3
	s_branch .LBB103_3
.LBB103_2:                              ;   in Loop: Header=BB103_3 Depth=1
	s_or_b32 exec_lo, exec_lo, s0
	v_add_co_u32 v0, vcc_lo, v0, s46
	v_add_co_ci_u32_e32 v1, vcc_lo, 0, v1, vcc_lo
	s_delay_alu instid0(VALU_DEP_1) | instskip(SKIP_1) | instid1(SALU_CYCLE_1)
	v_cmp_le_i64_e32 vcc_lo, s[10:11], v[0:1]
	s_or_b32 s47, vcc_lo, s47
	s_and_not1_b32 exec_lo, exec_lo, s47
	s_cbranch_execz .LBB103_32
.LBB103_3:                              ; =>This Loop Header: Depth=1
                                        ;     Child Loop BB103_28 Depth 2
	v_or_b32_e32 v3, s25, v1
                                        ; implicit-def: $vgpr8_vgpr9
	s_mov_b32 s0, exec_lo
	s_delay_alu instid0(VALU_DEP_1)
	v_cmpx_ne_u64_e32 0, v[2:3]
	s_xor_b32 s1, exec_lo, s0
	s_cbranch_execz .LBB103_5
; %bb.4:                                ;   in Loop: Header=BB103_3 Depth=1
	s_add_u32 s2, s24, s38
	s_mov_b32 s39, s38
	s_addc_u32 s3, s25, s38
	s_delay_alu instid0(SALU_CYCLE_1) | instskip(NEXT) | instid1(SALU_CYCLE_1)
	s_xor_b64 s[2:3], s[2:3], s[38:39]
	v_cvt_f32_u32_e32 v3, s2
	v_cvt_f32_u32_e32 v4, s3
	s_sub_u32 s0, 0, s2
	s_subb_u32 s4, 0, s3
	s_delay_alu instid0(VALU_DEP_1) | instskip(NEXT) | instid1(VALU_DEP_1)
	v_fmac_f32_e32 v3, 0x4f800000, v4
	v_rcp_f32_e32 v3, v3
	s_waitcnt_depctr 0xfff
	v_mul_f32_e32 v3, 0x5f7ffffc, v3
	s_delay_alu instid0(VALU_DEP_1) | instskip(NEXT) | instid1(VALU_DEP_1)
	v_mul_f32_e32 v4, 0x2f800000, v3
	v_trunc_f32_e32 v4, v4
	s_delay_alu instid0(VALU_DEP_1) | instskip(SKIP_1) | instid1(VALU_DEP_2)
	v_fmac_f32_e32 v3, 0xcf800000, v4
	v_cvt_u32_f32_e32 v4, v4
	v_cvt_u32_f32_e32 v3, v3
	s_delay_alu instid0(VALU_DEP_2) | instskip(NEXT) | instid1(VALU_DEP_2)
	v_mul_lo_u32 v5, s0, v4
	v_mul_hi_u32 v6, s0, v3
	v_mul_lo_u32 v7, s4, v3
	s_delay_alu instid0(VALU_DEP_2) | instskip(SKIP_1) | instid1(VALU_DEP_2)
	v_add_nc_u32_e32 v5, v6, v5
	v_mul_lo_u32 v6, s0, v3
	v_add_nc_u32_e32 v5, v5, v7
	s_delay_alu instid0(VALU_DEP_2) | instskip(NEXT) | instid1(VALU_DEP_2)
	v_mul_hi_u32 v7, v3, v6
	v_mul_lo_u32 v8, v3, v5
	v_mul_hi_u32 v9, v3, v5
	v_mul_hi_u32 v10, v4, v6
	v_mul_lo_u32 v6, v4, v6
	v_mul_hi_u32 v11, v4, v5
	v_mul_lo_u32 v5, v4, v5
	v_add_co_u32 v7, vcc_lo, v7, v8
	v_add_co_ci_u32_e32 v8, vcc_lo, 0, v9, vcc_lo
	s_delay_alu instid0(VALU_DEP_2) | instskip(NEXT) | instid1(VALU_DEP_2)
	v_add_co_u32 v6, vcc_lo, v7, v6
	v_add_co_ci_u32_e32 v6, vcc_lo, v8, v10, vcc_lo
	v_add_co_ci_u32_e32 v7, vcc_lo, 0, v11, vcc_lo
	v_ashrrev_i32_e32 v10, 31, v1
	s_delay_alu instid0(VALU_DEP_3) | instskip(NEXT) | instid1(VALU_DEP_3)
	v_add_co_u32 v5, vcc_lo, v6, v5
	v_add_co_ci_u32_e32 v6, vcc_lo, 0, v7, vcc_lo
	s_delay_alu instid0(VALU_DEP_2) | instskip(NEXT) | instid1(VALU_DEP_2)
	v_add_co_u32 v3, vcc_lo, v3, v5
	v_add_co_ci_u32_e32 v4, vcc_lo, v4, v6, vcc_lo
	s_delay_alu instid0(VALU_DEP_2) | instskip(SKIP_1) | instid1(VALU_DEP_3)
	v_mul_hi_u32 v5, s0, v3
	v_mul_lo_u32 v7, s4, v3
	v_mul_lo_u32 v6, s0, v4
	s_delay_alu instid0(VALU_DEP_1) | instskip(SKIP_1) | instid1(VALU_DEP_2)
	v_add_nc_u32_e32 v5, v5, v6
	v_mul_lo_u32 v6, s0, v3
	v_add_nc_u32_e32 v5, v5, v7
	s_delay_alu instid0(VALU_DEP_2) | instskip(NEXT) | instid1(VALU_DEP_2)
	v_mul_hi_u32 v7, v3, v6
	v_mul_lo_u32 v8, v3, v5
	v_mul_hi_u32 v9, v3, v5
	v_mul_hi_u32 v11, v4, v6
	v_mul_lo_u32 v6, v4, v6
	v_mul_hi_u32 v12, v4, v5
	v_mul_lo_u32 v5, v4, v5
	v_add_co_u32 v7, vcc_lo, v7, v8
	v_add_co_ci_u32_e32 v8, vcc_lo, 0, v9, vcc_lo
	s_delay_alu instid0(VALU_DEP_2) | instskip(NEXT) | instid1(VALU_DEP_2)
	v_add_co_u32 v6, vcc_lo, v7, v6
	v_add_co_ci_u32_e32 v6, vcc_lo, v8, v11, vcc_lo
	v_add_co_ci_u32_e32 v7, vcc_lo, 0, v12, vcc_lo
	v_add_co_u32 v8, vcc_lo, v0, v10
	v_add_co_ci_u32_e32 v9, vcc_lo, v1, v10, vcc_lo
	s_delay_alu instid0(VALU_DEP_4) | instskip(NEXT) | instid1(VALU_DEP_4)
	v_add_co_u32 v5, vcc_lo, v6, v5
	v_add_co_ci_u32_e32 v6, vcc_lo, 0, v7, vcc_lo
	s_delay_alu instid0(VALU_DEP_4) | instskip(NEXT) | instid1(VALU_DEP_3)
	v_xor_b32_e32 v11, v8, v10
	v_add_co_u32 v7, vcc_lo, v3, v5
	s_delay_alu instid0(VALU_DEP_3) | instskip(SKIP_1) | instid1(VALU_DEP_3)
	v_add_co_ci_u32_e32 v12, vcc_lo, v4, v6, vcc_lo
	v_xor_b32_e32 v9, v9, v10
	v_mul_hi_u32 v13, v11, v7
	s_delay_alu instid0(VALU_DEP_3) | instskip(NEXT) | instid1(VALU_DEP_3)
	v_mad_u64_u32 v[3:4], null, v11, v12, 0
	v_mad_u64_u32 v[5:6], null, v9, v7, 0
	v_mad_u64_u32 v[7:8], null, v9, v12, 0
	s_delay_alu instid0(VALU_DEP_3) | instskip(NEXT) | instid1(VALU_DEP_4)
	v_add_co_u32 v3, vcc_lo, v13, v3
	v_add_co_ci_u32_e32 v4, vcc_lo, 0, v4, vcc_lo
	s_delay_alu instid0(VALU_DEP_2) | instskip(NEXT) | instid1(VALU_DEP_2)
	v_add_co_u32 v3, vcc_lo, v3, v5
	v_add_co_ci_u32_e32 v3, vcc_lo, v4, v6, vcc_lo
	v_add_co_ci_u32_e32 v4, vcc_lo, 0, v8, vcc_lo
	s_delay_alu instid0(VALU_DEP_2) | instskip(NEXT) | instid1(VALU_DEP_2)
	v_add_co_u32 v5, vcc_lo, v3, v7
	v_add_co_ci_u32_e32 v6, vcc_lo, 0, v4, vcc_lo
	s_delay_alu instid0(VALU_DEP_2) | instskip(SKIP_1) | instid1(VALU_DEP_3)
	v_mul_lo_u32 v7, s3, v5
	v_mad_u64_u32 v[3:4], null, s2, v5, 0
	v_mul_lo_u32 v8, s2, v6
	s_delay_alu instid0(VALU_DEP_2) | instskip(NEXT) | instid1(VALU_DEP_2)
	v_sub_co_u32 v3, vcc_lo, v11, v3
	v_add3_u32 v4, v4, v8, v7
	s_delay_alu instid0(VALU_DEP_1) | instskip(NEXT) | instid1(VALU_DEP_1)
	v_sub_nc_u32_e32 v7, v9, v4
	v_subrev_co_ci_u32_e64 v7, s0, s3, v7, vcc_lo
	v_add_co_u32 v8, s0, v5, 2
	s_delay_alu instid0(VALU_DEP_1) | instskip(SKIP_3) | instid1(VALU_DEP_3)
	v_add_co_ci_u32_e64 v11, s0, 0, v6, s0
	v_sub_co_u32 v12, s0, v3, s2
	v_sub_co_ci_u32_e32 v4, vcc_lo, v9, v4, vcc_lo
	v_subrev_co_ci_u32_e64 v7, s0, 0, v7, s0
	v_cmp_le_u32_e32 vcc_lo, s2, v12
	s_delay_alu instid0(VALU_DEP_3) | instskip(SKIP_1) | instid1(VALU_DEP_4)
	v_cmp_eq_u32_e64 s0, s3, v4
	v_cndmask_b32_e64 v9, 0, -1, vcc_lo
	v_cmp_le_u32_e32 vcc_lo, s3, v7
	v_cndmask_b32_e64 v12, 0, -1, vcc_lo
	v_cmp_le_u32_e32 vcc_lo, s2, v3
	;; [unrolled: 2-line block ×3, first 2 shown]
	v_cndmask_b32_e64 v13, 0, -1, vcc_lo
	v_cmp_eq_u32_e32 vcc_lo, s3, v7
	s_delay_alu instid0(VALU_DEP_2) | instskip(SKIP_3) | instid1(VALU_DEP_3)
	v_cndmask_b32_e64 v3, v13, v3, s0
	v_cndmask_b32_e32 v7, v12, v9, vcc_lo
	v_add_co_u32 v9, vcc_lo, v5, 1
	v_add_co_ci_u32_e32 v12, vcc_lo, 0, v6, vcc_lo
	v_cmp_ne_u32_e32 vcc_lo, 0, v7
	s_delay_alu instid0(VALU_DEP_2) | instskip(SKIP_2) | instid1(VALU_DEP_3)
	v_dual_cndmask_b32 v4, v12, v11 :: v_dual_cndmask_b32 v7, v9, v8
	v_cmp_ne_u32_e32 vcc_lo, 0, v3
	v_xor_b32_e32 v3, s38, v10
	v_dual_cndmask_b32 v5, v5, v7 :: v_dual_cndmask_b32 v4, v6, v4
	s_delay_alu instid0(VALU_DEP_1) | instskip(NEXT) | instid1(VALU_DEP_2)
	v_xor_b32_e32 v5, v5, v3
	v_xor_b32_e32 v4, v4, v3
	s_delay_alu instid0(VALU_DEP_2) | instskip(NEXT) | instid1(VALU_DEP_2)
	v_sub_co_u32 v8, vcc_lo, v5, v3
	v_sub_co_ci_u32_e32 v9, vcc_lo, v4, v3, vcc_lo
.LBB103_5:                              ;   in Loop: Header=BB103_3 Depth=1
	s_and_not1_saveexec_b32 s0, s1
	s_cbranch_execz .LBB103_7
; %bb.6:                                ;   in Loop: Header=BB103_3 Depth=1
	s_sub_i32 s1, 0, s24
	v_mov_b32_e32 v9, v2
	v_mul_lo_u32 v3, s1, v18
	s_delay_alu instid0(VALU_DEP_1) | instskip(NEXT) | instid1(VALU_DEP_1)
	v_mul_hi_u32 v3, v18, v3
	v_add_nc_u32_e32 v3, v18, v3
	s_delay_alu instid0(VALU_DEP_1) | instskip(NEXT) | instid1(VALU_DEP_1)
	v_mul_hi_u32 v3, v0, v3
	v_mul_lo_u32 v4, v3, s24
	v_add_nc_u32_e32 v5, 1, v3
	s_delay_alu instid0(VALU_DEP_2) | instskip(NEXT) | instid1(VALU_DEP_1)
	v_sub_nc_u32_e32 v4, v0, v4
	v_subrev_nc_u32_e32 v6, s24, v4
	v_cmp_le_u32_e32 vcc_lo, s24, v4
	s_delay_alu instid0(VALU_DEP_2) | instskip(NEXT) | instid1(VALU_DEP_1)
	v_dual_cndmask_b32 v4, v4, v6 :: v_dual_cndmask_b32 v3, v3, v5
	v_cmp_le_u32_e32 vcc_lo, s24, v4
	s_delay_alu instid0(VALU_DEP_2) | instskip(NEXT) | instid1(VALU_DEP_1)
	v_add_nc_u32_e32 v5, 1, v3
	v_cndmask_b32_e32 v8, v3, v5, vcc_lo
.LBB103_7:                              ;   in Loop: Header=BB103_3 Depth=1
	s_or_b32 exec_lo, exec_lo, s0
	s_waitcnt lgkmcnt(0)
	v_or_b32_e32 v3, s13, v9
                                        ; implicit-def: $vgpr6_vgpr7
	s_mov_b32 s0, exec_lo
	s_delay_alu instid0(VALU_DEP_1)
	v_cmpx_ne_u64_e32 0, v[2:3]
	s_xor_b32 s1, exec_lo, s0
	s_cbranch_execz .LBB103_9
; %bb.8:                                ;   in Loop: Header=BB103_3 Depth=1
	s_ashr_i32 s2, s13, 31
	s_delay_alu instid0(SALU_CYCLE_1) | instskip(SKIP_2) | instid1(SALU_CYCLE_1)
	s_add_u32 s4, s12, s2
	s_mov_b32 s3, s2
	s_addc_u32 s5, s13, s2
	s_xor_b64 s[4:5], s[4:5], s[2:3]
	s_delay_alu instid0(SALU_CYCLE_1) | instskip(SKIP_3) | instid1(VALU_DEP_1)
	v_cvt_f32_u32_e32 v3, s4
	v_cvt_f32_u32_e32 v4, s5
	s_sub_u32 s0, 0, s4
	s_subb_u32 s3, 0, s5
	v_fmac_f32_e32 v3, 0x4f800000, v4
	s_delay_alu instid0(VALU_DEP_1) | instskip(SKIP_2) | instid1(VALU_DEP_1)
	v_rcp_f32_e32 v3, v3
	s_waitcnt_depctr 0xfff
	v_mul_f32_e32 v3, 0x5f7ffffc, v3
	v_mul_f32_e32 v4, 0x2f800000, v3
	s_delay_alu instid0(VALU_DEP_1) | instskip(NEXT) | instid1(VALU_DEP_1)
	v_trunc_f32_e32 v4, v4
	v_fmac_f32_e32 v3, 0xcf800000, v4
	v_cvt_u32_f32_e32 v4, v4
	s_delay_alu instid0(VALU_DEP_2) | instskip(NEXT) | instid1(VALU_DEP_2)
	v_cvt_u32_f32_e32 v3, v3
	v_mul_lo_u32 v5, s0, v4
	s_delay_alu instid0(VALU_DEP_2) | instskip(SKIP_1) | instid1(VALU_DEP_2)
	v_mul_hi_u32 v6, s0, v3
	v_mul_lo_u32 v7, s3, v3
	v_add_nc_u32_e32 v5, v6, v5
	v_mul_lo_u32 v6, s0, v3
	s_delay_alu instid0(VALU_DEP_2) | instskip(NEXT) | instid1(VALU_DEP_2)
	v_add_nc_u32_e32 v5, v5, v7
	v_mul_hi_u32 v7, v3, v6
	s_delay_alu instid0(VALU_DEP_2)
	v_mul_lo_u32 v10, v3, v5
	v_mul_hi_u32 v11, v3, v5
	v_mul_hi_u32 v12, v4, v6
	v_mul_lo_u32 v6, v4, v6
	v_mul_hi_u32 v13, v4, v5
	v_mul_lo_u32 v5, v4, v5
	v_add_co_u32 v7, vcc_lo, v7, v10
	v_add_co_ci_u32_e32 v10, vcc_lo, 0, v11, vcc_lo
	s_delay_alu instid0(VALU_DEP_2) | instskip(NEXT) | instid1(VALU_DEP_2)
	v_add_co_u32 v6, vcc_lo, v7, v6
	v_add_co_ci_u32_e32 v6, vcc_lo, v10, v12, vcc_lo
	v_add_co_ci_u32_e32 v7, vcc_lo, 0, v13, vcc_lo
	v_ashrrev_i32_e32 v12, 31, v9
	s_delay_alu instid0(VALU_DEP_3) | instskip(NEXT) | instid1(VALU_DEP_3)
	v_add_co_u32 v5, vcc_lo, v6, v5
	v_add_co_ci_u32_e32 v6, vcc_lo, 0, v7, vcc_lo
	s_delay_alu instid0(VALU_DEP_2) | instskip(NEXT) | instid1(VALU_DEP_2)
	v_add_co_u32 v3, vcc_lo, v3, v5
	v_add_co_ci_u32_e32 v4, vcc_lo, v4, v6, vcc_lo
	s_delay_alu instid0(VALU_DEP_2) | instskip(SKIP_1) | instid1(VALU_DEP_3)
	v_mul_hi_u32 v5, s0, v3
	v_mul_lo_u32 v7, s3, v3
	v_mul_lo_u32 v6, s0, v4
	s_delay_alu instid0(VALU_DEP_1) | instskip(SKIP_1) | instid1(VALU_DEP_2)
	v_add_nc_u32_e32 v5, v5, v6
	v_mul_lo_u32 v6, s0, v3
	v_add_nc_u32_e32 v5, v5, v7
	s_delay_alu instid0(VALU_DEP_2) | instskip(NEXT) | instid1(VALU_DEP_2)
	v_mul_hi_u32 v7, v3, v6
	v_mul_lo_u32 v10, v3, v5
	v_mul_hi_u32 v11, v3, v5
	v_mul_hi_u32 v13, v4, v6
	v_mul_lo_u32 v6, v4, v6
	v_mul_hi_u32 v14, v4, v5
	v_mul_lo_u32 v5, v4, v5
	v_add_co_u32 v7, vcc_lo, v7, v10
	v_add_co_ci_u32_e32 v10, vcc_lo, 0, v11, vcc_lo
	s_delay_alu instid0(VALU_DEP_2) | instskip(NEXT) | instid1(VALU_DEP_2)
	v_add_co_u32 v6, vcc_lo, v7, v6
	v_add_co_ci_u32_e32 v6, vcc_lo, v10, v13, vcc_lo
	v_add_co_ci_u32_e32 v7, vcc_lo, 0, v14, vcc_lo
	v_add_co_u32 v10, vcc_lo, v8, v12
	v_add_co_ci_u32_e32 v11, vcc_lo, v9, v12, vcc_lo
	s_delay_alu instid0(VALU_DEP_4) | instskip(NEXT) | instid1(VALU_DEP_4)
	v_add_co_u32 v5, vcc_lo, v6, v5
	v_add_co_ci_u32_e32 v6, vcc_lo, 0, v7, vcc_lo
	s_delay_alu instid0(VALU_DEP_4) | instskip(NEXT) | instid1(VALU_DEP_3)
	v_xor_b32_e32 v7, v10, v12
	v_add_co_u32 v10, vcc_lo, v3, v5
	s_delay_alu instid0(VALU_DEP_3) | instskip(SKIP_1) | instid1(VALU_DEP_3)
	v_add_co_ci_u32_e32 v13, vcc_lo, v4, v6, vcc_lo
	v_xor_b32_e32 v14, v11, v12
	v_mul_hi_u32 v15, v7, v10
	s_delay_alu instid0(VALU_DEP_3) | instskip(NEXT) | instid1(VALU_DEP_3)
	v_mad_u64_u32 v[3:4], null, v7, v13, 0
	v_mad_u64_u32 v[5:6], null, v14, v10, 0
	v_mad_u64_u32 v[10:11], null, v14, v13, 0
	s_delay_alu instid0(VALU_DEP_3) | instskip(NEXT) | instid1(VALU_DEP_4)
	v_add_co_u32 v3, vcc_lo, v15, v3
	v_add_co_ci_u32_e32 v4, vcc_lo, 0, v4, vcc_lo
	s_delay_alu instid0(VALU_DEP_2) | instskip(NEXT) | instid1(VALU_DEP_2)
	v_add_co_u32 v3, vcc_lo, v3, v5
	v_add_co_ci_u32_e32 v3, vcc_lo, v4, v6, vcc_lo
	v_add_co_ci_u32_e32 v4, vcc_lo, 0, v11, vcc_lo
	s_delay_alu instid0(VALU_DEP_2) | instskip(NEXT) | instid1(VALU_DEP_2)
	v_add_co_u32 v5, vcc_lo, v3, v10
	v_add_co_ci_u32_e32 v6, vcc_lo, 0, v4, vcc_lo
	s_delay_alu instid0(VALU_DEP_2) | instskip(SKIP_1) | instid1(VALU_DEP_3)
	v_mul_lo_u32 v10, s5, v5
	v_mad_u64_u32 v[3:4], null, s4, v5, 0
	v_mul_lo_u32 v11, s4, v6
	s_delay_alu instid0(VALU_DEP_2) | instskip(NEXT) | instid1(VALU_DEP_2)
	v_sub_co_u32 v3, vcc_lo, v7, v3
	v_add3_u32 v4, v4, v11, v10
	s_delay_alu instid0(VALU_DEP_1) | instskip(NEXT) | instid1(VALU_DEP_1)
	v_sub_nc_u32_e32 v10, v14, v4
	v_subrev_co_ci_u32_e64 v7, s0, s5, v10, vcc_lo
	v_add_co_u32 v10, s0, v5, 2
	s_delay_alu instid0(VALU_DEP_1) | instskip(SKIP_3) | instid1(VALU_DEP_3)
	v_add_co_ci_u32_e64 v11, s0, 0, v6, s0
	v_sub_co_u32 v13, s0, v3, s4
	v_sub_co_ci_u32_e32 v4, vcc_lo, v14, v4, vcc_lo
	v_subrev_co_ci_u32_e64 v7, s0, 0, v7, s0
	v_cmp_le_u32_e32 vcc_lo, s4, v13
	s_delay_alu instid0(VALU_DEP_3) | instskip(SKIP_1) | instid1(VALU_DEP_4)
	v_cmp_eq_u32_e64 s0, s5, v4
	v_cndmask_b32_e64 v13, 0, -1, vcc_lo
	v_cmp_le_u32_e32 vcc_lo, s5, v7
	v_cndmask_b32_e64 v14, 0, -1, vcc_lo
	v_cmp_le_u32_e32 vcc_lo, s4, v3
	;; [unrolled: 2-line block ×3, first 2 shown]
	v_cndmask_b32_e64 v15, 0, -1, vcc_lo
	v_cmp_eq_u32_e32 vcc_lo, s5, v7
	s_delay_alu instid0(VALU_DEP_2) | instskip(SKIP_3) | instid1(VALU_DEP_3)
	v_cndmask_b32_e64 v3, v15, v3, s0
	v_cndmask_b32_e32 v7, v14, v13, vcc_lo
	v_add_co_u32 v13, vcc_lo, v5, 1
	v_add_co_ci_u32_e32 v14, vcc_lo, 0, v6, vcc_lo
	v_cmp_ne_u32_e32 vcc_lo, 0, v7
	s_delay_alu instid0(VALU_DEP_2) | instskip(SKIP_2) | instid1(VALU_DEP_3)
	v_dual_cndmask_b32 v4, v14, v11 :: v_dual_cndmask_b32 v7, v13, v10
	v_cmp_ne_u32_e32 vcc_lo, 0, v3
	v_xor_b32_e32 v3, s2, v12
	v_dual_cndmask_b32 v5, v5, v7 :: v_dual_cndmask_b32 v4, v6, v4
	s_delay_alu instid0(VALU_DEP_1) | instskip(NEXT) | instid1(VALU_DEP_2)
	v_xor_b32_e32 v5, v5, v3
	v_xor_b32_e32 v4, v4, v3
	s_delay_alu instid0(VALU_DEP_2) | instskip(NEXT) | instid1(VALU_DEP_2)
	v_sub_co_u32 v6, vcc_lo, v5, v3
	v_sub_co_ci_u32_e32 v7, vcc_lo, v4, v3, vcc_lo
.LBB103_9:                              ;   in Loop: Header=BB103_3 Depth=1
	s_and_not1_saveexec_b32 s0, s1
	s_cbranch_execz .LBB103_11
; %bb.10:                               ;   in Loop: Header=BB103_3 Depth=1
	v_cvt_f32_u32_e32 v3, s12
	s_sub_i32 s1, 0, s12
	v_mov_b32_e32 v7, v2
	s_delay_alu instid0(VALU_DEP_2) | instskip(SKIP_2) | instid1(VALU_DEP_1)
	v_rcp_iflag_f32_e32 v3, v3
	s_waitcnt_depctr 0xfff
	v_mul_f32_e32 v3, 0x4f7ffffe, v3
	v_cvt_u32_f32_e32 v3, v3
	s_delay_alu instid0(VALU_DEP_1) | instskip(NEXT) | instid1(VALU_DEP_1)
	v_mul_lo_u32 v4, s1, v3
	v_mul_hi_u32 v4, v3, v4
	s_delay_alu instid0(VALU_DEP_1) | instskip(NEXT) | instid1(VALU_DEP_1)
	v_add_nc_u32_e32 v3, v3, v4
	v_mul_hi_u32 v3, v8, v3
	s_delay_alu instid0(VALU_DEP_1) | instskip(SKIP_1) | instid1(VALU_DEP_2)
	v_mul_lo_u32 v4, v3, s12
	v_add_nc_u32_e32 v5, 1, v3
	v_sub_nc_u32_e32 v4, v8, v4
	s_delay_alu instid0(VALU_DEP_1) | instskip(SKIP_1) | instid1(VALU_DEP_2)
	v_subrev_nc_u32_e32 v6, s12, v4
	v_cmp_le_u32_e32 vcc_lo, s12, v4
	v_dual_cndmask_b32 v4, v4, v6 :: v_dual_cndmask_b32 v3, v3, v5
	s_delay_alu instid0(VALU_DEP_1) | instskip(NEXT) | instid1(VALU_DEP_2)
	v_cmp_le_u32_e32 vcc_lo, s12, v4
	v_add_nc_u32_e32 v5, 1, v3
	s_delay_alu instid0(VALU_DEP_1)
	v_cndmask_b32_e32 v6, v3, v5, vcc_lo
.LBB103_11:                             ;   in Loop: Header=BB103_3 Depth=1
	s_or_b32 exec_lo, exec_lo, s0
	v_mul_lo_u32 v5, v9, s24
	v_mul_lo_u32 v12, v8, s25
	v_mad_u64_u32 v[3:4], null, v8, s24, 0
	v_mul_lo_u32 v13, v7, s12
	v_mul_lo_u32 v14, v6, s13
	v_mad_u64_u32 v[10:11], null, v6, s12, 0
	s_mov_b64 s[2:3], s[36:37]
	s_mov_b64 s[4:5], s[34:35]
	s_delay_alu instid0(VALU_DEP_4) | instskip(SKIP_2) | instid1(VALU_DEP_3)
	v_add3_u32 v5, v4, v12, v5
	v_sub_co_u32 v4, vcc_lo, v0, v3
	s_mov_b64 s[6:7], s[30:31]
	v_add3_u32 v3, v11, v14, v13
	s_delay_alu instid0(VALU_DEP_3) | instskip(NEXT) | instid1(VALU_DEP_3)
	v_sub_co_ci_u32_e32 v5, vcc_lo, v1, v5, vcc_lo
	v_mul_lo_u32 v11, s19, v4
	v_mul_lo_u32 v12, s23, v4
	v_mad_u64_u32 v[14:15], null, s22, v4, 0
	s_delay_alu instid0(VALU_DEP_4)
	v_mul_lo_u32 v13, s18, v5
	v_mul_lo_u32 v16, s22, v5
	v_mad_u64_u32 v[21:22], null, s18, v4, 0
	v_sub_co_u32 v19, vcc_lo, v8, v10
	v_sub_co_ci_u32_e32 v20, vcc_lo, v9, v3, vcc_lo
	s_and_b32 vcc_lo, exec_lo, s33
	s_delay_alu instid0(VALU_DEP_4) | instskip(NEXT) | instid1(VALU_DEP_4)
	v_add3_u32 v15, v15, v16, v12
	v_add3_u32 v22, v22, v13, v11
	v_mul_lo_u32 v3, s17, v19
	v_mul_lo_u32 v8, s16, v20
	v_mul_lo_u32 v9, s20, v20
	v_mad_u64_u32 v[12:13], null, s20, v19, v[14:15]
	v_mul_lo_u32 v10, s21, v19
	v_mad_u64_u32 v[16:17], null, s16, v19, v[21:22]
	s_delay_alu instid0(VALU_DEP_2) | instskip(NEXT) | instid1(VALU_DEP_2)
	v_add3_u32 v13, v10, v13, v9
	v_add3_u32 v17, v3, v17, v8
	v_mov_b32_e32 v8, v12
	s_delay_alu instid0(VALU_DEP_3) | instskip(NEXT) | instid1(VALU_DEP_3)
	v_dual_mov_b32 v10, v16 :: v_dual_mov_b32 v9, v13
	v_mov_b32_e32 v11, v17
	s_cbranch_vccnz .LBB103_28
.LBB103_12:                             ;   in Loop: Header=BB103_3 Depth=1
	v_sub_co_u32 v6, vcc_lo, v4, v19
	v_sub_co_ci_u32_e32 v7, vcc_lo, v5, v20, vcc_lo
	s_delay_alu instid0(VALU_DEP_2) | instskip(NEXT) | instid1(VALU_DEP_2)
	v_add_co_u32 v8, vcc_lo, v6, 4
	v_add_co_ci_u32_e32 v9, vcc_lo, 0, v7, vcc_lo
	s_delay_alu instid0(VALU_DEP_1)
	v_cmp_le_i64_e32 vcc_lo, s[8:9], v[8:9]
	v_mov_b32_e32 v8, 0
	s_and_saveexec_b32 s7, vcc_lo
	s_cbranch_execz .LBB103_22
; %bb.13:                               ;   in Loop: Header=BB103_3 Depth=1
	v_mov_b32_e32 v3, 0
	s_mov_b32 s0, exec_lo
	v_cmpx_gt_i64_e64 s[14:15], v[4:5]
	s_cbranch_execz .LBB103_21
; %bb.14:                               ;   in Loop: Header=BB103_3 Depth=1
	v_add_co_u32 v8, vcc_lo, s26, v16
	v_add_co_ci_u32_e32 v9, vcc_lo, s27, v17, vcc_lo
	v_add_co_u32 v10, vcc_lo, v4, 1
	v_add_co_ci_u32_e32 v11, vcc_lo, 0, v5, vcc_lo
	global_load_u8 v3, v[8:9], off
	s_mov_b32 s1, exec_lo
	v_cmpx_gt_i64_e64 s[14:15], v[10:11]
	s_xor_b32 s1, exec_lo, s1
	s_cbranch_execz .LBB103_20
; %bb.15:                               ;   in Loop: Header=BB103_3 Depth=1
	v_add_co_u32 v8, vcc_lo, v8, s18
	v_add_co_ci_u32_e32 v9, vcc_lo, s19, v9, vcc_lo
	s_mov_b32 s2, exec_lo
	global_load_u8 v10, v[8:9], off
	s_waitcnt vmcnt(0)
	v_lshlrev_b16 v14, 8, v10
	v_add_co_u32 v10, vcc_lo, v4, 2
	v_add_co_ci_u32_e32 v11, vcc_lo, 0, v5, vcc_lo
	s_delay_alu instid0(VALU_DEP_3) | instskip(NEXT) | instid1(VALU_DEP_1)
	v_or_b32_e32 v3, v3, v14
	v_and_b32_e32 v3, 0xffff, v3
	s_delay_alu instid0(VALU_DEP_3)
	v_cmpx_gt_i64_e64 s[14:15], v[10:11]
	s_xor_b32 s2, exec_lo, s2
	s_cbranch_execz .LBB103_19
; %bb.16:                               ;   in Loop: Header=BB103_3 Depth=1
	v_add_co_u32 v8, vcc_lo, v8, s18
	v_add_co_ci_u32_e32 v9, vcc_lo, s19, v9, vcc_lo
	v_add_co_u32 v10, vcc_lo, v4, 3
	v_add_co_ci_u32_e32 v11, vcc_lo, 0, v5, vcc_lo
	global_load_u8 v14, v[8:9], off
	s_mov_b32 s3, exec_lo
	s_waitcnt vmcnt(0)
	v_lshl_or_b32 v3, v14, 16, v3
	v_cmpx_gt_i64_e64 s[14:15], v[10:11]
	s_xor_b32 s3, exec_lo, s3
	s_cbranch_execz .LBB103_18
; %bb.17:                               ;   in Loop: Header=BB103_3 Depth=1
	v_add_co_u32 v8, vcc_lo, v8, s18
	v_add_co_ci_u32_e32 v9, vcc_lo, s19, v9, vcc_lo
	global_load_u8 v8, v[8:9], off
	v_lshrrev_b32_e32 v9, 16, v3
	s_waitcnt vmcnt(0)
	v_lshlrev_b16 v8, 8, v8
	s_delay_alu instid0(VALU_DEP_1) | instskip(NEXT) | instid1(VALU_DEP_1)
	v_or_b32_e32 v8, v9, v8
	v_lshlrev_b32_e32 v8, 16, v8
	s_delay_alu instid0(VALU_DEP_1)
	v_and_or_b32 v3, 0xffff, v3, v8
.LBB103_18:                             ;   in Loop: Header=BB103_3 Depth=1
	s_or_b32 exec_lo, exec_lo, s3
.LBB103_19:                             ;   in Loop: Header=BB103_3 Depth=1
	s_delay_alu instid0(SALU_CYCLE_1)
	s_or_b32 exec_lo, exec_lo, s2
.LBB103_20:                             ;   in Loop: Header=BB103_3 Depth=1
	s_delay_alu instid0(SALU_CYCLE_1)
	s_or_b32 exec_lo, exec_lo, s1
.LBB103_21:                             ;   in Loop: Header=BB103_3 Depth=1
	s_delay_alu instid0(SALU_CYCLE_1)
	s_or_b32 exec_lo, exec_lo, s0
	s_waitcnt vmcnt(0)
	v_lshrrev_b16 v8, 8, v3
	v_and_b32_e32 v10, 0x1000000, v3
	v_and_b32_e32 v14, 0x10000, v3
	;; [unrolled: 1-line block ×3, first 2 shown]
	v_cmp_le_i64_e64 s5, s[8:9], v[6:7]
	v_and_b32_e32 v11, 1, v8
	v_add_co_u32 v8, vcc_lo, v6, 1
	v_add_co_ci_u32_e32 v9, vcc_lo, 0, v7, vcc_lo
	v_cmp_ne_u32_e32 vcc_lo, 0, v10
	s_delay_alu instid0(VALU_DEP_4) | instskip(SKIP_1) | instid1(VALU_DEP_4)
	v_cmp_eq_u32_e64 s0, 1, v11
	v_cmp_eq_u32_e64 s4, 1, v3
	v_cmp_le_i64_e64 s1, s[8:9], v[8:9]
	v_add_co_u32 v8, s2, v6, 3
	s_delay_alu instid0(VALU_DEP_1) | instskip(SKIP_1) | instid1(VALU_DEP_1)
	v_add_co_ci_u32_e64 v9, s2, 0, v7, s2
	v_add_co_u32 v10, s2, v6, 2
	v_add_co_ci_u32_e64 v11, s2, 0, v7, s2
	s_delay_alu instid0(VALU_DEP_3) | instskip(SKIP_2) | instid1(VALU_DEP_3)
	v_cmp_le_i64_e64 s3, s[8:9], v[8:9]
	s_and_b32 s0, s1, s0
	v_cmp_ne_u32_e64 s2, 0, v14
	v_cmp_le_i64_e64 s6, s[8:9], v[10:11]
	v_cndmask_b32_e64 v3, 0, 1, s0
	s_delay_alu instid0(VALU_DEP_4) | instskip(NEXT) | instid1(SALU_CYCLE_1)
	s_and_b32 s0, s3, vcc_lo
	v_cndmask_b32_e64 v6, 0, 1, s0
	s_and_b32 s0, s5, s4
	s_delay_alu instid0(VALU_DEP_2) | instskip(SKIP_4) | instid1(VALU_DEP_3)
	v_lshlrev_b16 v3, 8, v3
	v_cndmask_b32_e64 v7, 0, 1, s0
	s_and_b32 s0, s6, s2
	v_lshlrev_b16 v6, 8, v6
	v_cndmask_b32_e64 v8, 0, 1, s0
	v_or_b32_e32 v3, v7, v3
	s_delay_alu instid0(VALU_DEP_2) | instskip(NEXT) | instid1(VALU_DEP_2)
	v_or_b32_e32 v6, v8, v6
	v_and_b32_e32 v3, 0xffff, v3
	s_delay_alu instid0(VALU_DEP_2) | instskip(NEXT) | instid1(VALU_DEP_1)
	v_lshlrev_b32_e32 v6, 16, v6
	v_or_b32_e32 v8, v3, v6
.LBB103_22:                             ;   in Loop: Header=BB103_3 Depth=1
	s_or_b32 exec_lo, exec_lo, s7
	s_delay_alu instid0(SALU_CYCLE_1)
	s_mov_b32 s0, exec_lo
	v_cmpx_gt_i64_e64 s[14:15], v[4:5]
	s_cbranch_execz .LBB103_2
; %bb.23:                               ;   in Loop: Header=BB103_3 Depth=1
	v_add_co_u32 v9, vcc_lo, v4, 1
	v_add_co_ci_u32_e32 v10, vcc_lo, 0, v5, vcc_lo
	v_add_co_u32 v6, vcc_lo, s28, v12
	v_add_co_ci_u32_e32 v7, vcc_lo, s29, v13, vcc_lo
	s_mov_b32 s1, exec_lo
	global_store_b8 v[6:7], v8, off
	v_cmpx_gt_i64_e64 s[14:15], v[9:10]
	s_xor_b32 s1, exec_lo, s1
	s_cbranch_execz .LBB103_2
; %bb.24:                               ;   in Loop: Header=BB103_3 Depth=1
	v_add_co_u32 v9, vcc_lo, v4, 2
	v_add_co_ci_u32_e32 v10, vcc_lo, 0, v5, vcc_lo
	v_add_co_u32 v6, vcc_lo, v6, s22
	v_lshrrev_b32_e32 v3, 8, v8
	v_add_co_ci_u32_e32 v7, vcc_lo, s23, v7, vcc_lo
	s_mov_b32 s1, exec_lo
	global_store_b8 v[6:7], v3, off
	v_cmpx_gt_i64_e64 s[14:15], v[9:10]
	s_xor_b32 s1, exec_lo, s1
	s_cbranch_execz .LBB103_2
; %bb.25:                               ;   in Loop: Header=BB103_3 Depth=1
	v_add_co_u32 v9, vcc_lo, v4, 3
	v_add_co_ci_u32_e32 v10, vcc_lo, 0, v5, vcc_lo
	v_add_co_u32 v3, vcc_lo, v6, s22
	v_add_co_ci_u32_e32 v4, vcc_lo, s23, v7, vcc_lo
	s_mov_b32 s1, exec_lo
	global_store_d16_hi_b8 v[3:4], v8, off
	v_cmpx_gt_i64_e64 s[14:15], v[9:10]
	s_xor_b32 s1, exec_lo, s1
	s_cbranch_execz .LBB103_2
; %bb.26:                               ;   in Loop: Header=BB103_3 Depth=1
	v_add_co_u32 v3, vcc_lo, v3, s22
	v_lshrrev_b32_e32 v5, 24, v8
	v_add_co_ci_u32_e32 v4, vcc_lo, s23, v4, vcc_lo
	global_store_b8 v[3:4], v5, off
	s_branch .LBB103_2
.LBB103_27:                             ;   in Loop: Header=BB103_28 Depth=2
	s_or_b32 exec_lo, exec_lo, s0
	s_delay_alu instid0(VALU_DEP_1) | instskip(NEXT) | instid1(VALU_DEP_2)
	v_mul_lo_u32 v3, v15, s40
	v_mul_lo_u32 v16, v14, s41
	s_load_b64 s[0:1], s[4:5], 0xc8
	v_mad_u64_u32 v[12:13], null, v14, s40, 0
	s_load_b64 s[40:41], s[6:7], 0x0
	s_add_u32 s6, s6, -8
	s_addc_u32 s7, s7, -1
	s_add_u32 s4, s4, -8
	s_addc_u32 s5, s5, -1
	s_add_u32 s2, s2, -1
	s_delay_alu instid0(VALU_DEP_1) | instskip(SKIP_2) | instid1(VALU_DEP_2)
	v_add3_u32 v3, v13, v16, v3
	v_sub_co_u32 v6, vcc_lo, v6, v12
	s_addc_u32 s3, s3, -1
	v_sub_co_ci_u32_e32 v3, vcc_lo, v7, v3, vcc_lo
	s_waitcnt lgkmcnt(0)
	s_delay_alu instid0(VALU_DEP_1)
	v_mul_lo_u32 v7, s0, v3
	v_mul_lo_u32 v21, s1, v6
	v_mad_u64_u32 v[16:17], null, s0, v6, v[10:11]
	v_mul_lo_u32 v3, s40, v3
	v_mul_lo_u32 v10, s41, v6
	v_mad_u64_u32 v[12:13], null, s40, v6, v[8:9]
	v_cmp_lt_i64_e64 s0, s[2:3], 1
	v_add3_u32 v17, v21, v17, v7
	v_dual_mov_b32 v6, v14 :: v_dual_mov_b32 v7, v15
	s_delay_alu instid0(VALU_DEP_4) | instskip(SKIP_1) | instid1(VALU_DEP_4)
	v_add3_u32 v13, v10, v13, v3
	v_mov_b32_e32 v8, v12
	v_dual_mov_b32 v10, v16 :: v_dual_mov_b32 v11, v17
	s_and_b32 vcc_lo, exec_lo, s0
	s_delay_alu instid0(VALU_DEP_3)
	v_mov_b32_e32 v9, v13
	s_cbranch_vccnz .LBB103_12
.LBB103_28:                             ;   Parent Loop BB103_3 Depth=1
                                        ; =>  This Inner Loop Header: Depth=2
	s_load_b64 s[40:41], s[4:5], 0x0
                                        ; implicit-def: $vgpr14_vgpr15
	s_mov_b32 s0, exec_lo
	s_waitcnt lgkmcnt(0)
	v_or_b32_e32 v3, s41, v7
	s_delay_alu instid0(VALU_DEP_1)
	v_cmpx_ne_u64_e32 0, v[2:3]
	s_xor_b32 s1, exec_lo, s0
	s_cbranch_execz .LBB103_30
; %bb.29:                               ;   in Loop: Header=BB103_28 Depth=2
	s_ashr_i32 s42, s41, 31
	s_delay_alu instid0(SALU_CYCLE_1) | instskip(SKIP_2) | instid1(SALU_CYCLE_1)
	s_add_u32 s44, s40, s42
	s_mov_b32 s43, s42
	s_addc_u32 s45, s41, s42
	s_xor_b64 s[44:45], s[44:45], s[42:43]
	s_delay_alu instid0(SALU_CYCLE_1) | instskip(SKIP_3) | instid1(VALU_DEP_1)
	v_cvt_f32_u32_e32 v3, s44
	v_cvt_f32_u32_e32 v12, s45
	s_sub_u32 s0, 0, s44
	s_subb_u32 s39, 0, s45
	v_fmac_f32_e32 v3, 0x4f800000, v12
	s_delay_alu instid0(VALU_DEP_1) | instskip(SKIP_2) | instid1(VALU_DEP_1)
	v_rcp_f32_e32 v3, v3
	s_waitcnt_depctr 0xfff
	v_mul_f32_e32 v3, 0x5f7ffffc, v3
	v_mul_f32_e32 v12, 0x2f800000, v3
	s_delay_alu instid0(VALU_DEP_1) | instskip(NEXT) | instid1(VALU_DEP_1)
	v_trunc_f32_e32 v12, v12
	v_fmac_f32_e32 v3, 0xcf800000, v12
	v_cvt_u32_f32_e32 v12, v12
	s_delay_alu instid0(VALU_DEP_2) | instskip(NEXT) | instid1(VALU_DEP_2)
	v_cvt_u32_f32_e32 v3, v3
	v_mul_lo_u32 v13, s0, v12
	s_delay_alu instid0(VALU_DEP_2) | instskip(SKIP_1) | instid1(VALU_DEP_2)
	v_mul_hi_u32 v14, s0, v3
	v_mul_lo_u32 v15, s39, v3
	v_add_nc_u32_e32 v13, v14, v13
	v_mul_lo_u32 v14, s0, v3
	s_delay_alu instid0(VALU_DEP_2) | instskip(NEXT) | instid1(VALU_DEP_2)
	v_add_nc_u32_e32 v13, v13, v15
	v_mul_hi_u32 v15, v3, v14
	s_delay_alu instid0(VALU_DEP_2)
	v_mul_lo_u32 v16, v3, v13
	v_mul_hi_u32 v17, v3, v13
	v_mul_hi_u32 v21, v12, v14
	v_mul_lo_u32 v14, v12, v14
	v_mul_hi_u32 v22, v12, v13
	v_mul_lo_u32 v13, v12, v13
	v_add_co_u32 v15, vcc_lo, v15, v16
	v_add_co_ci_u32_e32 v16, vcc_lo, 0, v17, vcc_lo
	s_delay_alu instid0(VALU_DEP_2) | instskip(NEXT) | instid1(VALU_DEP_2)
	v_add_co_u32 v14, vcc_lo, v15, v14
	v_add_co_ci_u32_e32 v14, vcc_lo, v16, v21, vcc_lo
	v_add_co_ci_u32_e32 v15, vcc_lo, 0, v22, vcc_lo
	v_ashrrev_i32_e32 v21, 31, v7
	s_delay_alu instid0(VALU_DEP_3) | instskip(NEXT) | instid1(VALU_DEP_3)
	v_add_co_u32 v13, vcc_lo, v14, v13
	v_add_co_ci_u32_e32 v14, vcc_lo, 0, v15, vcc_lo
	s_delay_alu instid0(VALU_DEP_2) | instskip(NEXT) | instid1(VALU_DEP_2)
	v_add_co_u32 v3, vcc_lo, v3, v13
	v_add_co_ci_u32_e32 v12, vcc_lo, v12, v14, vcc_lo
	s_delay_alu instid0(VALU_DEP_2) | instskip(SKIP_1) | instid1(VALU_DEP_3)
	v_mul_hi_u32 v13, s0, v3
	v_mul_lo_u32 v15, s39, v3
	v_mul_lo_u32 v14, s0, v12
	s_delay_alu instid0(VALU_DEP_1) | instskip(SKIP_1) | instid1(VALU_DEP_2)
	v_add_nc_u32_e32 v13, v13, v14
	v_mul_lo_u32 v14, s0, v3
	v_add_nc_u32_e32 v13, v13, v15
	s_delay_alu instid0(VALU_DEP_2) | instskip(NEXT) | instid1(VALU_DEP_2)
	v_mul_hi_u32 v15, v3, v14
	v_mul_lo_u32 v16, v3, v13
	v_mul_hi_u32 v17, v3, v13
	v_mul_hi_u32 v22, v12, v14
	v_mul_lo_u32 v14, v12, v14
	v_mul_hi_u32 v23, v12, v13
	v_mul_lo_u32 v13, v12, v13
	v_add_co_u32 v15, vcc_lo, v15, v16
	v_add_co_ci_u32_e32 v16, vcc_lo, 0, v17, vcc_lo
	s_delay_alu instid0(VALU_DEP_2) | instskip(NEXT) | instid1(VALU_DEP_2)
	v_add_co_u32 v14, vcc_lo, v15, v14
	v_add_co_ci_u32_e32 v14, vcc_lo, v16, v22, vcc_lo
	v_add_co_ci_u32_e32 v15, vcc_lo, 0, v23, vcc_lo
	v_add_co_u32 v16, vcc_lo, v6, v21
	v_add_co_ci_u32_e32 v17, vcc_lo, v7, v21, vcc_lo
	s_delay_alu instid0(VALU_DEP_4) | instskip(NEXT) | instid1(VALU_DEP_4)
	v_add_co_u32 v13, vcc_lo, v14, v13
	v_add_co_ci_u32_e32 v14, vcc_lo, 0, v15, vcc_lo
	s_delay_alu instid0(VALU_DEP_4) | instskip(NEXT) | instid1(VALU_DEP_3)
	v_xor_b32_e32 v22, v16, v21
	v_add_co_u32 v3, vcc_lo, v3, v13
	s_delay_alu instid0(VALU_DEP_3) | instskip(SKIP_1) | instid1(VALU_DEP_3)
	v_add_co_ci_u32_e32 v23, vcc_lo, v12, v14, vcc_lo
	v_xor_b32_e32 v24, v17, v21
	v_mul_hi_u32 v25, v22, v3
	s_delay_alu instid0(VALU_DEP_3) | instskip(NEXT) | instid1(VALU_DEP_3)
	v_mad_u64_u32 v[12:13], null, v22, v23, 0
	v_mad_u64_u32 v[14:15], null, v24, v3, 0
	;; [unrolled: 1-line block ×3, first 2 shown]
	s_delay_alu instid0(VALU_DEP_3) | instskip(NEXT) | instid1(VALU_DEP_4)
	v_add_co_u32 v3, vcc_lo, v25, v12
	v_add_co_ci_u32_e32 v12, vcc_lo, 0, v13, vcc_lo
	s_delay_alu instid0(VALU_DEP_2) | instskip(NEXT) | instid1(VALU_DEP_2)
	v_add_co_u32 v3, vcc_lo, v3, v14
	v_add_co_ci_u32_e32 v3, vcc_lo, v12, v15, vcc_lo
	v_add_co_ci_u32_e32 v12, vcc_lo, 0, v17, vcc_lo
	s_delay_alu instid0(VALU_DEP_2) | instskip(NEXT) | instid1(VALU_DEP_2)
	v_add_co_u32 v3, vcc_lo, v3, v16
	v_add_co_ci_u32_e32 v14, vcc_lo, 0, v12, vcc_lo
	s_delay_alu instid0(VALU_DEP_2) | instskip(SKIP_1) | instid1(VALU_DEP_3)
	v_mul_lo_u32 v15, s45, v3
	v_mad_u64_u32 v[12:13], null, s44, v3, 0
	v_mul_lo_u32 v16, s44, v14
	s_delay_alu instid0(VALU_DEP_2) | instskip(NEXT) | instid1(VALU_DEP_2)
	v_sub_co_u32 v12, vcc_lo, v22, v12
	v_add3_u32 v13, v13, v16, v15
	s_delay_alu instid0(VALU_DEP_1) | instskip(NEXT) | instid1(VALU_DEP_1)
	v_sub_nc_u32_e32 v15, v24, v13
	v_subrev_co_ci_u32_e64 v15, s0, s45, v15, vcc_lo
	v_add_co_u32 v16, s0, v3, 2
	s_delay_alu instid0(VALU_DEP_1) | instskip(SKIP_3) | instid1(VALU_DEP_3)
	v_add_co_ci_u32_e64 v17, s0, 0, v14, s0
	v_sub_co_u32 v22, s0, v12, s44
	v_sub_co_ci_u32_e32 v13, vcc_lo, v24, v13, vcc_lo
	v_subrev_co_ci_u32_e64 v15, s0, 0, v15, s0
	v_cmp_le_u32_e32 vcc_lo, s44, v22
	s_delay_alu instid0(VALU_DEP_3) | instskip(SKIP_1) | instid1(VALU_DEP_4)
	v_cmp_eq_u32_e64 s0, s45, v13
	v_cndmask_b32_e64 v22, 0, -1, vcc_lo
	v_cmp_le_u32_e32 vcc_lo, s45, v15
	v_cndmask_b32_e64 v23, 0, -1, vcc_lo
	v_cmp_le_u32_e32 vcc_lo, s44, v12
	;; [unrolled: 2-line block ×3, first 2 shown]
	v_cndmask_b32_e64 v24, 0, -1, vcc_lo
	v_cmp_eq_u32_e32 vcc_lo, s45, v15
	s_delay_alu instid0(VALU_DEP_2) | instskip(SKIP_3) | instid1(VALU_DEP_3)
	v_cndmask_b32_e64 v12, v24, v12, s0
	v_cndmask_b32_e32 v15, v23, v22, vcc_lo
	v_add_co_u32 v22, vcc_lo, v3, 1
	v_add_co_ci_u32_e32 v23, vcc_lo, 0, v14, vcc_lo
	v_cmp_ne_u32_e32 vcc_lo, 0, v15
	s_delay_alu instid0(VALU_DEP_2) | instskip(NEXT) | instid1(VALU_DEP_4)
	v_cndmask_b32_e32 v13, v23, v17, vcc_lo
	v_cndmask_b32_e32 v15, v22, v16, vcc_lo
	v_cmp_ne_u32_e32 vcc_lo, 0, v12
	v_xor_b32_e32 v12, s42, v21
	s_delay_alu instid0(VALU_DEP_3) | instskip(SKIP_1) | instid1(VALU_DEP_2)
	v_cndmask_b32_e32 v3, v3, v15, vcc_lo
	v_cndmask_b32_e32 v13, v14, v13, vcc_lo
	v_xor_b32_e32 v3, v3, v12
	s_delay_alu instid0(VALU_DEP_2) | instskip(NEXT) | instid1(VALU_DEP_2)
	v_xor_b32_e32 v13, v13, v12
	v_sub_co_u32 v14, vcc_lo, v3, v12
	s_delay_alu instid0(VALU_DEP_2)
	v_sub_co_ci_u32_e32 v15, vcc_lo, v13, v12, vcc_lo
.LBB103_30:                             ;   in Loop: Header=BB103_28 Depth=2
	s_and_not1_saveexec_b32 s0, s1
	s_cbranch_execz .LBB103_27
; %bb.31:                               ;   in Loop: Header=BB103_28 Depth=2
	v_cvt_f32_u32_e32 v3, s40
	s_sub_i32 s1, 0, s40
	v_mov_b32_e32 v15, v2
	s_delay_alu instid0(VALU_DEP_2) | instskip(SKIP_2) | instid1(VALU_DEP_1)
	v_rcp_iflag_f32_e32 v3, v3
	s_waitcnt_depctr 0xfff
	v_mul_f32_e32 v3, 0x4f7ffffe, v3
	v_cvt_u32_f32_e32 v3, v3
	s_delay_alu instid0(VALU_DEP_1) | instskip(NEXT) | instid1(VALU_DEP_1)
	v_mul_lo_u32 v12, s1, v3
	v_mul_hi_u32 v12, v3, v12
	s_delay_alu instid0(VALU_DEP_1) | instskip(NEXT) | instid1(VALU_DEP_1)
	v_add_nc_u32_e32 v3, v3, v12
	v_mul_hi_u32 v3, v6, v3
	s_delay_alu instid0(VALU_DEP_1) | instskip(SKIP_1) | instid1(VALU_DEP_2)
	v_mul_lo_u32 v12, v3, s40
	v_add_nc_u32_e32 v13, 1, v3
	v_sub_nc_u32_e32 v12, v6, v12
	s_delay_alu instid0(VALU_DEP_1) | instskip(SKIP_1) | instid1(VALU_DEP_2)
	v_subrev_nc_u32_e32 v14, s40, v12
	v_cmp_le_u32_e32 vcc_lo, s40, v12
	v_dual_cndmask_b32 v12, v12, v14 :: v_dual_cndmask_b32 v3, v3, v13
	s_delay_alu instid0(VALU_DEP_1) | instskip(NEXT) | instid1(VALU_DEP_2)
	v_cmp_le_u32_e32 vcc_lo, s40, v12
	v_add_nc_u32_e32 v13, 1, v3
	s_delay_alu instid0(VALU_DEP_1)
	v_cndmask_b32_e32 v14, v3, v13, vcc_lo
	s_branch .LBB103_27
.LBB103_32:
	s_nop 0
	s_sendmsg sendmsg(MSG_DEALLOC_VGPRS)
	s_endpgm
	.section	.rodata,"a",@progbits
	.p2align	6, 0x0
	.amdhsa_kernel _ZN2at6native16triu_tril_kernelIblLb1ELi4ELb0EEEvNS_4cuda6detail10TensorInfoIT_T0_EENS4_IKS5_S6_EEllS6_
		.amdhsa_group_segment_fixed_size 0
		.amdhsa_private_segment_fixed_size 0
		.amdhsa_kernarg_size 1112
		.amdhsa_user_sgpr_count 15
		.amdhsa_user_sgpr_dispatch_ptr 0
		.amdhsa_user_sgpr_queue_ptr 0
		.amdhsa_user_sgpr_kernarg_segment_ptr 1
		.amdhsa_user_sgpr_dispatch_id 0
		.amdhsa_user_sgpr_private_segment_size 0
		.amdhsa_wavefront_size32 1
		.amdhsa_uses_dynamic_stack 0
		.amdhsa_enable_private_segment 0
		.amdhsa_system_sgpr_workgroup_id_x 1
		.amdhsa_system_sgpr_workgroup_id_y 0
		.amdhsa_system_sgpr_workgroup_id_z 0
		.amdhsa_system_sgpr_workgroup_info 0
		.amdhsa_system_vgpr_workitem_id 0
		.amdhsa_next_free_vgpr 26
		.amdhsa_next_free_sgpr 48
		.amdhsa_reserve_vcc 1
		.amdhsa_float_round_mode_32 0
		.amdhsa_float_round_mode_16_64 0
		.amdhsa_float_denorm_mode_32 3
		.amdhsa_float_denorm_mode_16_64 3
		.amdhsa_dx10_clamp 1
		.amdhsa_ieee_mode 1
		.amdhsa_fp16_overflow 0
		.amdhsa_workgroup_processor_mode 1
		.amdhsa_memory_ordered 1
		.amdhsa_forward_progress 0
		.amdhsa_shared_vgpr_count 0
		.amdhsa_exception_fp_ieee_invalid_op 0
		.amdhsa_exception_fp_denorm_src 0
		.amdhsa_exception_fp_ieee_div_zero 0
		.amdhsa_exception_fp_ieee_overflow 0
		.amdhsa_exception_fp_ieee_underflow 0
		.amdhsa_exception_fp_ieee_inexact 0
		.amdhsa_exception_int_div_zero 0
	.end_amdhsa_kernel
	.section	.text._ZN2at6native16triu_tril_kernelIblLb1ELi4ELb0EEEvNS_4cuda6detail10TensorInfoIT_T0_EENS4_IKS5_S6_EEllS6_,"axG",@progbits,_ZN2at6native16triu_tril_kernelIblLb1ELi4ELb0EEEvNS_4cuda6detail10TensorInfoIT_T0_EENS4_IKS5_S6_EEllS6_,comdat
.Lfunc_end103:
	.size	_ZN2at6native16triu_tril_kernelIblLb1ELi4ELb0EEEvNS_4cuda6detail10TensorInfoIT_T0_EENS4_IKS5_S6_EEllS6_, .Lfunc_end103-_ZN2at6native16triu_tril_kernelIblLb1ELi4ELb0EEEvNS_4cuda6detail10TensorInfoIT_T0_EENS4_IKS5_S6_EEllS6_
                                        ; -- End function
	.section	.AMDGPU.csdata,"",@progbits
; Kernel info:
; codeLenInByte = 4664
; NumSgprs: 50
; NumVgprs: 26
; ScratchSize: 0
; MemoryBound: 0
; FloatMode: 240
; IeeeMode: 1
; LDSByteSize: 0 bytes/workgroup (compile time only)
; SGPRBlocks: 6
; VGPRBlocks: 3
; NumSGPRsForWavesPerEU: 50
; NumVGPRsForWavesPerEU: 26
; Occupancy: 16
; WaveLimiterHint : 0
; COMPUTE_PGM_RSRC2:SCRATCH_EN: 0
; COMPUTE_PGM_RSRC2:USER_SGPR: 15
; COMPUTE_PGM_RSRC2:TRAP_HANDLER: 0
; COMPUTE_PGM_RSRC2:TGID_X_EN: 1
; COMPUTE_PGM_RSRC2:TGID_Y_EN: 0
; COMPUTE_PGM_RSRC2:TGID_Z_EN: 0
; COMPUTE_PGM_RSRC2:TIDIG_COMP_CNT: 0
	.text
	.p2alignl 7, 3214868480
	.fill 96, 4, 3214868480
	.type	__hip_cuid_d0b661526d663768,@object ; @__hip_cuid_d0b661526d663768
	.section	.bss,"aw",@nobits
	.globl	__hip_cuid_d0b661526d663768
__hip_cuid_d0b661526d663768:
	.byte	0                               ; 0x0
	.size	__hip_cuid_d0b661526d663768, 1

	.ident	"AMD clang version 19.0.0git (https://github.com/RadeonOpenCompute/llvm-project roc-6.4.0 25133 c7fe45cf4b819c5991fe208aaa96edf142730f1d)"
	.section	".note.GNU-stack","",@progbits
	.addrsig
	.addrsig_sym __hip_cuid_d0b661526d663768
	.amdgpu_metadata
---
amdhsa.kernels:
  - .args:
      - .offset:         0
        .size:           216
        .value_kind:     by_value
      - .offset:         216
        .size:           216
        .value_kind:     by_value
      - .offset:         432
        .size:           8
        .value_kind:     by_value
      - .offset:         440
        .size:           8
        .value_kind:     by_value
      - .offset:         448
        .size:           4
        .value_kind:     by_value
      - .offset:         456
        .size:           4
        .value_kind:     hidden_block_count_x
      - .offset:         460
        .size:           4
        .value_kind:     hidden_block_count_y
      - .offset:         464
        .size:           4
        .value_kind:     hidden_block_count_z
      - .offset:         468
        .size:           2
        .value_kind:     hidden_group_size_x
      - .offset:         470
        .size:           2
        .value_kind:     hidden_group_size_y
      - .offset:         472
        .size:           2
        .value_kind:     hidden_group_size_z
      - .offset:         474
        .size:           2
        .value_kind:     hidden_remainder_x
      - .offset:         476
        .size:           2
        .value_kind:     hidden_remainder_y
      - .offset:         478
        .size:           2
        .value_kind:     hidden_remainder_z
      - .offset:         496
        .size:           8
        .value_kind:     hidden_global_offset_x
      - .offset:         504
        .size:           8
        .value_kind:     hidden_global_offset_y
      - .offset:         512
        .size:           8
        .value_kind:     hidden_global_offset_z
      - .offset:         520
        .size:           2
        .value_kind:     hidden_grid_dims
    .group_segment_fixed_size: 0
    .kernarg_segment_align: 8
    .kernarg_segment_size: 712
    .language:       OpenCL C
    .language_version:
      - 2
      - 0
    .max_flat_workgroup_size: 128
    .name:           _ZN2at6native16triu_tril_kernelIhiLb0ELi4ELb1EEEvNS_4cuda6detail10TensorInfoIT_T0_EENS4_IKS5_S6_EEllS6_
    .private_segment_fixed_size: 0
    .sgpr_count:     58
    .sgpr_spill_count: 0
    .symbol:         _ZN2at6native16triu_tril_kernelIhiLb0ELi4ELb1EEEvNS_4cuda6detail10TensorInfoIT_T0_EENS4_IKS5_S6_EEllS6_.kd
    .uniform_work_group_size: 1
    .uses_dynamic_stack: false
    .vgpr_count:     32
    .vgpr_spill_count: 0
    .wavefront_size: 32
    .workgroup_processor_mode: 1
  - .args:
      - .offset:         0
        .size:           216
        .value_kind:     by_value
      - .offset:         216
        .size:           216
        .value_kind:     by_value
      - .offset:         432
        .size:           8
        .value_kind:     by_value
      - .offset:         440
        .size:           8
        .value_kind:     by_value
      - .offset:         448
        .size:           4
        .value_kind:     by_value
      - .offset:         456
        .size:           4
        .value_kind:     hidden_block_count_x
      - .offset:         460
        .size:           4
        .value_kind:     hidden_block_count_y
      - .offset:         464
        .size:           4
        .value_kind:     hidden_block_count_z
      - .offset:         468
        .size:           2
        .value_kind:     hidden_group_size_x
      - .offset:         470
        .size:           2
        .value_kind:     hidden_group_size_y
      - .offset:         472
        .size:           2
        .value_kind:     hidden_group_size_z
      - .offset:         474
        .size:           2
        .value_kind:     hidden_remainder_x
      - .offset:         476
        .size:           2
        .value_kind:     hidden_remainder_y
      - .offset:         478
        .size:           2
        .value_kind:     hidden_remainder_z
      - .offset:         496
        .size:           8
        .value_kind:     hidden_global_offset_x
      - .offset:         504
        .size:           8
        .value_kind:     hidden_global_offset_y
      - .offset:         512
        .size:           8
        .value_kind:     hidden_global_offset_z
      - .offset:         520
        .size:           2
        .value_kind:     hidden_grid_dims
    .group_segment_fixed_size: 0
    .kernarg_segment_align: 8
    .kernarg_segment_size: 712
    .language:       OpenCL C
    .language_version:
      - 2
      - 0
    .max_flat_workgroup_size: 128
    .name:           _ZN2at6native16triu_tril_kernelIhiLb0ELi4ELb0EEEvNS_4cuda6detail10TensorInfoIT_T0_EENS4_IKS5_S6_EEllS6_
    .private_segment_fixed_size: 0
    .sgpr_count:     56
    .sgpr_spill_count: 0
    .symbol:         _ZN2at6native16triu_tril_kernelIhiLb0ELi4ELb0EEEvNS_4cuda6detail10TensorInfoIT_T0_EENS4_IKS5_S6_EEllS6_.kd
    .uniform_work_group_size: 1
    .uses_dynamic_stack: false
    .vgpr_count:     25
    .vgpr_spill_count: 0
    .wavefront_size: 32
    .workgroup_processor_mode: 1
  - .args:
      - .offset:         0
        .size:           416
        .value_kind:     by_value
      - .offset:         416
        .size:           416
        .value_kind:     by_value
      - .offset:         832
        .size:           8
        .value_kind:     by_value
      - .offset:         840
        .size:           8
        .value_kind:     by_value
      - .offset:         848
        .size:           8
        .value_kind:     by_value
      - .offset:         856
        .size:           4
        .value_kind:     hidden_block_count_x
      - .offset:         860
        .size:           4
        .value_kind:     hidden_block_count_y
      - .offset:         864
        .size:           4
        .value_kind:     hidden_block_count_z
      - .offset:         868
        .size:           2
        .value_kind:     hidden_group_size_x
      - .offset:         870
        .size:           2
        .value_kind:     hidden_group_size_y
      - .offset:         872
        .size:           2
        .value_kind:     hidden_group_size_z
      - .offset:         874
        .size:           2
        .value_kind:     hidden_remainder_x
      - .offset:         876
        .size:           2
        .value_kind:     hidden_remainder_y
      - .offset:         878
        .size:           2
        .value_kind:     hidden_remainder_z
      - .offset:         896
        .size:           8
        .value_kind:     hidden_global_offset_x
      - .offset:         904
        .size:           8
        .value_kind:     hidden_global_offset_y
      - .offset:         912
        .size:           8
        .value_kind:     hidden_global_offset_z
      - .offset:         920
        .size:           2
        .value_kind:     hidden_grid_dims
    .group_segment_fixed_size: 0
    .kernarg_segment_align: 8
    .kernarg_segment_size: 1112
    .language:       OpenCL C
    .language_version:
      - 2
      - 0
    .max_flat_workgroup_size: 128
    .name:           _ZN2at6native16triu_tril_kernelIhlLb0ELi4ELb1EEEvNS_4cuda6detail10TensorInfoIT_T0_EENS4_IKS5_S6_EEllS6_
    .private_segment_fixed_size: 0
    .sgpr_count:     47
    .sgpr_spill_count: 0
    .symbol:         _ZN2at6native16triu_tril_kernelIhlLb0ELi4ELb1EEEvNS_4cuda6detail10TensorInfoIT_T0_EENS4_IKS5_S6_EEllS6_.kd
    .uniform_work_group_size: 1
    .uses_dynamic_stack: false
    .vgpr_count:     26
    .vgpr_spill_count: 0
    .wavefront_size: 32
    .workgroup_processor_mode: 1
  - .args:
      - .offset:         0
        .size:           416
        .value_kind:     by_value
      - .offset:         416
        .size:           416
        .value_kind:     by_value
      - .offset:         832
        .size:           8
        .value_kind:     by_value
      - .offset:         840
        .size:           8
        .value_kind:     by_value
      - .offset:         848
        .size:           8
        .value_kind:     by_value
      - .offset:         856
        .size:           4
        .value_kind:     hidden_block_count_x
      - .offset:         860
        .size:           4
        .value_kind:     hidden_block_count_y
      - .offset:         864
        .size:           4
        .value_kind:     hidden_block_count_z
      - .offset:         868
        .size:           2
        .value_kind:     hidden_group_size_x
      - .offset:         870
        .size:           2
        .value_kind:     hidden_group_size_y
      - .offset:         872
        .size:           2
        .value_kind:     hidden_group_size_z
      - .offset:         874
        .size:           2
        .value_kind:     hidden_remainder_x
      - .offset:         876
        .size:           2
        .value_kind:     hidden_remainder_y
      - .offset:         878
        .size:           2
        .value_kind:     hidden_remainder_z
      - .offset:         896
        .size:           8
        .value_kind:     hidden_global_offset_x
      - .offset:         904
        .size:           8
        .value_kind:     hidden_global_offset_y
      - .offset:         912
        .size:           8
        .value_kind:     hidden_global_offset_z
      - .offset:         920
        .size:           2
        .value_kind:     hidden_grid_dims
    .group_segment_fixed_size: 0
    .kernarg_segment_align: 8
    .kernarg_segment_size: 1112
    .language:       OpenCL C
    .language_version:
      - 2
      - 0
    .max_flat_workgroup_size: 128
    .name:           _ZN2at6native16triu_tril_kernelIhlLb0ELi4ELb0EEEvNS_4cuda6detail10TensorInfoIT_T0_EENS4_IKS5_S6_EEllS6_
    .private_segment_fixed_size: 0
    .sgpr_count:     49
    .sgpr_spill_count: 0
    .symbol:         _ZN2at6native16triu_tril_kernelIhlLb0ELi4ELb0EEEvNS_4cuda6detail10TensorInfoIT_T0_EENS4_IKS5_S6_EEllS6_.kd
    .uniform_work_group_size: 1
    .uses_dynamic_stack: false
    .vgpr_count:     26
    .vgpr_spill_count: 0
    .wavefront_size: 32
    .workgroup_processor_mode: 1
  - .args:
      - .offset:         0
        .size:           216
        .value_kind:     by_value
      - .offset:         216
        .size:           216
        .value_kind:     by_value
      - .offset:         432
        .size:           8
        .value_kind:     by_value
      - .offset:         440
        .size:           8
        .value_kind:     by_value
      - .offset:         448
        .size:           4
        .value_kind:     by_value
      - .offset:         456
        .size:           4
        .value_kind:     hidden_block_count_x
      - .offset:         460
        .size:           4
        .value_kind:     hidden_block_count_y
      - .offset:         464
        .size:           4
        .value_kind:     hidden_block_count_z
      - .offset:         468
        .size:           2
        .value_kind:     hidden_group_size_x
      - .offset:         470
        .size:           2
        .value_kind:     hidden_group_size_y
      - .offset:         472
        .size:           2
        .value_kind:     hidden_group_size_z
      - .offset:         474
        .size:           2
        .value_kind:     hidden_remainder_x
      - .offset:         476
        .size:           2
        .value_kind:     hidden_remainder_y
      - .offset:         478
        .size:           2
        .value_kind:     hidden_remainder_z
      - .offset:         496
        .size:           8
        .value_kind:     hidden_global_offset_x
      - .offset:         504
        .size:           8
        .value_kind:     hidden_global_offset_y
      - .offset:         512
        .size:           8
        .value_kind:     hidden_global_offset_z
      - .offset:         520
        .size:           2
        .value_kind:     hidden_grid_dims
    .group_segment_fixed_size: 0
    .kernarg_segment_align: 8
    .kernarg_segment_size: 712
    .language:       OpenCL C
    .language_version:
      - 2
      - 0
    .max_flat_workgroup_size: 128
    .name:           _ZN2at6native16triu_tril_kernelIaiLb0ELi4ELb1EEEvNS_4cuda6detail10TensorInfoIT_T0_EENS4_IKS5_S6_EEllS6_
    .private_segment_fixed_size: 0
    .sgpr_count:     58
    .sgpr_spill_count: 0
    .symbol:         _ZN2at6native16triu_tril_kernelIaiLb0ELi4ELb1EEEvNS_4cuda6detail10TensorInfoIT_T0_EENS4_IKS5_S6_EEllS6_.kd
    .uniform_work_group_size: 1
    .uses_dynamic_stack: false
    .vgpr_count:     32
    .vgpr_spill_count: 0
    .wavefront_size: 32
    .workgroup_processor_mode: 1
  - .args:
      - .offset:         0
        .size:           216
        .value_kind:     by_value
      - .offset:         216
        .size:           216
        .value_kind:     by_value
      - .offset:         432
        .size:           8
        .value_kind:     by_value
      - .offset:         440
        .size:           8
        .value_kind:     by_value
      - .offset:         448
        .size:           4
        .value_kind:     by_value
      - .offset:         456
        .size:           4
        .value_kind:     hidden_block_count_x
      - .offset:         460
        .size:           4
        .value_kind:     hidden_block_count_y
      - .offset:         464
        .size:           4
        .value_kind:     hidden_block_count_z
      - .offset:         468
        .size:           2
        .value_kind:     hidden_group_size_x
      - .offset:         470
        .size:           2
        .value_kind:     hidden_group_size_y
      - .offset:         472
        .size:           2
        .value_kind:     hidden_group_size_z
      - .offset:         474
        .size:           2
        .value_kind:     hidden_remainder_x
      - .offset:         476
        .size:           2
        .value_kind:     hidden_remainder_y
      - .offset:         478
        .size:           2
        .value_kind:     hidden_remainder_z
      - .offset:         496
        .size:           8
        .value_kind:     hidden_global_offset_x
      - .offset:         504
        .size:           8
        .value_kind:     hidden_global_offset_y
      - .offset:         512
        .size:           8
        .value_kind:     hidden_global_offset_z
      - .offset:         520
        .size:           2
        .value_kind:     hidden_grid_dims
    .group_segment_fixed_size: 0
    .kernarg_segment_align: 8
    .kernarg_segment_size: 712
    .language:       OpenCL C
    .language_version:
      - 2
      - 0
    .max_flat_workgroup_size: 128
    .name:           _ZN2at6native16triu_tril_kernelIaiLb0ELi4ELb0EEEvNS_4cuda6detail10TensorInfoIT_T0_EENS4_IKS5_S6_EEllS6_
    .private_segment_fixed_size: 0
    .sgpr_count:     56
    .sgpr_spill_count: 0
    .symbol:         _ZN2at6native16triu_tril_kernelIaiLb0ELi4ELb0EEEvNS_4cuda6detail10TensorInfoIT_T0_EENS4_IKS5_S6_EEllS6_.kd
    .uniform_work_group_size: 1
    .uses_dynamic_stack: false
    .vgpr_count:     25
    .vgpr_spill_count: 0
    .wavefront_size: 32
    .workgroup_processor_mode: 1
  - .args:
      - .offset:         0
        .size:           416
        .value_kind:     by_value
      - .offset:         416
        .size:           416
        .value_kind:     by_value
      - .offset:         832
        .size:           8
        .value_kind:     by_value
      - .offset:         840
        .size:           8
        .value_kind:     by_value
      - .offset:         848
        .size:           8
        .value_kind:     by_value
      - .offset:         856
        .size:           4
        .value_kind:     hidden_block_count_x
      - .offset:         860
        .size:           4
        .value_kind:     hidden_block_count_y
      - .offset:         864
        .size:           4
        .value_kind:     hidden_block_count_z
      - .offset:         868
        .size:           2
        .value_kind:     hidden_group_size_x
      - .offset:         870
        .size:           2
        .value_kind:     hidden_group_size_y
      - .offset:         872
        .size:           2
        .value_kind:     hidden_group_size_z
      - .offset:         874
        .size:           2
        .value_kind:     hidden_remainder_x
      - .offset:         876
        .size:           2
        .value_kind:     hidden_remainder_y
      - .offset:         878
        .size:           2
        .value_kind:     hidden_remainder_z
      - .offset:         896
        .size:           8
        .value_kind:     hidden_global_offset_x
      - .offset:         904
        .size:           8
        .value_kind:     hidden_global_offset_y
      - .offset:         912
        .size:           8
        .value_kind:     hidden_global_offset_z
      - .offset:         920
        .size:           2
        .value_kind:     hidden_grid_dims
    .group_segment_fixed_size: 0
    .kernarg_segment_align: 8
    .kernarg_segment_size: 1112
    .language:       OpenCL C
    .language_version:
      - 2
      - 0
    .max_flat_workgroup_size: 128
    .name:           _ZN2at6native16triu_tril_kernelIalLb0ELi4ELb1EEEvNS_4cuda6detail10TensorInfoIT_T0_EENS4_IKS5_S6_EEllS6_
    .private_segment_fixed_size: 0
    .sgpr_count:     47
    .sgpr_spill_count: 0
    .symbol:         _ZN2at6native16triu_tril_kernelIalLb0ELi4ELb1EEEvNS_4cuda6detail10TensorInfoIT_T0_EENS4_IKS5_S6_EEllS6_.kd
    .uniform_work_group_size: 1
    .uses_dynamic_stack: false
    .vgpr_count:     26
    .vgpr_spill_count: 0
    .wavefront_size: 32
    .workgroup_processor_mode: 1
  - .args:
      - .offset:         0
        .size:           416
        .value_kind:     by_value
      - .offset:         416
        .size:           416
        .value_kind:     by_value
      - .offset:         832
        .size:           8
        .value_kind:     by_value
      - .offset:         840
        .size:           8
        .value_kind:     by_value
      - .offset:         848
        .size:           8
        .value_kind:     by_value
      - .offset:         856
        .size:           4
        .value_kind:     hidden_block_count_x
      - .offset:         860
        .size:           4
        .value_kind:     hidden_block_count_y
      - .offset:         864
        .size:           4
        .value_kind:     hidden_block_count_z
      - .offset:         868
        .size:           2
        .value_kind:     hidden_group_size_x
      - .offset:         870
        .size:           2
        .value_kind:     hidden_group_size_y
      - .offset:         872
        .size:           2
        .value_kind:     hidden_group_size_z
      - .offset:         874
        .size:           2
        .value_kind:     hidden_remainder_x
      - .offset:         876
        .size:           2
        .value_kind:     hidden_remainder_y
      - .offset:         878
        .size:           2
        .value_kind:     hidden_remainder_z
      - .offset:         896
        .size:           8
        .value_kind:     hidden_global_offset_x
      - .offset:         904
        .size:           8
        .value_kind:     hidden_global_offset_y
      - .offset:         912
        .size:           8
        .value_kind:     hidden_global_offset_z
      - .offset:         920
        .size:           2
        .value_kind:     hidden_grid_dims
    .group_segment_fixed_size: 0
    .kernarg_segment_align: 8
    .kernarg_segment_size: 1112
    .language:       OpenCL C
    .language_version:
      - 2
      - 0
    .max_flat_workgroup_size: 128
    .name:           _ZN2at6native16triu_tril_kernelIalLb0ELi4ELb0EEEvNS_4cuda6detail10TensorInfoIT_T0_EENS4_IKS5_S6_EEllS6_
    .private_segment_fixed_size: 0
    .sgpr_count:     49
    .sgpr_spill_count: 0
    .symbol:         _ZN2at6native16triu_tril_kernelIalLb0ELi4ELb0EEEvNS_4cuda6detail10TensorInfoIT_T0_EENS4_IKS5_S6_EEllS6_.kd
    .uniform_work_group_size: 1
    .uses_dynamic_stack: false
    .vgpr_count:     26
    .vgpr_spill_count: 0
    .wavefront_size: 32
    .workgroup_processor_mode: 1
  - .args:
      - .offset:         0
        .size:           216
        .value_kind:     by_value
      - .offset:         216
        .size:           216
        .value_kind:     by_value
      - .offset:         432
        .size:           8
        .value_kind:     by_value
      - .offset:         440
        .size:           8
        .value_kind:     by_value
      - .offset:         448
        .size:           4
        .value_kind:     by_value
      - .offset:         456
        .size:           4
        .value_kind:     hidden_block_count_x
      - .offset:         460
        .size:           4
        .value_kind:     hidden_block_count_y
      - .offset:         464
        .size:           4
        .value_kind:     hidden_block_count_z
      - .offset:         468
        .size:           2
        .value_kind:     hidden_group_size_x
      - .offset:         470
        .size:           2
        .value_kind:     hidden_group_size_y
      - .offset:         472
        .size:           2
        .value_kind:     hidden_group_size_z
      - .offset:         474
        .size:           2
        .value_kind:     hidden_remainder_x
      - .offset:         476
        .size:           2
        .value_kind:     hidden_remainder_y
      - .offset:         478
        .size:           2
        .value_kind:     hidden_remainder_z
      - .offset:         496
        .size:           8
        .value_kind:     hidden_global_offset_x
      - .offset:         504
        .size:           8
        .value_kind:     hidden_global_offset_y
      - .offset:         512
        .size:           8
        .value_kind:     hidden_global_offset_z
      - .offset:         520
        .size:           2
        .value_kind:     hidden_grid_dims
    .group_segment_fixed_size: 0
    .kernarg_segment_align: 8
    .kernarg_segment_size: 712
    .language:       OpenCL C
    .language_version:
      - 2
      - 0
    .max_flat_workgroup_size: 128
    .name:           _ZN2at6native16triu_tril_kernelIiiLb0ELi2ELb1EEEvNS_4cuda6detail10TensorInfoIT_T0_EENS4_IKS5_S6_EEllS6_
    .private_segment_fixed_size: 0
    .sgpr_count:     58
    .sgpr_spill_count: 0
    .symbol:         _ZN2at6native16triu_tril_kernelIiiLb0ELi2ELb1EEEvNS_4cuda6detail10TensorInfoIT_T0_EENS4_IKS5_S6_EEllS6_.kd
    .uniform_work_group_size: 1
    .uses_dynamic_stack: false
    .vgpr_count:     32
    .vgpr_spill_count: 0
    .wavefront_size: 32
    .workgroup_processor_mode: 1
  - .args:
      - .offset:         0
        .size:           216
        .value_kind:     by_value
      - .offset:         216
        .size:           216
        .value_kind:     by_value
      - .offset:         432
        .size:           8
        .value_kind:     by_value
      - .offset:         440
        .size:           8
        .value_kind:     by_value
      - .offset:         448
        .size:           4
        .value_kind:     by_value
      - .offset:         456
        .size:           4
        .value_kind:     hidden_block_count_x
      - .offset:         460
        .size:           4
        .value_kind:     hidden_block_count_y
      - .offset:         464
        .size:           4
        .value_kind:     hidden_block_count_z
      - .offset:         468
        .size:           2
        .value_kind:     hidden_group_size_x
      - .offset:         470
        .size:           2
        .value_kind:     hidden_group_size_y
      - .offset:         472
        .size:           2
        .value_kind:     hidden_group_size_z
      - .offset:         474
        .size:           2
        .value_kind:     hidden_remainder_x
      - .offset:         476
        .size:           2
        .value_kind:     hidden_remainder_y
      - .offset:         478
        .size:           2
        .value_kind:     hidden_remainder_z
      - .offset:         496
        .size:           8
        .value_kind:     hidden_global_offset_x
      - .offset:         504
        .size:           8
        .value_kind:     hidden_global_offset_y
      - .offset:         512
        .size:           8
        .value_kind:     hidden_global_offset_z
      - .offset:         520
        .size:           2
        .value_kind:     hidden_grid_dims
    .group_segment_fixed_size: 0
    .kernarg_segment_align: 8
    .kernarg_segment_size: 712
    .language:       OpenCL C
    .language_version:
      - 2
      - 0
    .max_flat_workgroup_size: 128
    .name:           _ZN2at6native16triu_tril_kernelIiiLb0ELi2ELb0EEEvNS_4cuda6detail10TensorInfoIT_T0_EENS4_IKS5_S6_EEllS6_
    .private_segment_fixed_size: 0
    .sgpr_count:     56
    .sgpr_spill_count: 0
    .symbol:         _ZN2at6native16triu_tril_kernelIiiLb0ELi2ELb0EEEvNS_4cuda6detail10TensorInfoIT_T0_EENS4_IKS5_S6_EEllS6_.kd
    .uniform_work_group_size: 1
    .uses_dynamic_stack: false
    .vgpr_count:     25
    .vgpr_spill_count: 0
    .wavefront_size: 32
    .workgroup_processor_mode: 1
  - .args:
      - .offset:         0
        .size:           416
        .value_kind:     by_value
      - .offset:         416
        .size:           416
        .value_kind:     by_value
      - .offset:         832
        .size:           8
        .value_kind:     by_value
      - .offset:         840
        .size:           8
        .value_kind:     by_value
      - .offset:         848
        .size:           8
        .value_kind:     by_value
      - .offset:         856
        .size:           4
        .value_kind:     hidden_block_count_x
      - .offset:         860
        .size:           4
        .value_kind:     hidden_block_count_y
      - .offset:         864
        .size:           4
        .value_kind:     hidden_block_count_z
      - .offset:         868
        .size:           2
        .value_kind:     hidden_group_size_x
      - .offset:         870
        .size:           2
        .value_kind:     hidden_group_size_y
      - .offset:         872
        .size:           2
        .value_kind:     hidden_group_size_z
      - .offset:         874
        .size:           2
        .value_kind:     hidden_remainder_x
      - .offset:         876
        .size:           2
        .value_kind:     hidden_remainder_y
      - .offset:         878
        .size:           2
        .value_kind:     hidden_remainder_z
      - .offset:         896
        .size:           8
        .value_kind:     hidden_global_offset_x
      - .offset:         904
        .size:           8
        .value_kind:     hidden_global_offset_y
      - .offset:         912
        .size:           8
        .value_kind:     hidden_global_offset_z
      - .offset:         920
        .size:           2
        .value_kind:     hidden_grid_dims
    .group_segment_fixed_size: 0
    .kernarg_segment_align: 8
    .kernarg_segment_size: 1112
    .language:       OpenCL C
    .language_version:
      - 2
      - 0
    .max_flat_workgroup_size: 128
    .name:           _ZN2at6native16triu_tril_kernelIilLb0ELi2ELb1EEEvNS_4cuda6detail10TensorInfoIT_T0_EENS4_IKS5_S6_EEllS6_
    .private_segment_fixed_size: 0
    .sgpr_count:     47
    .sgpr_spill_count: 0
    .symbol:         _ZN2at6native16triu_tril_kernelIilLb0ELi2ELb1EEEvNS_4cuda6detail10TensorInfoIT_T0_EENS4_IKS5_S6_EEllS6_.kd
    .uniform_work_group_size: 1
    .uses_dynamic_stack: false
    .vgpr_count:     26
    .vgpr_spill_count: 0
    .wavefront_size: 32
    .workgroup_processor_mode: 1
  - .args:
      - .offset:         0
        .size:           416
        .value_kind:     by_value
      - .offset:         416
        .size:           416
        .value_kind:     by_value
      - .offset:         832
        .size:           8
        .value_kind:     by_value
      - .offset:         840
        .size:           8
        .value_kind:     by_value
      - .offset:         848
        .size:           8
        .value_kind:     by_value
      - .offset:         856
        .size:           4
        .value_kind:     hidden_block_count_x
      - .offset:         860
        .size:           4
        .value_kind:     hidden_block_count_y
      - .offset:         864
        .size:           4
        .value_kind:     hidden_block_count_z
      - .offset:         868
        .size:           2
        .value_kind:     hidden_group_size_x
      - .offset:         870
        .size:           2
        .value_kind:     hidden_group_size_y
      - .offset:         872
        .size:           2
        .value_kind:     hidden_group_size_z
      - .offset:         874
        .size:           2
        .value_kind:     hidden_remainder_x
      - .offset:         876
        .size:           2
        .value_kind:     hidden_remainder_y
      - .offset:         878
        .size:           2
        .value_kind:     hidden_remainder_z
      - .offset:         896
        .size:           8
        .value_kind:     hidden_global_offset_x
      - .offset:         904
        .size:           8
        .value_kind:     hidden_global_offset_y
      - .offset:         912
        .size:           8
        .value_kind:     hidden_global_offset_z
      - .offset:         920
        .size:           2
        .value_kind:     hidden_grid_dims
    .group_segment_fixed_size: 0
    .kernarg_segment_align: 8
    .kernarg_segment_size: 1112
    .language:       OpenCL C
    .language_version:
      - 2
      - 0
    .max_flat_workgroup_size: 128
    .name:           _ZN2at6native16triu_tril_kernelIilLb0ELi2ELb0EEEvNS_4cuda6detail10TensorInfoIT_T0_EENS4_IKS5_S6_EEllS6_
    .private_segment_fixed_size: 0
    .sgpr_count:     49
    .sgpr_spill_count: 0
    .symbol:         _ZN2at6native16triu_tril_kernelIilLb0ELi2ELb0EEEvNS_4cuda6detail10TensorInfoIT_T0_EENS4_IKS5_S6_EEllS6_.kd
    .uniform_work_group_size: 1
    .uses_dynamic_stack: false
    .vgpr_count:     26
    .vgpr_spill_count: 0
    .wavefront_size: 32
    .workgroup_processor_mode: 1
  - .args:
      - .offset:         0
        .size:           216
        .value_kind:     by_value
      - .offset:         216
        .size:           216
        .value_kind:     by_value
      - .offset:         432
        .size:           8
        .value_kind:     by_value
      - .offset:         440
        .size:           8
        .value_kind:     by_value
      - .offset:         448
        .size:           4
        .value_kind:     by_value
      - .offset:         456
        .size:           4
        .value_kind:     hidden_block_count_x
      - .offset:         460
        .size:           4
        .value_kind:     hidden_block_count_y
      - .offset:         464
        .size:           4
        .value_kind:     hidden_block_count_z
      - .offset:         468
        .size:           2
        .value_kind:     hidden_group_size_x
      - .offset:         470
        .size:           2
        .value_kind:     hidden_group_size_y
      - .offset:         472
        .size:           2
        .value_kind:     hidden_group_size_z
      - .offset:         474
        .size:           2
        .value_kind:     hidden_remainder_x
      - .offset:         476
        .size:           2
        .value_kind:     hidden_remainder_y
      - .offset:         478
        .size:           2
        .value_kind:     hidden_remainder_z
      - .offset:         496
        .size:           8
        .value_kind:     hidden_global_offset_x
      - .offset:         504
        .size:           8
        .value_kind:     hidden_global_offset_y
      - .offset:         512
        .size:           8
        .value_kind:     hidden_global_offset_z
      - .offset:         520
        .size:           2
        .value_kind:     hidden_grid_dims
    .group_segment_fixed_size: 0
    .kernarg_segment_align: 8
    .kernarg_segment_size: 712
    .language:       OpenCL C
    .language_version:
      - 2
      - 0
    .max_flat_workgroup_size: 128
    .name:           _ZN2at6native16triu_tril_kernelIliLb0ELi2ELb1EEEvNS_4cuda6detail10TensorInfoIT_T0_EENS4_IKS5_S6_EEllS6_
    .private_segment_fixed_size: 0
    .sgpr_count:     58
    .sgpr_spill_count: 0
    .symbol:         _ZN2at6native16triu_tril_kernelIliLb0ELi2ELb1EEEvNS_4cuda6detail10TensorInfoIT_T0_EENS4_IKS5_S6_EEllS6_.kd
    .uniform_work_group_size: 1
    .uses_dynamic_stack: false
    .vgpr_count:     32
    .vgpr_spill_count: 0
    .wavefront_size: 32
    .workgroup_processor_mode: 1
  - .args:
      - .offset:         0
        .size:           216
        .value_kind:     by_value
      - .offset:         216
        .size:           216
        .value_kind:     by_value
      - .offset:         432
        .size:           8
        .value_kind:     by_value
      - .offset:         440
        .size:           8
        .value_kind:     by_value
      - .offset:         448
        .size:           4
        .value_kind:     by_value
      - .offset:         456
        .size:           4
        .value_kind:     hidden_block_count_x
      - .offset:         460
        .size:           4
        .value_kind:     hidden_block_count_y
      - .offset:         464
        .size:           4
        .value_kind:     hidden_block_count_z
      - .offset:         468
        .size:           2
        .value_kind:     hidden_group_size_x
      - .offset:         470
        .size:           2
        .value_kind:     hidden_group_size_y
      - .offset:         472
        .size:           2
        .value_kind:     hidden_group_size_z
      - .offset:         474
        .size:           2
        .value_kind:     hidden_remainder_x
      - .offset:         476
        .size:           2
        .value_kind:     hidden_remainder_y
      - .offset:         478
        .size:           2
        .value_kind:     hidden_remainder_z
      - .offset:         496
        .size:           8
        .value_kind:     hidden_global_offset_x
      - .offset:         504
        .size:           8
        .value_kind:     hidden_global_offset_y
      - .offset:         512
        .size:           8
        .value_kind:     hidden_global_offset_z
      - .offset:         520
        .size:           2
        .value_kind:     hidden_grid_dims
    .group_segment_fixed_size: 0
    .kernarg_segment_align: 8
    .kernarg_segment_size: 712
    .language:       OpenCL C
    .language_version:
      - 2
      - 0
    .max_flat_workgroup_size: 128
    .name:           _ZN2at6native16triu_tril_kernelIliLb0ELi2ELb0EEEvNS_4cuda6detail10TensorInfoIT_T0_EENS4_IKS5_S6_EEllS6_
    .private_segment_fixed_size: 0
    .sgpr_count:     56
    .sgpr_spill_count: 0
    .symbol:         _ZN2at6native16triu_tril_kernelIliLb0ELi2ELb0EEEvNS_4cuda6detail10TensorInfoIT_T0_EENS4_IKS5_S6_EEllS6_.kd
    .uniform_work_group_size: 1
    .uses_dynamic_stack: false
    .vgpr_count:     25
    .vgpr_spill_count: 0
    .wavefront_size: 32
    .workgroup_processor_mode: 1
  - .args:
      - .offset:         0
        .size:           416
        .value_kind:     by_value
      - .offset:         416
        .size:           416
        .value_kind:     by_value
      - .offset:         832
        .size:           8
        .value_kind:     by_value
      - .offset:         840
        .size:           8
        .value_kind:     by_value
      - .offset:         848
        .size:           8
        .value_kind:     by_value
      - .offset:         856
        .size:           4
        .value_kind:     hidden_block_count_x
      - .offset:         860
        .size:           4
        .value_kind:     hidden_block_count_y
      - .offset:         864
        .size:           4
        .value_kind:     hidden_block_count_z
      - .offset:         868
        .size:           2
        .value_kind:     hidden_group_size_x
      - .offset:         870
        .size:           2
        .value_kind:     hidden_group_size_y
      - .offset:         872
        .size:           2
        .value_kind:     hidden_group_size_z
      - .offset:         874
        .size:           2
        .value_kind:     hidden_remainder_x
      - .offset:         876
        .size:           2
        .value_kind:     hidden_remainder_y
      - .offset:         878
        .size:           2
        .value_kind:     hidden_remainder_z
      - .offset:         896
        .size:           8
        .value_kind:     hidden_global_offset_x
      - .offset:         904
        .size:           8
        .value_kind:     hidden_global_offset_y
      - .offset:         912
        .size:           8
        .value_kind:     hidden_global_offset_z
      - .offset:         920
        .size:           2
        .value_kind:     hidden_grid_dims
    .group_segment_fixed_size: 0
    .kernarg_segment_align: 8
    .kernarg_segment_size: 1112
    .language:       OpenCL C
    .language_version:
      - 2
      - 0
    .max_flat_workgroup_size: 128
    .name:           _ZN2at6native16triu_tril_kernelIllLb0ELi2ELb1EEEvNS_4cuda6detail10TensorInfoIT_T0_EENS4_IKS5_S6_EEllS6_
    .private_segment_fixed_size: 0
    .sgpr_count:     47
    .sgpr_spill_count: 0
    .symbol:         _ZN2at6native16triu_tril_kernelIllLb0ELi2ELb1EEEvNS_4cuda6detail10TensorInfoIT_T0_EENS4_IKS5_S6_EEllS6_.kd
    .uniform_work_group_size: 1
    .uses_dynamic_stack: false
    .vgpr_count:     26
    .vgpr_spill_count: 0
    .wavefront_size: 32
    .workgroup_processor_mode: 1
  - .args:
      - .offset:         0
        .size:           416
        .value_kind:     by_value
      - .offset:         416
        .size:           416
        .value_kind:     by_value
      - .offset:         832
        .size:           8
        .value_kind:     by_value
      - .offset:         840
        .size:           8
        .value_kind:     by_value
      - .offset:         848
        .size:           8
        .value_kind:     by_value
      - .offset:         856
        .size:           4
        .value_kind:     hidden_block_count_x
      - .offset:         860
        .size:           4
        .value_kind:     hidden_block_count_y
      - .offset:         864
        .size:           4
        .value_kind:     hidden_block_count_z
      - .offset:         868
        .size:           2
        .value_kind:     hidden_group_size_x
      - .offset:         870
        .size:           2
        .value_kind:     hidden_group_size_y
      - .offset:         872
        .size:           2
        .value_kind:     hidden_group_size_z
      - .offset:         874
        .size:           2
        .value_kind:     hidden_remainder_x
      - .offset:         876
        .size:           2
        .value_kind:     hidden_remainder_y
      - .offset:         878
        .size:           2
        .value_kind:     hidden_remainder_z
      - .offset:         896
        .size:           8
        .value_kind:     hidden_global_offset_x
      - .offset:         904
        .size:           8
        .value_kind:     hidden_global_offset_y
      - .offset:         912
        .size:           8
        .value_kind:     hidden_global_offset_z
      - .offset:         920
        .size:           2
        .value_kind:     hidden_grid_dims
    .group_segment_fixed_size: 0
    .kernarg_segment_align: 8
    .kernarg_segment_size: 1112
    .language:       OpenCL C
    .language_version:
      - 2
      - 0
    .max_flat_workgroup_size: 128
    .name:           _ZN2at6native16triu_tril_kernelIllLb0ELi2ELb0EEEvNS_4cuda6detail10TensorInfoIT_T0_EENS4_IKS5_S6_EEllS6_
    .private_segment_fixed_size: 0
    .sgpr_count:     49
    .sgpr_spill_count: 0
    .symbol:         _ZN2at6native16triu_tril_kernelIllLb0ELi2ELb0EEEvNS_4cuda6detail10TensorInfoIT_T0_EENS4_IKS5_S6_EEllS6_.kd
    .uniform_work_group_size: 1
    .uses_dynamic_stack: false
    .vgpr_count:     26
    .vgpr_spill_count: 0
    .wavefront_size: 32
    .workgroup_processor_mode: 1
  - .args:
      - .offset:         0
        .size:           216
        .value_kind:     by_value
      - .offset:         216
        .size:           216
        .value_kind:     by_value
      - .offset:         432
        .size:           8
        .value_kind:     by_value
      - .offset:         440
        .size:           8
        .value_kind:     by_value
      - .offset:         448
        .size:           4
        .value_kind:     by_value
      - .offset:         456
        .size:           4
        .value_kind:     hidden_block_count_x
      - .offset:         460
        .size:           4
        .value_kind:     hidden_block_count_y
      - .offset:         464
        .size:           4
        .value_kind:     hidden_block_count_z
      - .offset:         468
        .size:           2
        .value_kind:     hidden_group_size_x
      - .offset:         470
        .size:           2
        .value_kind:     hidden_group_size_y
      - .offset:         472
        .size:           2
        .value_kind:     hidden_group_size_z
      - .offset:         474
        .size:           2
        .value_kind:     hidden_remainder_x
      - .offset:         476
        .size:           2
        .value_kind:     hidden_remainder_y
      - .offset:         478
        .size:           2
        .value_kind:     hidden_remainder_z
      - .offset:         496
        .size:           8
        .value_kind:     hidden_global_offset_x
      - .offset:         504
        .size:           8
        .value_kind:     hidden_global_offset_y
      - .offset:         512
        .size:           8
        .value_kind:     hidden_global_offset_z
      - .offset:         520
        .size:           2
        .value_kind:     hidden_grid_dims
    .group_segment_fixed_size: 0
    .kernarg_segment_align: 8
    .kernarg_segment_size: 712
    .language:       OpenCL C
    .language_version:
      - 2
      - 0
    .max_flat_workgroup_size: 128
    .name:           _ZN2at6native16triu_tril_kernelIsiLb0ELi4ELb1EEEvNS_4cuda6detail10TensorInfoIT_T0_EENS4_IKS5_S6_EEllS6_
    .private_segment_fixed_size: 0
    .sgpr_count:     58
    .sgpr_spill_count: 0
    .symbol:         _ZN2at6native16triu_tril_kernelIsiLb0ELi4ELb1EEEvNS_4cuda6detail10TensorInfoIT_T0_EENS4_IKS5_S6_EEllS6_.kd
    .uniform_work_group_size: 1
    .uses_dynamic_stack: false
    .vgpr_count:     32
    .vgpr_spill_count: 0
    .wavefront_size: 32
    .workgroup_processor_mode: 1
  - .args:
      - .offset:         0
        .size:           216
        .value_kind:     by_value
      - .offset:         216
        .size:           216
        .value_kind:     by_value
      - .offset:         432
        .size:           8
        .value_kind:     by_value
      - .offset:         440
        .size:           8
        .value_kind:     by_value
      - .offset:         448
        .size:           4
        .value_kind:     by_value
      - .offset:         456
        .size:           4
        .value_kind:     hidden_block_count_x
      - .offset:         460
        .size:           4
        .value_kind:     hidden_block_count_y
      - .offset:         464
        .size:           4
        .value_kind:     hidden_block_count_z
      - .offset:         468
        .size:           2
        .value_kind:     hidden_group_size_x
      - .offset:         470
        .size:           2
        .value_kind:     hidden_group_size_y
      - .offset:         472
        .size:           2
        .value_kind:     hidden_group_size_z
      - .offset:         474
        .size:           2
        .value_kind:     hidden_remainder_x
      - .offset:         476
        .size:           2
        .value_kind:     hidden_remainder_y
      - .offset:         478
        .size:           2
        .value_kind:     hidden_remainder_z
      - .offset:         496
        .size:           8
        .value_kind:     hidden_global_offset_x
      - .offset:         504
        .size:           8
        .value_kind:     hidden_global_offset_y
      - .offset:         512
        .size:           8
        .value_kind:     hidden_global_offset_z
      - .offset:         520
        .size:           2
        .value_kind:     hidden_grid_dims
    .group_segment_fixed_size: 0
    .kernarg_segment_align: 8
    .kernarg_segment_size: 712
    .language:       OpenCL C
    .language_version:
      - 2
      - 0
    .max_flat_workgroup_size: 128
    .name:           _ZN2at6native16triu_tril_kernelIsiLb0ELi4ELb0EEEvNS_4cuda6detail10TensorInfoIT_T0_EENS4_IKS5_S6_EEllS6_
    .private_segment_fixed_size: 0
    .sgpr_count:     64
    .sgpr_spill_count: 0
    .symbol:         _ZN2at6native16triu_tril_kernelIsiLb0ELi4ELb0EEEvNS_4cuda6detail10TensorInfoIT_T0_EENS4_IKS5_S6_EEllS6_.kd
    .uniform_work_group_size: 1
    .uses_dynamic_stack: false
    .vgpr_count:     25
    .vgpr_spill_count: 0
    .wavefront_size: 32
    .workgroup_processor_mode: 1
  - .args:
      - .offset:         0
        .size:           416
        .value_kind:     by_value
      - .offset:         416
        .size:           416
        .value_kind:     by_value
      - .offset:         832
        .size:           8
        .value_kind:     by_value
      - .offset:         840
        .size:           8
        .value_kind:     by_value
      - .offset:         848
        .size:           8
        .value_kind:     by_value
      - .offset:         856
        .size:           4
        .value_kind:     hidden_block_count_x
      - .offset:         860
        .size:           4
        .value_kind:     hidden_block_count_y
      - .offset:         864
        .size:           4
        .value_kind:     hidden_block_count_z
      - .offset:         868
        .size:           2
        .value_kind:     hidden_group_size_x
      - .offset:         870
        .size:           2
        .value_kind:     hidden_group_size_y
      - .offset:         872
        .size:           2
        .value_kind:     hidden_group_size_z
      - .offset:         874
        .size:           2
        .value_kind:     hidden_remainder_x
      - .offset:         876
        .size:           2
        .value_kind:     hidden_remainder_y
      - .offset:         878
        .size:           2
        .value_kind:     hidden_remainder_z
      - .offset:         896
        .size:           8
        .value_kind:     hidden_global_offset_x
      - .offset:         904
        .size:           8
        .value_kind:     hidden_global_offset_y
      - .offset:         912
        .size:           8
        .value_kind:     hidden_global_offset_z
      - .offset:         920
        .size:           2
        .value_kind:     hidden_grid_dims
    .group_segment_fixed_size: 0
    .kernarg_segment_align: 8
    .kernarg_segment_size: 1112
    .language:       OpenCL C
    .language_version:
      - 2
      - 0
    .max_flat_workgroup_size: 128
    .name:           _ZN2at6native16triu_tril_kernelIslLb0ELi4ELb1EEEvNS_4cuda6detail10TensorInfoIT_T0_EENS4_IKS5_S6_EEllS6_
    .private_segment_fixed_size: 0
    .sgpr_count:     47
    .sgpr_spill_count: 0
    .symbol:         _ZN2at6native16triu_tril_kernelIslLb0ELi4ELb1EEEvNS_4cuda6detail10TensorInfoIT_T0_EENS4_IKS5_S6_EEllS6_.kd
    .uniform_work_group_size: 1
    .uses_dynamic_stack: false
    .vgpr_count:     26
    .vgpr_spill_count: 0
    .wavefront_size: 32
    .workgroup_processor_mode: 1
  - .args:
      - .offset:         0
        .size:           416
        .value_kind:     by_value
      - .offset:         416
        .size:           416
        .value_kind:     by_value
      - .offset:         832
        .size:           8
        .value_kind:     by_value
      - .offset:         840
        .size:           8
        .value_kind:     by_value
      - .offset:         848
        .size:           8
        .value_kind:     by_value
      - .offset:         856
        .size:           4
        .value_kind:     hidden_block_count_x
      - .offset:         860
        .size:           4
        .value_kind:     hidden_block_count_y
      - .offset:         864
        .size:           4
        .value_kind:     hidden_block_count_z
      - .offset:         868
        .size:           2
        .value_kind:     hidden_group_size_x
      - .offset:         870
        .size:           2
        .value_kind:     hidden_group_size_y
      - .offset:         872
        .size:           2
        .value_kind:     hidden_group_size_z
      - .offset:         874
        .size:           2
        .value_kind:     hidden_remainder_x
      - .offset:         876
        .size:           2
        .value_kind:     hidden_remainder_y
      - .offset:         878
        .size:           2
        .value_kind:     hidden_remainder_z
      - .offset:         896
        .size:           8
        .value_kind:     hidden_global_offset_x
      - .offset:         904
        .size:           8
        .value_kind:     hidden_global_offset_y
      - .offset:         912
        .size:           8
        .value_kind:     hidden_global_offset_z
      - .offset:         920
        .size:           2
        .value_kind:     hidden_grid_dims
    .group_segment_fixed_size: 0
    .kernarg_segment_align: 8
    .kernarg_segment_size: 1112
    .language:       OpenCL C
    .language_version:
      - 2
      - 0
    .max_flat_workgroup_size: 128
    .name:           _ZN2at6native16triu_tril_kernelIslLb0ELi4ELb0EEEvNS_4cuda6detail10TensorInfoIT_T0_EENS4_IKS5_S6_EEllS6_
    .private_segment_fixed_size: 0
    .sgpr_count:     60
    .sgpr_spill_count: 0
    .symbol:         _ZN2at6native16triu_tril_kernelIslLb0ELi4ELb0EEEvNS_4cuda6detail10TensorInfoIT_T0_EENS4_IKS5_S6_EEllS6_.kd
    .uniform_work_group_size: 1
    .uses_dynamic_stack: false
    .vgpr_count:     26
    .vgpr_spill_count: 0
    .wavefront_size: 32
    .workgroup_processor_mode: 1
  - .args:
      - .offset:         0
        .size:           216
        .value_kind:     by_value
      - .offset:         216
        .size:           216
        .value_kind:     by_value
      - .offset:         432
        .size:           8
        .value_kind:     by_value
      - .offset:         440
        .size:           8
        .value_kind:     by_value
      - .offset:         448
        .size:           4
        .value_kind:     by_value
      - .offset:         456
        .size:           4
        .value_kind:     hidden_block_count_x
      - .offset:         460
        .size:           4
        .value_kind:     hidden_block_count_y
      - .offset:         464
        .size:           4
        .value_kind:     hidden_block_count_z
      - .offset:         468
        .size:           2
        .value_kind:     hidden_group_size_x
      - .offset:         470
        .size:           2
        .value_kind:     hidden_group_size_y
      - .offset:         472
        .size:           2
        .value_kind:     hidden_group_size_z
      - .offset:         474
        .size:           2
        .value_kind:     hidden_remainder_x
      - .offset:         476
        .size:           2
        .value_kind:     hidden_remainder_y
      - .offset:         478
        .size:           2
        .value_kind:     hidden_remainder_z
      - .offset:         496
        .size:           8
        .value_kind:     hidden_global_offset_x
      - .offset:         504
        .size:           8
        .value_kind:     hidden_global_offset_y
      - .offset:         512
        .size:           8
        .value_kind:     hidden_global_offset_z
      - .offset:         520
        .size:           2
        .value_kind:     hidden_grid_dims
    .group_segment_fixed_size: 0
    .kernarg_segment_align: 8
    .kernarg_segment_size: 712
    .language:       OpenCL C
    .language_version:
      - 2
      - 0
    .max_flat_workgroup_size: 128
    .name:           _ZN2at6native16triu_tril_kernelIdiLb0ELi2ELb1EEEvNS_4cuda6detail10TensorInfoIT_T0_EENS4_IKS5_S6_EEllS6_
    .private_segment_fixed_size: 0
    .sgpr_count:     58
    .sgpr_spill_count: 0
    .symbol:         _ZN2at6native16triu_tril_kernelIdiLb0ELi2ELb1EEEvNS_4cuda6detail10TensorInfoIT_T0_EENS4_IKS5_S6_EEllS6_.kd
    .uniform_work_group_size: 1
    .uses_dynamic_stack: false
    .vgpr_count:     32
    .vgpr_spill_count: 0
    .wavefront_size: 32
    .workgroup_processor_mode: 1
  - .args:
      - .offset:         0
        .size:           216
        .value_kind:     by_value
      - .offset:         216
        .size:           216
        .value_kind:     by_value
      - .offset:         432
        .size:           8
        .value_kind:     by_value
      - .offset:         440
        .size:           8
        .value_kind:     by_value
      - .offset:         448
        .size:           4
        .value_kind:     by_value
      - .offset:         456
        .size:           4
        .value_kind:     hidden_block_count_x
      - .offset:         460
        .size:           4
        .value_kind:     hidden_block_count_y
      - .offset:         464
        .size:           4
        .value_kind:     hidden_block_count_z
      - .offset:         468
        .size:           2
        .value_kind:     hidden_group_size_x
      - .offset:         470
        .size:           2
        .value_kind:     hidden_group_size_y
      - .offset:         472
        .size:           2
        .value_kind:     hidden_group_size_z
      - .offset:         474
        .size:           2
        .value_kind:     hidden_remainder_x
      - .offset:         476
        .size:           2
        .value_kind:     hidden_remainder_y
      - .offset:         478
        .size:           2
        .value_kind:     hidden_remainder_z
      - .offset:         496
        .size:           8
        .value_kind:     hidden_global_offset_x
      - .offset:         504
        .size:           8
        .value_kind:     hidden_global_offset_y
      - .offset:         512
        .size:           8
        .value_kind:     hidden_global_offset_z
      - .offset:         520
        .size:           2
        .value_kind:     hidden_grid_dims
    .group_segment_fixed_size: 0
    .kernarg_segment_align: 8
    .kernarg_segment_size: 712
    .language:       OpenCL C
    .language_version:
      - 2
      - 0
    .max_flat_workgroup_size: 128
    .name:           _ZN2at6native16triu_tril_kernelIdiLb0ELi2ELb0EEEvNS_4cuda6detail10TensorInfoIT_T0_EENS4_IKS5_S6_EEllS6_
    .private_segment_fixed_size: 0
    .sgpr_count:     56
    .sgpr_spill_count: 0
    .symbol:         _ZN2at6native16triu_tril_kernelIdiLb0ELi2ELb0EEEvNS_4cuda6detail10TensorInfoIT_T0_EENS4_IKS5_S6_EEllS6_.kd
    .uniform_work_group_size: 1
    .uses_dynamic_stack: false
    .vgpr_count:     25
    .vgpr_spill_count: 0
    .wavefront_size: 32
    .workgroup_processor_mode: 1
  - .args:
      - .offset:         0
        .size:           416
        .value_kind:     by_value
      - .offset:         416
        .size:           416
        .value_kind:     by_value
      - .offset:         832
        .size:           8
        .value_kind:     by_value
      - .offset:         840
        .size:           8
        .value_kind:     by_value
      - .offset:         848
        .size:           8
        .value_kind:     by_value
      - .offset:         856
        .size:           4
        .value_kind:     hidden_block_count_x
      - .offset:         860
        .size:           4
        .value_kind:     hidden_block_count_y
      - .offset:         864
        .size:           4
        .value_kind:     hidden_block_count_z
      - .offset:         868
        .size:           2
        .value_kind:     hidden_group_size_x
      - .offset:         870
        .size:           2
        .value_kind:     hidden_group_size_y
      - .offset:         872
        .size:           2
        .value_kind:     hidden_group_size_z
      - .offset:         874
        .size:           2
        .value_kind:     hidden_remainder_x
      - .offset:         876
        .size:           2
        .value_kind:     hidden_remainder_y
      - .offset:         878
        .size:           2
        .value_kind:     hidden_remainder_z
      - .offset:         896
        .size:           8
        .value_kind:     hidden_global_offset_x
      - .offset:         904
        .size:           8
        .value_kind:     hidden_global_offset_y
      - .offset:         912
        .size:           8
        .value_kind:     hidden_global_offset_z
      - .offset:         920
        .size:           2
        .value_kind:     hidden_grid_dims
    .group_segment_fixed_size: 0
    .kernarg_segment_align: 8
    .kernarg_segment_size: 1112
    .language:       OpenCL C
    .language_version:
      - 2
      - 0
    .max_flat_workgroup_size: 128
    .name:           _ZN2at6native16triu_tril_kernelIdlLb0ELi2ELb1EEEvNS_4cuda6detail10TensorInfoIT_T0_EENS4_IKS5_S6_EEllS6_
    .private_segment_fixed_size: 0
    .sgpr_count:     47
    .sgpr_spill_count: 0
    .symbol:         _ZN2at6native16triu_tril_kernelIdlLb0ELi2ELb1EEEvNS_4cuda6detail10TensorInfoIT_T0_EENS4_IKS5_S6_EEllS6_.kd
    .uniform_work_group_size: 1
    .uses_dynamic_stack: false
    .vgpr_count:     26
    .vgpr_spill_count: 0
    .wavefront_size: 32
    .workgroup_processor_mode: 1
  - .args:
      - .offset:         0
        .size:           416
        .value_kind:     by_value
      - .offset:         416
        .size:           416
        .value_kind:     by_value
      - .offset:         832
        .size:           8
        .value_kind:     by_value
      - .offset:         840
        .size:           8
        .value_kind:     by_value
      - .offset:         848
        .size:           8
        .value_kind:     by_value
      - .offset:         856
        .size:           4
        .value_kind:     hidden_block_count_x
      - .offset:         860
        .size:           4
        .value_kind:     hidden_block_count_y
      - .offset:         864
        .size:           4
        .value_kind:     hidden_block_count_z
      - .offset:         868
        .size:           2
        .value_kind:     hidden_group_size_x
      - .offset:         870
        .size:           2
        .value_kind:     hidden_group_size_y
      - .offset:         872
        .size:           2
        .value_kind:     hidden_group_size_z
      - .offset:         874
        .size:           2
        .value_kind:     hidden_remainder_x
      - .offset:         876
        .size:           2
        .value_kind:     hidden_remainder_y
      - .offset:         878
        .size:           2
        .value_kind:     hidden_remainder_z
      - .offset:         896
        .size:           8
        .value_kind:     hidden_global_offset_x
      - .offset:         904
        .size:           8
        .value_kind:     hidden_global_offset_y
      - .offset:         912
        .size:           8
        .value_kind:     hidden_global_offset_z
      - .offset:         920
        .size:           2
        .value_kind:     hidden_grid_dims
    .group_segment_fixed_size: 0
    .kernarg_segment_align: 8
    .kernarg_segment_size: 1112
    .language:       OpenCL C
    .language_version:
      - 2
      - 0
    .max_flat_workgroup_size: 128
    .name:           _ZN2at6native16triu_tril_kernelIdlLb0ELi2ELb0EEEvNS_4cuda6detail10TensorInfoIT_T0_EENS4_IKS5_S6_EEllS6_
    .private_segment_fixed_size: 0
    .sgpr_count:     49
    .sgpr_spill_count: 0
    .symbol:         _ZN2at6native16triu_tril_kernelIdlLb0ELi2ELb0EEEvNS_4cuda6detail10TensorInfoIT_T0_EENS4_IKS5_S6_EEllS6_.kd
    .uniform_work_group_size: 1
    .uses_dynamic_stack: false
    .vgpr_count:     26
    .vgpr_spill_count: 0
    .wavefront_size: 32
    .workgroup_processor_mode: 1
  - .args:
      - .offset:         0
        .size:           216
        .value_kind:     by_value
      - .offset:         216
        .size:           216
        .value_kind:     by_value
      - .offset:         432
        .size:           8
        .value_kind:     by_value
      - .offset:         440
        .size:           8
        .value_kind:     by_value
      - .offset:         448
        .size:           4
        .value_kind:     by_value
      - .offset:         456
        .size:           4
        .value_kind:     hidden_block_count_x
      - .offset:         460
        .size:           4
        .value_kind:     hidden_block_count_y
      - .offset:         464
        .size:           4
        .value_kind:     hidden_block_count_z
      - .offset:         468
        .size:           2
        .value_kind:     hidden_group_size_x
      - .offset:         470
        .size:           2
        .value_kind:     hidden_group_size_y
      - .offset:         472
        .size:           2
        .value_kind:     hidden_group_size_z
      - .offset:         474
        .size:           2
        .value_kind:     hidden_remainder_x
      - .offset:         476
        .size:           2
        .value_kind:     hidden_remainder_y
      - .offset:         478
        .size:           2
        .value_kind:     hidden_remainder_z
      - .offset:         496
        .size:           8
        .value_kind:     hidden_global_offset_x
      - .offset:         504
        .size:           8
        .value_kind:     hidden_global_offset_y
      - .offset:         512
        .size:           8
        .value_kind:     hidden_global_offset_z
      - .offset:         520
        .size:           2
        .value_kind:     hidden_grid_dims
    .group_segment_fixed_size: 0
    .kernarg_segment_align: 8
    .kernarg_segment_size: 712
    .language:       OpenCL C
    .language_version:
      - 2
      - 0
    .max_flat_workgroup_size: 128
    .name:           _ZN2at6native16triu_tril_kernelIfiLb0ELi2ELb1EEEvNS_4cuda6detail10TensorInfoIT_T0_EENS4_IKS5_S6_EEllS6_
    .private_segment_fixed_size: 0
    .sgpr_count:     58
    .sgpr_spill_count: 0
    .symbol:         _ZN2at6native16triu_tril_kernelIfiLb0ELi2ELb1EEEvNS_4cuda6detail10TensorInfoIT_T0_EENS4_IKS5_S6_EEllS6_.kd
    .uniform_work_group_size: 1
    .uses_dynamic_stack: false
    .vgpr_count:     32
    .vgpr_spill_count: 0
    .wavefront_size: 32
    .workgroup_processor_mode: 1
  - .args:
      - .offset:         0
        .size:           216
        .value_kind:     by_value
      - .offset:         216
        .size:           216
        .value_kind:     by_value
      - .offset:         432
        .size:           8
        .value_kind:     by_value
      - .offset:         440
        .size:           8
        .value_kind:     by_value
      - .offset:         448
        .size:           4
        .value_kind:     by_value
      - .offset:         456
        .size:           4
        .value_kind:     hidden_block_count_x
      - .offset:         460
        .size:           4
        .value_kind:     hidden_block_count_y
      - .offset:         464
        .size:           4
        .value_kind:     hidden_block_count_z
      - .offset:         468
        .size:           2
        .value_kind:     hidden_group_size_x
      - .offset:         470
        .size:           2
        .value_kind:     hidden_group_size_y
      - .offset:         472
        .size:           2
        .value_kind:     hidden_group_size_z
      - .offset:         474
        .size:           2
        .value_kind:     hidden_remainder_x
      - .offset:         476
        .size:           2
        .value_kind:     hidden_remainder_y
      - .offset:         478
        .size:           2
        .value_kind:     hidden_remainder_z
      - .offset:         496
        .size:           8
        .value_kind:     hidden_global_offset_x
      - .offset:         504
        .size:           8
        .value_kind:     hidden_global_offset_y
      - .offset:         512
        .size:           8
        .value_kind:     hidden_global_offset_z
      - .offset:         520
        .size:           2
        .value_kind:     hidden_grid_dims
    .group_segment_fixed_size: 0
    .kernarg_segment_align: 8
    .kernarg_segment_size: 712
    .language:       OpenCL C
    .language_version:
      - 2
      - 0
    .max_flat_workgroup_size: 128
    .name:           _ZN2at6native16triu_tril_kernelIfiLb0ELi2ELb0EEEvNS_4cuda6detail10TensorInfoIT_T0_EENS4_IKS5_S6_EEllS6_
    .private_segment_fixed_size: 0
    .sgpr_count:     56
    .sgpr_spill_count: 0
    .symbol:         _ZN2at6native16triu_tril_kernelIfiLb0ELi2ELb0EEEvNS_4cuda6detail10TensorInfoIT_T0_EENS4_IKS5_S6_EEllS6_.kd
    .uniform_work_group_size: 1
    .uses_dynamic_stack: false
    .vgpr_count:     25
    .vgpr_spill_count: 0
    .wavefront_size: 32
    .workgroup_processor_mode: 1
  - .args:
      - .offset:         0
        .size:           416
        .value_kind:     by_value
      - .offset:         416
        .size:           416
        .value_kind:     by_value
      - .offset:         832
        .size:           8
        .value_kind:     by_value
      - .offset:         840
        .size:           8
        .value_kind:     by_value
      - .offset:         848
        .size:           8
        .value_kind:     by_value
      - .offset:         856
        .size:           4
        .value_kind:     hidden_block_count_x
      - .offset:         860
        .size:           4
        .value_kind:     hidden_block_count_y
      - .offset:         864
        .size:           4
        .value_kind:     hidden_block_count_z
      - .offset:         868
        .size:           2
        .value_kind:     hidden_group_size_x
      - .offset:         870
        .size:           2
        .value_kind:     hidden_group_size_y
      - .offset:         872
        .size:           2
        .value_kind:     hidden_group_size_z
      - .offset:         874
        .size:           2
        .value_kind:     hidden_remainder_x
      - .offset:         876
        .size:           2
        .value_kind:     hidden_remainder_y
      - .offset:         878
        .size:           2
        .value_kind:     hidden_remainder_z
      - .offset:         896
        .size:           8
        .value_kind:     hidden_global_offset_x
      - .offset:         904
        .size:           8
        .value_kind:     hidden_global_offset_y
      - .offset:         912
        .size:           8
        .value_kind:     hidden_global_offset_z
      - .offset:         920
        .size:           2
        .value_kind:     hidden_grid_dims
    .group_segment_fixed_size: 0
    .kernarg_segment_align: 8
    .kernarg_segment_size: 1112
    .language:       OpenCL C
    .language_version:
      - 2
      - 0
    .max_flat_workgroup_size: 128
    .name:           _ZN2at6native16triu_tril_kernelIflLb0ELi2ELb1EEEvNS_4cuda6detail10TensorInfoIT_T0_EENS4_IKS5_S6_EEllS6_
    .private_segment_fixed_size: 0
    .sgpr_count:     47
    .sgpr_spill_count: 0
    .symbol:         _ZN2at6native16triu_tril_kernelIflLb0ELi2ELb1EEEvNS_4cuda6detail10TensorInfoIT_T0_EENS4_IKS5_S6_EEllS6_.kd
    .uniform_work_group_size: 1
    .uses_dynamic_stack: false
    .vgpr_count:     26
    .vgpr_spill_count: 0
    .wavefront_size: 32
    .workgroup_processor_mode: 1
  - .args:
      - .offset:         0
        .size:           416
        .value_kind:     by_value
      - .offset:         416
        .size:           416
        .value_kind:     by_value
      - .offset:         832
        .size:           8
        .value_kind:     by_value
      - .offset:         840
        .size:           8
        .value_kind:     by_value
      - .offset:         848
        .size:           8
        .value_kind:     by_value
      - .offset:         856
        .size:           4
        .value_kind:     hidden_block_count_x
      - .offset:         860
        .size:           4
        .value_kind:     hidden_block_count_y
      - .offset:         864
        .size:           4
        .value_kind:     hidden_block_count_z
      - .offset:         868
        .size:           2
        .value_kind:     hidden_group_size_x
      - .offset:         870
        .size:           2
        .value_kind:     hidden_group_size_y
      - .offset:         872
        .size:           2
        .value_kind:     hidden_group_size_z
      - .offset:         874
        .size:           2
        .value_kind:     hidden_remainder_x
      - .offset:         876
        .size:           2
        .value_kind:     hidden_remainder_y
      - .offset:         878
        .size:           2
        .value_kind:     hidden_remainder_z
      - .offset:         896
        .size:           8
        .value_kind:     hidden_global_offset_x
      - .offset:         904
        .size:           8
        .value_kind:     hidden_global_offset_y
      - .offset:         912
        .size:           8
        .value_kind:     hidden_global_offset_z
      - .offset:         920
        .size:           2
        .value_kind:     hidden_grid_dims
    .group_segment_fixed_size: 0
    .kernarg_segment_align: 8
    .kernarg_segment_size: 1112
    .language:       OpenCL C
    .language_version:
      - 2
      - 0
    .max_flat_workgroup_size: 128
    .name:           _ZN2at6native16triu_tril_kernelIflLb0ELi2ELb0EEEvNS_4cuda6detail10TensorInfoIT_T0_EENS4_IKS5_S6_EEllS6_
    .private_segment_fixed_size: 0
    .sgpr_count:     49
    .sgpr_spill_count: 0
    .symbol:         _ZN2at6native16triu_tril_kernelIflLb0ELi2ELb0EEEvNS_4cuda6detail10TensorInfoIT_T0_EENS4_IKS5_S6_EEllS6_.kd
    .uniform_work_group_size: 1
    .uses_dynamic_stack: false
    .vgpr_count:     26
    .vgpr_spill_count: 0
    .wavefront_size: 32
    .workgroup_processor_mode: 1
  - .args:
      - .offset:         0
        .size:           216
        .value_kind:     by_value
      - .offset:         216
        .size:           216
        .value_kind:     by_value
      - .offset:         432
        .size:           8
        .value_kind:     by_value
      - .offset:         440
        .size:           8
        .value_kind:     by_value
      - .offset:         448
        .size:           4
        .value_kind:     by_value
      - .offset:         456
        .size:           4
        .value_kind:     hidden_block_count_x
      - .offset:         460
        .size:           4
        .value_kind:     hidden_block_count_y
      - .offset:         464
        .size:           4
        .value_kind:     hidden_block_count_z
      - .offset:         468
        .size:           2
        .value_kind:     hidden_group_size_x
      - .offset:         470
        .size:           2
        .value_kind:     hidden_group_size_y
      - .offset:         472
        .size:           2
        .value_kind:     hidden_group_size_z
      - .offset:         474
        .size:           2
        .value_kind:     hidden_remainder_x
      - .offset:         476
        .size:           2
        .value_kind:     hidden_remainder_y
      - .offset:         478
        .size:           2
        .value_kind:     hidden_remainder_z
      - .offset:         496
        .size:           8
        .value_kind:     hidden_global_offset_x
      - .offset:         504
        .size:           8
        .value_kind:     hidden_global_offset_y
      - .offset:         512
        .size:           8
        .value_kind:     hidden_global_offset_z
      - .offset:         520
        .size:           2
        .value_kind:     hidden_grid_dims
    .group_segment_fixed_size: 0
    .kernarg_segment_align: 8
    .kernarg_segment_size: 712
    .language:       OpenCL C
    .language_version:
      - 2
      - 0
    .max_flat_workgroup_size: 128
    .name:           _ZN2at6native16triu_tril_kernelIN3c107complexIdEEiLb0ELi1ELb1EEEvNS_4cuda6detail10TensorInfoIT_T0_EENS7_IKS8_S9_EEllS9_
    .private_segment_fixed_size: 0
    .sgpr_count:     57
    .sgpr_spill_count: 0
    .symbol:         _ZN2at6native16triu_tril_kernelIN3c107complexIdEEiLb0ELi1ELb1EEEvNS_4cuda6detail10TensorInfoIT_T0_EENS7_IKS8_S9_EEllS9_.kd
    .uniform_work_group_size: 1
    .uses_dynamic_stack: false
    .vgpr_count:     31
    .vgpr_spill_count: 0
    .wavefront_size: 32
    .workgroup_processor_mode: 1
  - .args:
      - .offset:         0
        .size:           216
        .value_kind:     by_value
      - .offset:         216
        .size:           216
        .value_kind:     by_value
      - .offset:         432
        .size:           8
        .value_kind:     by_value
      - .offset:         440
        .size:           8
        .value_kind:     by_value
      - .offset:         448
        .size:           4
        .value_kind:     by_value
      - .offset:         456
        .size:           4
        .value_kind:     hidden_block_count_x
      - .offset:         460
        .size:           4
        .value_kind:     hidden_block_count_y
      - .offset:         464
        .size:           4
        .value_kind:     hidden_block_count_z
      - .offset:         468
        .size:           2
        .value_kind:     hidden_group_size_x
      - .offset:         470
        .size:           2
        .value_kind:     hidden_group_size_y
      - .offset:         472
        .size:           2
        .value_kind:     hidden_group_size_z
      - .offset:         474
        .size:           2
        .value_kind:     hidden_remainder_x
      - .offset:         476
        .size:           2
        .value_kind:     hidden_remainder_y
      - .offset:         478
        .size:           2
        .value_kind:     hidden_remainder_z
      - .offset:         496
        .size:           8
        .value_kind:     hidden_global_offset_x
      - .offset:         504
        .size:           8
        .value_kind:     hidden_global_offset_y
      - .offset:         512
        .size:           8
        .value_kind:     hidden_global_offset_z
      - .offset:         520
        .size:           2
        .value_kind:     hidden_grid_dims
    .group_segment_fixed_size: 0
    .kernarg_segment_align: 8
    .kernarg_segment_size: 712
    .language:       OpenCL C
    .language_version:
      - 2
      - 0
    .max_flat_workgroup_size: 128
    .name:           _ZN2at6native16triu_tril_kernelIN3c107complexIdEEiLb0ELi1ELb0EEEvNS_4cuda6detail10TensorInfoIT_T0_EENS7_IKS8_S9_EEllS9_
    .private_segment_fixed_size: 0
    .sgpr_count:     54
    .sgpr_spill_count: 0
    .symbol:         _ZN2at6native16triu_tril_kernelIN3c107complexIdEEiLb0ELi1ELb0EEEvNS_4cuda6detail10TensorInfoIT_T0_EENS7_IKS8_S9_EEllS9_.kd
    .uniform_work_group_size: 1
    .uses_dynamic_stack: false
    .vgpr_count:     25
    .vgpr_spill_count: 0
    .wavefront_size: 32
    .workgroup_processor_mode: 1
  - .args:
      - .offset:         0
        .size:           416
        .value_kind:     by_value
      - .offset:         416
        .size:           416
        .value_kind:     by_value
      - .offset:         832
        .size:           8
        .value_kind:     by_value
      - .offset:         840
        .size:           8
        .value_kind:     by_value
      - .offset:         848
        .size:           8
        .value_kind:     by_value
      - .offset:         856
        .size:           4
        .value_kind:     hidden_block_count_x
      - .offset:         860
        .size:           4
        .value_kind:     hidden_block_count_y
      - .offset:         864
        .size:           4
        .value_kind:     hidden_block_count_z
      - .offset:         868
        .size:           2
        .value_kind:     hidden_group_size_x
      - .offset:         870
        .size:           2
        .value_kind:     hidden_group_size_y
      - .offset:         872
        .size:           2
        .value_kind:     hidden_group_size_z
      - .offset:         874
        .size:           2
        .value_kind:     hidden_remainder_x
      - .offset:         876
        .size:           2
        .value_kind:     hidden_remainder_y
      - .offset:         878
        .size:           2
        .value_kind:     hidden_remainder_z
      - .offset:         896
        .size:           8
        .value_kind:     hidden_global_offset_x
      - .offset:         904
        .size:           8
        .value_kind:     hidden_global_offset_y
      - .offset:         912
        .size:           8
        .value_kind:     hidden_global_offset_z
      - .offset:         920
        .size:           2
        .value_kind:     hidden_grid_dims
    .group_segment_fixed_size: 0
    .kernarg_segment_align: 8
    .kernarg_segment_size: 1112
    .language:       OpenCL C
    .language_version:
      - 2
      - 0
    .max_flat_workgroup_size: 128
    .name:           _ZN2at6native16triu_tril_kernelIN3c107complexIdEElLb0ELi1ELb1EEEvNS_4cuda6detail10TensorInfoIT_T0_EENS7_IKS8_S9_EEllS9_
    .private_segment_fixed_size: 0
    .sgpr_count:     45
    .sgpr_spill_count: 0
    .symbol:         _ZN2at6native16triu_tril_kernelIN3c107complexIdEElLb0ELi1ELb1EEEvNS_4cuda6detail10TensorInfoIT_T0_EENS7_IKS8_S9_EEllS9_.kd
    .uniform_work_group_size: 1
    .uses_dynamic_stack: false
    .vgpr_count:     24
    .vgpr_spill_count: 0
    .wavefront_size: 32
    .workgroup_processor_mode: 1
  - .args:
      - .offset:         0
        .size:           416
        .value_kind:     by_value
      - .offset:         416
        .size:           416
        .value_kind:     by_value
      - .offset:         832
        .size:           8
        .value_kind:     by_value
      - .offset:         840
        .size:           8
        .value_kind:     by_value
      - .offset:         848
        .size:           8
        .value_kind:     by_value
      - .offset:         856
        .size:           4
        .value_kind:     hidden_block_count_x
      - .offset:         860
        .size:           4
        .value_kind:     hidden_block_count_y
      - .offset:         864
        .size:           4
        .value_kind:     hidden_block_count_z
      - .offset:         868
        .size:           2
        .value_kind:     hidden_group_size_x
      - .offset:         870
        .size:           2
        .value_kind:     hidden_group_size_y
      - .offset:         872
        .size:           2
        .value_kind:     hidden_group_size_z
      - .offset:         874
        .size:           2
        .value_kind:     hidden_remainder_x
      - .offset:         876
        .size:           2
        .value_kind:     hidden_remainder_y
      - .offset:         878
        .size:           2
        .value_kind:     hidden_remainder_z
      - .offset:         896
        .size:           8
        .value_kind:     hidden_global_offset_x
      - .offset:         904
        .size:           8
        .value_kind:     hidden_global_offset_y
      - .offset:         912
        .size:           8
        .value_kind:     hidden_global_offset_z
      - .offset:         920
        .size:           2
        .value_kind:     hidden_grid_dims
    .group_segment_fixed_size: 0
    .kernarg_segment_align: 8
    .kernarg_segment_size: 1112
    .language:       OpenCL C
    .language_version:
      - 2
      - 0
    .max_flat_workgroup_size: 128
    .name:           _ZN2at6native16triu_tril_kernelIN3c107complexIdEElLb0ELi1ELb0EEEvNS_4cuda6detail10TensorInfoIT_T0_EENS7_IKS8_S9_EEllS9_
    .private_segment_fixed_size: 0
    .sgpr_count:     49
    .sgpr_spill_count: 0
    .symbol:         _ZN2at6native16triu_tril_kernelIN3c107complexIdEElLb0ELi1ELb0EEEvNS_4cuda6detail10TensorInfoIT_T0_EENS7_IKS8_S9_EEllS9_.kd
    .uniform_work_group_size: 1
    .uses_dynamic_stack: false
    .vgpr_count:     26
    .vgpr_spill_count: 0
    .wavefront_size: 32
    .workgroup_processor_mode: 1
  - .args:
      - .offset:         0
        .size:           216
        .value_kind:     by_value
      - .offset:         216
        .size:           216
        .value_kind:     by_value
      - .offset:         432
        .size:           8
        .value_kind:     by_value
      - .offset:         440
        .size:           8
        .value_kind:     by_value
      - .offset:         448
        .size:           4
        .value_kind:     by_value
      - .offset:         456
        .size:           4
        .value_kind:     hidden_block_count_x
      - .offset:         460
        .size:           4
        .value_kind:     hidden_block_count_y
      - .offset:         464
        .size:           4
        .value_kind:     hidden_block_count_z
      - .offset:         468
        .size:           2
        .value_kind:     hidden_group_size_x
      - .offset:         470
        .size:           2
        .value_kind:     hidden_group_size_y
      - .offset:         472
        .size:           2
        .value_kind:     hidden_group_size_z
      - .offset:         474
        .size:           2
        .value_kind:     hidden_remainder_x
      - .offset:         476
        .size:           2
        .value_kind:     hidden_remainder_y
      - .offset:         478
        .size:           2
        .value_kind:     hidden_remainder_z
      - .offset:         496
        .size:           8
        .value_kind:     hidden_global_offset_x
      - .offset:         504
        .size:           8
        .value_kind:     hidden_global_offset_y
      - .offset:         512
        .size:           8
        .value_kind:     hidden_global_offset_z
      - .offset:         520
        .size:           2
        .value_kind:     hidden_grid_dims
    .group_segment_fixed_size: 0
    .kernarg_segment_align: 8
    .kernarg_segment_size: 712
    .language:       OpenCL C
    .language_version:
      - 2
      - 0
    .max_flat_workgroup_size: 128
    .name:           _ZN2at6native16triu_tril_kernelIN3c107complexIfEEiLb0ELi2ELb1EEEvNS_4cuda6detail10TensorInfoIT_T0_EENS7_IKS8_S9_EEllS9_
    .private_segment_fixed_size: 0
    .sgpr_count:     58
    .sgpr_spill_count: 0
    .symbol:         _ZN2at6native16triu_tril_kernelIN3c107complexIfEEiLb0ELi2ELb1EEEvNS_4cuda6detail10TensorInfoIT_T0_EENS7_IKS8_S9_EEllS9_.kd
    .uniform_work_group_size: 1
    .uses_dynamic_stack: false
    .vgpr_count:     32
    .vgpr_spill_count: 0
    .wavefront_size: 32
    .workgroup_processor_mode: 1
  - .args:
      - .offset:         0
        .size:           216
        .value_kind:     by_value
      - .offset:         216
        .size:           216
        .value_kind:     by_value
      - .offset:         432
        .size:           8
        .value_kind:     by_value
      - .offset:         440
        .size:           8
        .value_kind:     by_value
      - .offset:         448
        .size:           4
        .value_kind:     by_value
      - .offset:         456
        .size:           4
        .value_kind:     hidden_block_count_x
      - .offset:         460
        .size:           4
        .value_kind:     hidden_block_count_y
      - .offset:         464
        .size:           4
        .value_kind:     hidden_block_count_z
      - .offset:         468
        .size:           2
        .value_kind:     hidden_group_size_x
      - .offset:         470
        .size:           2
        .value_kind:     hidden_group_size_y
      - .offset:         472
        .size:           2
        .value_kind:     hidden_group_size_z
      - .offset:         474
        .size:           2
        .value_kind:     hidden_remainder_x
      - .offset:         476
        .size:           2
        .value_kind:     hidden_remainder_y
      - .offset:         478
        .size:           2
        .value_kind:     hidden_remainder_z
      - .offset:         496
        .size:           8
        .value_kind:     hidden_global_offset_x
      - .offset:         504
        .size:           8
        .value_kind:     hidden_global_offset_y
      - .offset:         512
        .size:           8
        .value_kind:     hidden_global_offset_z
      - .offset:         520
        .size:           2
        .value_kind:     hidden_grid_dims
    .group_segment_fixed_size: 0
    .kernarg_segment_align: 8
    .kernarg_segment_size: 712
    .language:       OpenCL C
    .language_version:
      - 2
      - 0
    .max_flat_workgroup_size: 128
    .name:           _ZN2at6native16triu_tril_kernelIN3c107complexIfEEiLb0ELi2ELb0EEEvNS_4cuda6detail10TensorInfoIT_T0_EENS7_IKS8_S9_EEllS9_
    .private_segment_fixed_size: 0
    .sgpr_count:     56
    .sgpr_spill_count: 0
    .symbol:         _ZN2at6native16triu_tril_kernelIN3c107complexIfEEiLb0ELi2ELb0EEEvNS_4cuda6detail10TensorInfoIT_T0_EENS7_IKS8_S9_EEllS9_.kd
    .uniform_work_group_size: 1
    .uses_dynamic_stack: false
    .vgpr_count:     25
    .vgpr_spill_count: 0
    .wavefront_size: 32
    .workgroup_processor_mode: 1
  - .args:
      - .offset:         0
        .size:           416
        .value_kind:     by_value
      - .offset:         416
        .size:           416
        .value_kind:     by_value
      - .offset:         832
        .size:           8
        .value_kind:     by_value
      - .offset:         840
        .size:           8
        .value_kind:     by_value
      - .offset:         848
        .size:           8
        .value_kind:     by_value
      - .offset:         856
        .size:           4
        .value_kind:     hidden_block_count_x
      - .offset:         860
        .size:           4
        .value_kind:     hidden_block_count_y
      - .offset:         864
        .size:           4
        .value_kind:     hidden_block_count_z
      - .offset:         868
        .size:           2
        .value_kind:     hidden_group_size_x
      - .offset:         870
        .size:           2
        .value_kind:     hidden_group_size_y
      - .offset:         872
        .size:           2
        .value_kind:     hidden_group_size_z
      - .offset:         874
        .size:           2
        .value_kind:     hidden_remainder_x
      - .offset:         876
        .size:           2
        .value_kind:     hidden_remainder_y
      - .offset:         878
        .size:           2
        .value_kind:     hidden_remainder_z
      - .offset:         896
        .size:           8
        .value_kind:     hidden_global_offset_x
      - .offset:         904
        .size:           8
        .value_kind:     hidden_global_offset_y
      - .offset:         912
        .size:           8
        .value_kind:     hidden_global_offset_z
      - .offset:         920
        .size:           2
        .value_kind:     hidden_grid_dims
    .group_segment_fixed_size: 0
    .kernarg_segment_align: 8
    .kernarg_segment_size: 1112
    .language:       OpenCL C
    .language_version:
      - 2
      - 0
    .max_flat_workgroup_size: 128
    .name:           _ZN2at6native16triu_tril_kernelIN3c107complexIfEElLb0ELi2ELb1EEEvNS_4cuda6detail10TensorInfoIT_T0_EENS7_IKS8_S9_EEllS9_
    .private_segment_fixed_size: 0
    .sgpr_count:     47
    .sgpr_spill_count: 0
    .symbol:         _ZN2at6native16triu_tril_kernelIN3c107complexIfEElLb0ELi2ELb1EEEvNS_4cuda6detail10TensorInfoIT_T0_EENS7_IKS8_S9_EEllS9_.kd
    .uniform_work_group_size: 1
    .uses_dynamic_stack: false
    .vgpr_count:     26
    .vgpr_spill_count: 0
    .wavefront_size: 32
    .workgroup_processor_mode: 1
  - .args:
      - .offset:         0
        .size:           416
        .value_kind:     by_value
      - .offset:         416
        .size:           416
        .value_kind:     by_value
      - .offset:         832
        .size:           8
        .value_kind:     by_value
      - .offset:         840
        .size:           8
        .value_kind:     by_value
      - .offset:         848
        .size:           8
        .value_kind:     by_value
      - .offset:         856
        .size:           4
        .value_kind:     hidden_block_count_x
      - .offset:         860
        .size:           4
        .value_kind:     hidden_block_count_y
      - .offset:         864
        .size:           4
        .value_kind:     hidden_block_count_z
      - .offset:         868
        .size:           2
        .value_kind:     hidden_group_size_x
      - .offset:         870
        .size:           2
        .value_kind:     hidden_group_size_y
      - .offset:         872
        .size:           2
        .value_kind:     hidden_group_size_z
      - .offset:         874
        .size:           2
        .value_kind:     hidden_remainder_x
      - .offset:         876
        .size:           2
        .value_kind:     hidden_remainder_y
      - .offset:         878
        .size:           2
        .value_kind:     hidden_remainder_z
      - .offset:         896
        .size:           8
        .value_kind:     hidden_global_offset_x
      - .offset:         904
        .size:           8
        .value_kind:     hidden_global_offset_y
      - .offset:         912
        .size:           8
        .value_kind:     hidden_global_offset_z
      - .offset:         920
        .size:           2
        .value_kind:     hidden_grid_dims
    .group_segment_fixed_size: 0
    .kernarg_segment_align: 8
    .kernarg_segment_size: 1112
    .language:       OpenCL C
    .language_version:
      - 2
      - 0
    .max_flat_workgroup_size: 128
    .name:           _ZN2at6native16triu_tril_kernelIN3c107complexIfEElLb0ELi2ELb0EEEvNS_4cuda6detail10TensorInfoIT_T0_EENS7_IKS8_S9_EEllS9_
    .private_segment_fixed_size: 0
    .sgpr_count:     49
    .sgpr_spill_count: 0
    .symbol:         _ZN2at6native16triu_tril_kernelIN3c107complexIfEElLb0ELi2ELb0EEEvNS_4cuda6detail10TensorInfoIT_T0_EENS7_IKS8_S9_EEllS9_.kd
    .uniform_work_group_size: 1
    .uses_dynamic_stack: false
    .vgpr_count:     26
    .vgpr_spill_count: 0
    .wavefront_size: 32
    .workgroup_processor_mode: 1
  - .args:
      - .offset:         0
        .size:           216
        .value_kind:     by_value
      - .offset:         216
        .size:           216
        .value_kind:     by_value
      - .offset:         432
        .size:           8
        .value_kind:     by_value
      - .offset:         440
        .size:           8
        .value_kind:     by_value
      - .offset:         448
        .size:           4
        .value_kind:     by_value
      - .offset:         456
        .size:           4
        .value_kind:     hidden_block_count_x
      - .offset:         460
        .size:           4
        .value_kind:     hidden_block_count_y
      - .offset:         464
        .size:           4
        .value_kind:     hidden_block_count_z
      - .offset:         468
        .size:           2
        .value_kind:     hidden_group_size_x
      - .offset:         470
        .size:           2
        .value_kind:     hidden_group_size_y
      - .offset:         472
        .size:           2
        .value_kind:     hidden_group_size_z
      - .offset:         474
        .size:           2
        .value_kind:     hidden_remainder_x
      - .offset:         476
        .size:           2
        .value_kind:     hidden_remainder_y
      - .offset:         478
        .size:           2
        .value_kind:     hidden_remainder_z
      - .offset:         496
        .size:           8
        .value_kind:     hidden_global_offset_x
      - .offset:         504
        .size:           8
        .value_kind:     hidden_global_offset_y
      - .offset:         512
        .size:           8
        .value_kind:     hidden_global_offset_z
      - .offset:         520
        .size:           2
        .value_kind:     hidden_grid_dims
    .group_segment_fixed_size: 0
    .kernarg_segment_align: 8
    .kernarg_segment_size: 712
    .language:       OpenCL C
    .language_version:
      - 2
      - 0
    .max_flat_workgroup_size: 128
    .name:           _ZN2at6native16triu_tril_kernelIN3c107complexINS2_4HalfEEEiLb0ELi2ELb1EEEvNS_4cuda6detail10TensorInfoIT_T0_EENS8_IKS9_SA_EEllSA_
    .private_segment_fixed_size: 0
    .sgpr_count:     58
    .sgpr_spill_count: 0
    .symbol:         _ZN2at6native16triu_tril_kernelIN3c107complexINS2_4HalfEEEiLb0ELi2ELb1EEEvNS_4cuda6detail10TensorInfoIT_T0_EENS8_IKS9_SA_EEllSA_.kd
    .uniform_work_group_size: 1
    .uses_dynamic_stack: false
    .vgpr_count:     32
    .vgpr_spill_count: 0
    .wavefront_size: 32
    .workgroup_processor_mode: 1
  - .args:
      - .offset:         0
        .size:           216
        .value_kind:     by_value
      - .offset:         216
        .size:           216
        .value_kind:     by_value
      - .offset:         432
        .size:           8
        .value_kind:     by_value
      - .offset:         440
        .size:           8
        .value_kind:     by_value
      - .offset:         448
        .size:           4
        .value_kind:     by_value
      - .offset:         456
        .size:           4
        .value_kind:     hidden_block_count_x
      - .offset:         460
        .size:           4
        .value_kind:     hidden_block_count_y
      - .offset:         464
        .size:           4
        .value_kind:     hidden_block_count_z
      - .offset:         468
        .size:           2
        .value_kind:     hidden_group_size_x
      - .offset:         470
        .size:           2
        .value_kind:     hidden_group_size_y
      - .offset:         472
        .size:           2
        .value_kind:     hidden_group_size_z
      - .offset:         474
        .size:           2
        .value_kind:     hidden_remainder_x
      - .offset:         476
        .size:           2
        .value_kind:     hidden_remainder_y
      - .offset:         478
        .size:           2
        .value_kind:     hidden_remainder_z
      - .offset:         496
        .size:           8
        .value_kind:     hidden_global_offset_x
      - .offset:         504
        .size:           8
        .value_kind:     hidden_global_offset_y
      - .offset:         512
        .size:           8
        .value_kind:     hidden_global_offset_z
      - .offset:         520
        .size:           2
        .value_kind:     hidden_grid_dims
    .group_segment_fixed_size: 0
    .kernarg_segment_align: 8
    .kernarg_segment_size: 712
    .language:       OpenCL C
    .language_version:
      - 2
      - 0
    .max_flat_workgroup_size: 128
    .name:           _ZN2at6native16triu_tril_kernelIN3c107complexINS2_4HalfEEEiLb0ELi2ELb0EEEvNS_4cuda6detail10TensorInfoIT_T0_EENS8_IKS9_SA_EEllSA_
    .private_segment_fixed_size: 0
    .sgpr_count:     56
    .sgpr_spill_count: 0
    .symbol:         _ZN2at6native16triu_tril_kernelIN3c107complexINS2_4HalfEEEiLb0ELi2ELb0EEEvNS_4cuda6detail10TensorInfoIT_T0_EENS8_IKS9_SA_EEllSA_.kd
    .uniform_work_group_size: 1
    .uses_dynamic_stack: false
    .vgpr_count:     25
    .vgpr_spill_count: 0
    .wavefront_size: 32
    .workgroup_processor_mode: 1
  - .args:
      - .offset:         0
        .size:           416
        .value_kind:     by_value
      - .offset:         416
        .size:           416
        .value_kind:     by_value
      - .offset:         832
        .size:           8
        .value_kind:     by_value
      - .offset:         840
        .size:           8
        .value_kind:     by_value
      - .offset:         848
        .size:           8
        .value_kind:     by_value
      - .offset:         856
        .size:           4
        .value_kind:     hidden_block_count_x
      - .offset:         860
        .size:           4
        .value_kind:     hidden_block_count_y
      - .offset:         864
        .size:           4
        .value_kind:     hidden_block_count_z
      - .offset:         868
        .size:           2
        .value_kind:     hidden_group_size_x
      - .offset:         870
        .size:           2
        .value_kind:     hidden_group_size_y
      - .offset:         872
        .size:           2
        .value_kind:     hidden_group_size_z
      - .offset:         874
        .size:           2
        .value_kind:     hidden_remainder_x
      - .offset:         876
        .size:           2
        .value_kind:     hidden_remainder_y
      - .offset:         878
        .size:           2
        .value_kind:     hidden_remainder_z
      - .offset:         896
        .size:           8
        .value_kind:     hidden_global_offset_x
      - .offset:         904
        .size:           8
        .value_kind:     hidden_global_offset_y
      - .offset:         912
        .size:           8
        .value_kind:     hidden_global_offset_z
      - .offset:         920
        .size:           2
        .value_kind:     hidden_grid_dims
    .group_segment_fixed_size: 0
    .kernarg_segment_align: 8
    .kernarg_segment_size: 1112
    .language:       OpenCL C
    .language_version:
      - 2
      - 0
    .max_flat_workgroup_size: 128
    .name:           _ZN2at6native16triu_tril_kernelIN3c107complexINS2_4HalfEEElLb0ELi2ELb1EEEvNS_4cuda6detail10TensorInfoIT_T0_EENS8_IKS9_SA_EEllSA_
    .private_segment_fixed_size: 0
    .sgpr_count:     47
    .sgpr_spill_count: 0
    .symbol:         _ZN2at6native16triu_tril_kernelIN3c107complexINS2_4HalfEEElLb0ELi2ELb1EEEvNS_4cuda6detail10TensorInfoIT_T0_EENS8_IKS9_SA_EEllSA_.kd
    .uniform_work_group_size: 1
    .uses_dynamic_stack: false
    .vgpr_count:     26
    .vgpr_spill_count: 0
    .wavefront_size: 32
    .workgroup_processor_mode: 1
  - .args:
      - .offset:         0
        .size:           416
        .value_kind:     by_value
      - .offset:         416
        .size:           416
        .value_kind:     by_value
      - .offset:         832
        .size:           8
        .value_kind:     by_value
      - .offset:         840
        .size:           8
        .value_kind:     by_value
      - .offset:         848
        .size:           8
        .value_kind:     by_value
      - .offset:         856
        .size:           4
        .value_kind:     hidden_block_count_x
      - .offset:         860
        .size:           4
        .value_kind:     hidden_block_count_y
      - .offset:         864
        .size:           4
        .value_kind:     hidden_block_count_z
      - .offset:         868
        .size:           2
        .value_kind:     hidden_group_size_x
      - .offset:         870
        .size:           2
        .value_kind:     hidden_group_size_y
      - .offset:         872
        .size:           2
        .value_kind:     hidden_group_size_z
      - .offset:         874
        .size:           2
        .value_kind:     hidden_remainder_x
      - .offset:         876
        .size:           2
        .value_kind:     hidden_remainder_y
      - .offset:         878
        .size:           2
        .value_kind:     hidden_remainder_z
      - .offset:         896
        .size:           8
        .value_kind:     hidden_global_offset_x
      - .offset:         904
        .size:           8
        .value_kind:     hidden_global_offset_y
      - .offset:         912
        .size:           8
        .value_kind:     hidden_global_offset_z
      - .offset:         920
        .size:           2
        .value_kind:     hidden_grid_dims
    .group_segment_fixed_size: 0
    .kernarg_segment_align: 8
    .kernarg_segment_size: 1112
    .language:       OpenCL C
    .language_version:
      - 2
      - 0
    .max_flat_workgroup_size: 128
    .name:           _ZN2at6native16triu_tril_kernelIN3c107complexINS2_4HalfEEElLb0ELi2ELb0EEEvNS_4cuda6detail10TensorInfoIT_T0_EENS8_IKS9_SA_EEllSA_
    .private_segment_fixed_size: 0
    .sgpr_count:     49
    .sgpr_spill_count: 0
    .symbol:         _ZN2at6native16triu_tril_kernelIN3c107complexINS2_4HalfEEElLb0ELi2ELb0EEEvNS_4cuda6detail10TensorInfoIT_T0_EENS8_IKS9_SA_EEllSA_.kd
    .uniform_work_group_size: 1
    .uses_dynamic_stack: false
    .vgpr_count:     26
    .vgpr_spill_count: 0
    .wavefront_size: 32
    .workgroup_processor_mode: 1
  - .args:
      - .offset:         0
        .size:           216
        .value_kind:     by_value
      - .offset:         216
        .size:           216
        .value_kind:     by_value
      - .offset:         432
        .size:           8
        .value_kind:     by_value
      - .offset:         440
        .size:           8
        .value_kind:     by_value
      - .offset:         448
        .size:           4
        .value_kind:     by_value
      - .offset:         456
        .size:           4
        .value_kind:     hidden_block_count_x
      - .offset:         460
        .size:           4
        .value_kind:     hidden_block_count_y
      - .offset:         464
        .size:           4
        .value_kind:     hidden_block_count_z
      - .offset:         468
        .size:           2
        .value_kind:     hidden_group_size_x
      - .offset:         470
        .size:           2
        .value_kind:     hidden_group_size_y
      - .offset:         472
        .size:           2
        .value_kind:     hidden_group_size_z
      - .offset:         474
        .size:           2
        .value_kind:     hidden_remainder_x
      - .offset:         476
        .size:           2
        .value_kind:     hidden_remainder_y
      - .offset:         478
        .size:           2
        .value_kind:     hidden_remainder_z
      - .offset:         496
        .size:           8
        .value_kind:     hidden_global_offset_x
      - .offset:         504
        .size:           8
        .value_kind:     hidden_global_offset_y
      - .offset:         512
        .size:           8
        .value_kind:     hidden_global_offset_z
      - .offset:         520
        .size:           2
        .value_kind:     hidden_grid_dims
    .group_segment_fixed_size: 0
    .kernarg_segment_align: 8
    .kernarg_segment_size: 712
    .language:       OpenCL C
    .language_version:
      - 2
      - 0
    .max_flat_workgroup_size: 128
    .name:           _ZN2at6native16triu_tril_kernelIN3c104HalfEiLb0ELi4ELb1EEEvNS_4cuda6detail10TensorInfoIT_T0_EENS6_IKS7_S8_EEllS8_
    .private_segment_fixed_size: 0
    .sgpr_count:     58
    .sgpr_spill_count: 0
    .symbol:         _ZN2at6native16triu_tril_kernelIN3c104HalfEiLb0ELi4ELb1EEEvNS_4cuda6detail10TensorInfoIT_T0_EENS6_IKS7_S8_EEllS8_.kd
    .uniform_work_group_size: 1
    .uses_dynamic_stack: false
    .vgpr_count:     32
    .vgpr_spill_count: 0
    .wavefront_size: 32
    .workgroup_processor_mode: 1
  - .args:
      - .offset:         0
        .size:           216
        .value_kind:     by_value
      - .offset:         216
        .size:           216
        .value_kind:     by_value
      - .offset:         432
        .size:           8
        .value_kind:     by_value
      - .offset:         440
        .size:           8
        .value_kind:     by_value
      - .offset:         448
        .size:           4
        .value_kind:     by_value
      - .offset:         456
        .size:           4
        .value_kind:     hidden_block_count_x
      - .offset:         460
        .size:           4
        .value_kind:     hidden_block_count_y
      - .offset:         464
        .size:           4
        .value_kind:     hidden_block_count_z
      - .offset:         468
        .size:           2
        .value_kind:     hidden_group_size_x
      - .offset:         470
        .size:           2
        .value_kind:     hidden_group_size_y
      - .offset:         472
        .size:           2
        .value_kind:     hidden_group_size_z
      - .offset:         474
        .size:           2
        .value_kind:     hidden_remainder_x
      - .offset:         476
        .size:           2
        .value_kind:     hidden_remainder_y
      - .offset:         478
        .size:           2
        .value_kind:     hidden_remainder_z
      - .offset:         496
        .size:           8
        .value_kind:     hidden_global_offset_x
      - .offset:         504
        .size:           8
        .value_kind:     hidden_global_offset_y
      - .offset:         512
        .size:           8
        .value_kind:     hidden_global_offset_z
      - .offset:         520
        .size:           2
        .value_kind:     hidden_grid_dims
    .group_segment_fixed_size: 0
    .kernarg_segment_align: 8
    .kernarg_segment_size: 712
    .language:       OpenCL C
    .language_version:
      - 2
      - 0
    .max_flat_workgroup_size: 128
    .name:           _ZN2at6native16triu_tril_kernelIN3c104HalfEiLb0ELi4ELb0EEEvNS_4cuda6detail10TensorInfoIT_T0_EENS6_IKS7_S8_EEllS8_
    .private_segment_fixed_size: 0
    .sgpr_count:     56
    .sgpr_spill_count: 0
    .symbol:         _ZN2at6native16triu_tril_kernelIN3c104HalfEiLb0ELi4ELb0EEEvNS_4cuda6detail10TensorInfoIT_T0_EENS6_IKS7_S8_EEllS8_.kd
    .uniform_work_group_size: 1
    .uses_dynamic_stack: false
    .vgpr_count:     25
    .vgpr_spill_count: 0
    .wavefront_size: 32
    .workgroup_processor_mode: 1
  - .args:
      - .offset:         0
        .size:           416
        .value_kind:     by_value
      - .offset:         416
        .size:           416
        .value_kind:     by_value
      - .offset:         832
        .size:           8
        .value_kind:     by_value
      - .offset:         840
        .size:           8
        .value_kind:     by_value
      - .offset:         848
        .size:           8
        .value_kind:     by_value
      - .offset:         856
        .size:           4
        .value_kind:     hidden_block_count_x
      - .offset:         860
        .size:           4
        .value_kind:     hidden_block_count_y
      - .offset:         864
        .size:           4
        .value_kind:     hidden_block_count_z
      - .offset:         868
        .size:           2
        .value_kind:     hidden_group_size_x
      - .offset:         870
        .size:           2
        .value_kind:     hidden_group_size_y
      - .offset:         872
        .size:           2
        .value_kind:     hidden_group_size_z
      - .offset:         874
        .size:           2
        .value_kind:     hidden_remainder_x
      - .offset:         876
        .size:           2
        .value_kind:     hidden_remainder_y
      - .offset:         878
        .size:           2
        .value_kind:     hidden_remainder_z
      - .offset:         896
        .size:           8
        .value_kind:     hidden_global_offset_x
      - .offset:         904
        .size:           8
        .value_kind:     hidden_global_offset_y
      - .offset:         912
        .size:           8
        .value_kind:     hidden_global_offset_z
      - .offset:         920
        .size:           2
        .value_kind:     hidden_grid_dims
    .group_segment_fixed_size: 0
    .kernarg_segment_align: 8
    .kernarg_segment_size: 1112
    .language:       OpenCL C
    .language_version:
      - 2
      - 0
    .max_flat_workgroup_size: 128
    .name:           _ZN2at6native16triu_tril_kernelIN3c104HalfElLb0ELi4ELb1EEEvNS_4cuda6detail10TensorInfoIT_T0_EENS6_IKS7_S8_EEllS8_
    .private_segment_fixed_size: 0
    .sgpr_count:     47
    .sgpr_spill_count: 0
    .symbol:         _ZN2at6native16triu_tril_kernelIN3c104HalfElLb0ELi4ELb1EEEvNS_4cuda6detail10TensorInfoIT_T0_EENS6_IKS7_S8_EEllS8_.kd
    .uniform_work_group_size: 1
    .uses_dynamic_stack: false
    .vgpr_count:     26
    .vgpr_spill_count: 0
    .wavefront_size: 32
    .workgroup_processor_mode: 1
  - .args:
      - .offset:         0
        .size:           416
        .value_kind:     by_value
      - .offset:         416
        .size:           416
        .value_kind:     by_value
      - .offset:         832
        .size:           8
        .value_kind:     by_value
      - .offset:         840
        .size:           8
        .value_kind:     by_value
      - .offset:         848
        .size:           8
        .value_kind:     by_value
      - .offset:         856
        .size:           4
        .value_kind:     hidden_block_count_x
      - .offset:         860
        .size:           4
        .value_kind:     hidden_block_count_y
      - .offset:         864
        .size:           4
        .value_kind:     hidden_block_count_z
      - .offset:         868
        .size:           2
        .value_kind:     hidden_group_size_x
      - .offset:         870
        .size:           2
        .value_kind:     hidden_group_size_y
      - .offset:         872
        .size:           2
        .value_kind:     hidden_group_size_z
      - .offset:         874
        .size:           2
        .value_kind:     hidden_remainder_x
      - .offset:         876
        .size:           2
        .value_kind:     hidden_remainder_y
      - .offset:         878
        .size:           2
        .value_kind:     hidden_remainder_z
      - .offset:         896
        .size:           8
        .value_kind:     hidden_global_offset_x
      - .offset:         904
        .size:           8
        .value_kind:     hidden_global_offset_y
      - .offset:         912
        .size:           8
        .value_kind:     hidden_global_offset_z
      - .offset:         920
        .size:           2
        .value_kind:     hidden_grid_dims
    .group_segment_fixed_size: 0
    .kernarg_segment_align: 8
    .kernarg_segment_size: 1112
    .language:       OpenCL C
    .language_version:
      - 2
      - 0
    .max_flat_workgroup_size: 128
    .name:           _ZN2at6native16triu_tril_kernelIN3c104HalfElLb0ELi4ELb0EEEvNS_4cuda6detail10TensorInfoIT_T0_EENS6_IKS7_S8_EEllS8_
    .private_segment_fixed_size: 0
    .sgpr_count:     57
    .sgpr_spill_count: 0
    .symbol:         _ZN2at6native16triu_tril_kernelIN3c104HalfElLb0ELi4ELb0EEEvNS_4cuda6detail10TensorInfoIT_T0_EENS6_IKS7_S8_EEllS8_.kd
    .uniform_work_group_size: 1
    .uses_dynamic_stack: false
    .vgpr_count:     26
    .vgpr_spill_count: 0
    .wavefront_size: 32
    .workgroup_processor_mode: 1
  - .args:
      - .offset:         0
        .size:           216
        .value_kind:     by_value
      - .offset:         216
        .size:           216
        .value_kind:     by_value
      - .offset:         432
        .size:           8
        .value_kind:     by_value
      - .offset:         440
        .size:           8
        .value_kind:     by_value
      - .offset:         448
        .size:           4
        .value_kind:     by_value
      - .offset:         456
        .size:           4
        .value_kind:     hidden_block_count_x
      - .offset:         460
        .size:           4
        .value_kind:     hidden_block_count_y
      - .offset:         464
        .size:           4
        .value_kind:     hidden_block_count_z
      - .offset:         468
        .size:           2
        .value_kind:     hidden_group_size_x
      - .offset:         470
        .size:           2
        .value_kind:     hidden_group_size_y
      - .offset:         472
        .size:           2
        .value_kind:     hidden_group_size_z
      - .offset:         474
        .size:           2
        .value_kind:     hidden_remainder_x
      - .offset:         476
        .size:           2
        .value_kind:     hidden_remainder_y
      - .offset:         478
        .size:           2
        .value_kind:     hidden_remainder_z
      - .offset:         496
        .size:           8
        .value_kind:     hidden_global_offset_x
      - .offset:         504
        .size:           8
        .value_kind:     hidden_global_offset_y
      - .offset:         512
        .size:           8
        .value_kind:     hidden_global_offset_z
      - .offset:         520
        .size:           2
        .value_kind:     hidden_grid_dims
    .group_segment_fixed_size: 0
    .kernarg_segment_align: 8
    .kernarg_segment_size: 712
    .language:       OpenCL C
    .language_version:
      - 2
      - 0
    .max_flat_workgroup_size: 128
    .name:           _ZN2at6native16triu_tril_kernelIN3c108BFloat16EiLb0ELi4ELb1EEEvNS_4cuda6detail10TensorInfoIT_T0_EENS6_IKS7_S8_EEllS8_
    .private_segment_fixed_size: 0
    .sgpr_count:     58
    .sgpr_spill_count: 0
    .symbol:         _ZN2at6native16triu_tril_kernelIN3c108BFloat16EiLb0ELi4ELb1EEEvNS_4cuda6detail10TensorInfoIT_T0_EENS6_IKS7_S8_EEllS8_.kd
    .uniform_work_group_size: 1
    .uses_dynamic_stack: false
    .vgpr_count:     32
    .vgpr_spill_count: 0
    .wavefront_size: 32
    .workgroup_processor_mode: 1
  - .args:
      - .offset:         0
        .size:           216
        .value_kind:     by_value
      - .offset:         216
        .size:           216
        .value_kind:     by_value
      - .offset:         432
        .size:           8
        .value_kind:     by_value
      - .offset:         440
        .size:           8
        .value_kind:     by_value
      - .offset:         448
        .size:           4
        .value_kind:     by_value
      - .offset:         456
        .size:           4
        .value_kind:     hidden_block_count_x
      - .offset:         460
        .size:           4
        .value_kind:     hidden_block_count_y
      - .offset:         464
        .size:           4
        .value_kind:     hidden_block_count_z
      - .offset:         468
        .size:           2
        .value_kind:     hidden_group_size_x
      - .offset:         470
        .size:           2
        .value_kind:     hidden_group_size_y
      - .offset:         472
        .size:           2
        .value_kind:     hidden_group_size_z
      - .offset:         474
        .size:           2
        .value_kind:     hidden_remainder_x
      - .offset:         476
        .size:           2
        .value_kind:     hidden_remainder_y
      - .offset:         478
        .size:           2
        .value_kind:     hidden_remainder_z
      - .offset:         496
        .size:           8
        .value_kind:     hidden_global_offset_x
      - .offset:         504
        .size:           8
        .value_kind:     hidden_global_offset_y
      - .offset:         512
        .size:           8
        .value_kind:     hidden_global_offset_z
      - .offset:         520
        .size:           2
        .value_kind:     hidden_grid_dims
    .group_segment_fixed_size: 0
    .kernarg_segment_align: 8
    .kernarg_segment_size: 712
    .language:       OpenCL C
    .language_version:
      - 2
      - 0
    .max_flat_workgroup_size: 128
    .name:           _ZN2at6native16triu_tril_kernelIN3c108BFloat16EiLb0ELi4ELb0EEEvNS_4cuda6detail10TensorInfoIT_T0_EENS6_IKS7_S8_EEllS8_
    .private_segment_fixed_size: 0
    .sgpr_count:     56
    .sgpr_spill_count: 0
    .symbol:         _ZN2at6native16triu_tril_kernelIN3c108BFloat16EiLb0ELi4ELb0EEEvNS_4cuda6detail10TensorInfoIT_T0_EENS6_IKS7_S8_EEllS8_.kd
    .uniform_work_group_size: 1
    .uses_dynamic_stack: false
    .vgpr_count:     25
    .vgpr_spill_count: 0
    .wavefront_size: 32
    .workgroup_processor_mode: 1
  - .args:
      - .offset:         0
        .size:           416
        .value_kind:     by_value
      - .offset:         416
        .size:           416
        .value_kind:     by_value
      - .offset:         832
        .size:           8
        .value_kind:     by_value
      - .offset:         840
        .size:           8
        .value_kind:     by_value
      - .offset:         848
        .size:           8
        .value_kind:     by_value
      - .offset:         856
        .size:           4
        .value_kind:     hidden_block_count_x
      - .offset:         860
        .size:           4
        .value_kind:     hidden_block_count_y
      - .offset:         864
        .size:           4
        .value_kind:     hidden_block_count_z
      - .offset:         868
        .size:           2
        .value_kind:     hidden_group_size_x
      - .offset:         870
        .size:           2
        .value_kind:     hidden_group_size_y
      - .offset:         872
        .size:           2
        .value_kind:     hidden_group_size_z
      - .offset:         874
        .size:           2
        .value_kind:     hidden_remainder_x
      - .offset:         876
        .size:           2
        .value_kind:     hidden_remainder_y
      - .offset:         878
        .size:           2
        .value_kind:     hidden_remainder_z
      - .offset:         896
        .size:           8
        .value_kind:     hidden_global_offset_x
      - .offset:         904
        .size:           8
        .value_kind:     hidden_global_offset_y
      - .offset:         912
        .size:           8
        .value_kind:     hidden_global_offset_z
      - .offset:         920
        .size:           2
        .value_kind:     hidden_grid_dims
    .group_segment_fixed_size: 0
    .kernarg_segment_align: 8
    .kernarg_segment_size: 1112
    .language:       OpenCL C
    .language_version:
      - 2
      - 0
    .max_flat_workgroup_size: 128
    .name:           _ZN2at6native16triu_tril_kernelIN3c108BFloat16ElLb0ELi4ELb1EEEvNS_4cuda6detail10TensorInfoIT_T0_EENS6_IKS7_S8_EEllS8_
    .private_segment_fixed_size: 0
    .sgpr_count:     47
    .sgpr_spill_count: 0
    .symbol:         _ZN2at6native16triu_tril_kernelIN3c108BFloat16ElLb0ELi4ELb1EEEvNS_4cuda6detail10TensorInfoIT_T0_EENS6_IKS7_S8_EEllS8_.kd
    .uniform_work_group_size: 1
    .uses_dynamic_stack: false
    .vgpr_count:     26
    .vgpr_spill_count: 0
    .wavefront_size: 32
    .workgroup_processor_mode: 1
  - .args:
      - .offset:         0
        .size:           416
        .value_kind:     by_value
      - .offset:         416
        .size:           416
        .value_kind:     by_value
      - .offset:         832
        .size:           8
        .value_kind:     by_value
      - .offset:         840
        .size:           8
        .value_kind:     by_value
      - .offset:         848
        .size:           8
        .value_kind:     by_value
      - .offset:         856
        .size:           4
        .value_kind:     hidden_block_count_x
      - .offset:         860
        .size:           4
        .value_kind:     hidden_block_count_y
      - .offset:         864
        .size:           4
        .value_kind:     hidden_block_count_z
      - .offset:         868
        .size:           2
        .value_kind:     hidden_group_size_x
      - .offset:         870
        .size:           2
        .value_kind:     hidden_group_size_y
      - .offset:         872
        .size:           2
        .value_kind:     hidden_group_size_z
      - .offset:         874
        .size:           2
        .value_kind:     hidden_remainder_x
      - .offset:         876
        .size:           2
        .value_kind:     hidden_remainder_y
      - .offset:         878
        .size:           2
        .value_kind:     hidden_remainder_z
      - .offset:         896
        .size:           8
        .value_kind:     hidden_global_offset_x
      - .offset:         904
        .size:           8
        .value_kind:     hidden_global_offset_y
      - .offset:         912
        .size:           8
        .value_kind:     hidden_global_offset_z
      - .offset:         920
        .size:           2
        .value_kind:     hidden_grid_dims
    .group_segment_fixed_size: 0
    .kernarg_segment_align: 8
    .kernarg_segment_size: 1112
    .language:       OpenCL C
    .language_version:
      - 2
      - 0
    .max_flat_workgroup_size: 128
    .name:           _ZN2at6native16triu_tril_kernelIN3c108BFloat16ElLb0ELi4ELb0EEEvNS_4cuda6detail10TensorInfoIT_T0_EENS6_IKS7_S8_EEllS8_
    .private_segment_fixed_size: 0
    .sgpr_count:     57
    .sgpr_spill_count: 0
    .symbol:         _ZN2at6native16triu_tril_kernelIN3c108BFloat16ElLb0ELi4ELb0EEEvNS_4cuda6detail10TensorInfoIT_T0_EENS6_IKS7_S8_EEllS8_.kd
    .uniform_work_group_size: 1
    .uses_dynamic_stack: false
    .vgpr_count:     26
    .vgpr_spill_count: 0
    .wavefront_size: 32
    .workgroup_processor_mode: 1
  - .args:
      - .offset:         0
        .size:           216
        .value_kind:     by_value
      - .offset:         216
        .size:           216
        .value_kind:     by_value
      - .offset:         432
        .size:           8
        .value_kind:     by_value
      - .offset:         440
        .size:           8
        .value_kind:     by_value
      - .offset:         448
        .size:           4
        .value_kind:     by_value
      - .offset:         456
        .size:           4
        .value_kind:     hidden_block_count_x
      - .offset:         460
        .size:           4
        .value_kind:     hidden_block_count_y
      - .offset:         464
        .size:           4
        .value_kind:     hidden_block_count_z
      - .offset:         468
        .size:           2
        .value_kind:     hidden_group_size_x
      - .offset:         470
        .size:           2
        .value_kind:     hidden_group_size_y
      - .offset:         472
        .size:           2
        .value_kind:     hidden_group_size_z
      - .offset:         474
        .size:           2
        .value_kind:     hidden_remainder_x
      - .offset:         476
        .size:           2
        .value_kind:     hidden_remainder_y
      - .offset:         478
        .size:           2
        .value_kind:     hidden_remainder_z
      - .offset:         496
        .size:           8
        .value_kind:     hidden_global_offset_x
      - .offset:         504
        .size:           8
        .value_kind:     hidden_global_offset_y
      - .offset:         512
        .size:           8
        .value_kind:     hidden_global_offset_z
      - .offset:         520
        .size:           2
        .value_kind:     hidden_grid_dims
    .group_segment_fixed_size: 0
    .kernarg_segment_align: 8
    .kernarg_segment_size: 712
    .language:       OpenCL C
    .language_version:
      - 2
      - 0
    .max_flat_workgroup_size: 128
    .name:           _ZN2at6native16triu_tril_kernelIbiLb0ELi4ELb1EEEvNS_4cuda6detail10TensorInfoIT_T0_EENS4_IKS5_S6_EEllS6_
    .private_segment_fixed_size: 0
    .sgpr_count:     58
    .sgpr_spill_count: 0
    .symbol:         _ZN2at6native16triu_tril_kernelIbiLb0ELi4ELb1EEEvNS_4cuda6detail10TensorInfoIT_T0_EENS4_IKS5_S6_EEllS6_.kd
    .uniform_work_group_size: 1
    .uses_dynamic_stack: false
    .vgpr_count:     32
    .vgpr_spill_count: 0
    .wavefront_size: 32
    .workgroup_processor_mode: 1
  - .args:
      - .offset:         0
        .size:           216
        .value_kind:     by_value
      - .offset:         216
        .size:           216
        .value_kind:     by_value
      - .offset:         432
        .size:           8
        .value_kind:     by_value
      - .offset:         440
        .size:           8
        .value_kind:     by_value
      - .offset:         448
        .size:           4
        .value_kind:     by_value
      - .offset:         456
        .size:           4
        .value_kind:     hidden_block_count_x
      - .offset:         460
        .size:           4
        .value_kind:     hidden_block_count_y
      - .offset:         464
        .size:           4
        .value_kind:     hidden_block_count_z
      - .offset:         468
        .size:           2
        .value_kind:     hidden_group_size_x
      - .offset:         470
        .size:           2
        .value_kind:     hidden_group_size_y
      - .offset:         472
        .size:           2
        .value_kind:     hidden_group_size_z
      - .offset:         474
        .size:           2
        .value_kind:     hidden_remainder_x
      - .offset:         476
        .size:           2
        .value_kind:     hidden_remainder_y
      - .offset:         478
        .size:           2
        .value_kind:     hidden_remainder_z
      - .offset:         496
        .size:           8
        .value_kind:     hidden_global_offset_x
      - .offset:         504
        .size:           8
        .value_kind:     hidden_global_offset_y
      - .offset:         512
        .size:           8
        .value_kind:     hidden_global_offset_z
      - .offset:         520
        .size:           2
        .value_kind:     hidden_grid_dims
    .group_segment_fixed_size: 0
    .kernarg_segment_align: 8
    .kernarg_segment_size: 712
    .language:       OpenCL C
    .language_version:
      - 2
      - 0
    .max_flat_workgroup_size: 128
    .name:           _ZN2at6native16triu_tril_kernelIbiLb0ELi4ELb0EEEvNS_4cuda6detail10TensorInfoIT_T0_EENS4_IKS5_S6_EEllS6_
    .private_segment_fixed_size: 0
    .sgpr_count:     56
    .sgpr_spill_count: 0
    .symbol:         _ZN2at6native16triu_tril_kernelIbiLb0ELi4ELb0EEEvNS_4cuda6detail10TensorInfoIT_T0_EENS4_IKS5_S6_EEllS6_.kd
    .uniform_work_group_size: 1
    .uses_dynamic_stack: false
    .vgpr_count:     25
    .vgpr_spill_count: 0
    .wavefront_size: 32
    .workgroup_processor_mode: 1
  - .args:
      - .offset:         0
        .size:           416
        .value_kind:     by_value
      - .offset:         416
        .size:           416
        .value_kind:     by_value
      - .offset:         832
        .size:           8
        .value_kind:     by_value
      - .offset:         840
        .size:           8
        .value_kind:     by_value
      - .offset:         848
        .size:           8
        .value_kind:     by_value
      - .offset:         856
        .size:           4
        .value_kind:     hidden_block_count_x
      - .offset:         860
        .size:           4
        .value_kind:     hidden_block_count_y
      - .offset:         864
        .size:           4
        .value_kind:     hidden_block_count_z
      - .offset:         868
        .size:           2
        .value_kind:     hidden_group_size_x
      - .offset:         870
        .size:           2
        .value_kind:     hidden_group_size_y
      - .offset:         872
        .size:           2
        .value_kind:     hidden_group_size_z
      - .offset:         874
        .size:           2
        .value_kind:     hidden_remainder_x
      - .offset:         876
        .size:           2
        .value_kind:     hidden_remainder_y
      - .offset:         878
        .size:           2
        .value_kind:     hidden_remainder_z
      - .offset:         896
        .size:           8
        .value_kind:     hidden_global_offset_x
      - .offset:         904
        .size:           8
        .value_kind:     hidden_global_offset_y
      - .offset:         912
        .size:           8
        .value_kind:     hidden_global_offset_z
      - .offset:         920
        .size:           2
        .value_kind:     hidden_grid_dims
    .group_segment_fixed_size: 0
    .kernarg_segment_align: 8
    .kernarg_segment_size: 1112
    .language:       OpenCL C
    .language_version:
      - 2
      - 0
    .max_flat_workgroup_size: 128
    .name:           _ZN2at6native16triu_tril_kernelIblLb0ELi4ELb1EEEvNS_4cuda6detail10TensorInfoIT_T0_EENS4_IKS5_S6_EEllS6_
    .private_segment_fixed_size: 0
    .sgpr_count:     47
    .sgpr_spill_count: 0
    .symbol:         _ZN2at6native16triu_tril_kernelIblLb0ELi4ELb1EEEvNS_4cuda6detail10TensorInfoIT_T0_EENS4_IKS5_S6_EEllS6_.kd
    .uniform_work_group_size: 1
    .uses_dynamic_stack: false
    .vgpr_count:     26
    .vgpr_spill_count: 0
    .wavefront_size: 32
    .workgroup_processor_mode: 1
  - .args:
      - .offset:         0
        .size:           416
        .value_kind:     by_value
      - .offset:         416
        .size:           416
        .value_kind:     by_value
      - .offset:         832
        .size:           8
        .value_kind:     by_value
      - .offset:         840
        .size:           8
        .value_kind:     by_value
      - .offset:         848
        .size:           8
        .value_kind:     by_value
      - .offset:         856
        .size:           4
        .value_kind:     hidden_block_count_x
      - .offset:         860
        .size:           4
        .value_kind:     hidden_block_count_y
      - .offset:         864
        .size:           4
        .value_kind:     hidden_block_count_z
      - .offset:         868
        .size:           2
        .value_kind:     hidden_group_size_x
      - .offset:         870
        .size:           2
        .value_kind:     hidden_group_size_y
      - .offset:         872
        .size:           2
        .value_kind:     hidden_group_size_z
      - .offset:         874
        .size:           2
        .value_kind:     hidden_remainder_x
      - .offset:         876
        .size:           2
        .value_kind:     hidden_remainder_y
      - .offset:         878
        .size:           2
        .value_kind:     hidden_remainder_z
      - .offset:         896
        .size:           8
        .value_kind:     hidden_global_offset_x
      - .offset:         904
        .size:           8
        .value_kind:     hidden_global_offset_y
      - .offset:         912
        .size:           8
        .value_kind:     hidden_global_offset_z
      - .offset:         920
        .size:           2
        .value_kind:     hidden_grid_dims
    .group_segment_fixed_size: 0
    .kernarg_segment_align: 8
    .kernarg_segment_size: 1112
    .language:       OpenCL C
    .language_version:
      - 2
      - 0
    .max_flat_workgroup_size: 128
    .name:           _ZN2at6native16triu_tril_kernelIblLb0ELi4ELb0EEEvNS_4cuda6detail10TensorInfoIT_T0_EENS4_IKS5_S6_EEllS6_
    .private_segment_fixed_size: 0
    .sgpr_count:     50
    .sgpr_spill_count: 0
    .symbol:         _ZN2at6native16triu_tril_kernelIblLb0ELi4ELb0EEEvNS_4cuda6detail10TensorInfoIT_T0_EENS4_IKS5_S6_EEllS6_.kd
    .uniform_work_group_size: 1
    .uses_dynamic_stack: false
    .vgpr_count:     26
    .vgpr_spill_count: 0
    .wavefront_size: 32
    .workgroup_processor_mode: 1
  - .args:
      - .offset:         0
        .size:           216
        .value_kind:     by_value
      - .offset:         216
        .size:           216
        .value_kind:     by_value
      - .offset:         432
        .size:           8
        .value_kind:     by_value
      - .offset:         440
        .size:           8
        .value_kind:     by_value
      - .offset:         448
        .size:           4
        .value_kind:     by_value
      - .offset:         456
        .size:           4
        .value_kind:     hidden_block_count_x
      - .offset:         460
        .size:           4
        .value_kind:     hidden_block_count_y
      - .offset:         464
        .size:           4
        .value_kind:     hidden_block_count_z
      - .offset:         468
        .size:           2
        .value_kind:     hidden_group_size_x
      - .offset:         470
        .size:           2
        .value_kind:     hidden_group_size_y
      - .offset:         472
        .size:           2
        .value_kind:     hidden_group_size_z
      - .offset:         474
        .size:           2
        .value_kind:     hidden_remainder_x
      - .offset:         476
        .size:           2
        .value_kind:     hidden_remainder_y
      - .offset:         478
        .size:           2
        .value_kind:     hidden_remainder_z
      - .offset:         496
        .size:           8
        .value_kind:     hidden_global_offset_x
      - .offset:         504
        .size:           8
        .value_kind:     hidden_global_offset_y
      - .offset:         512
        .size:           8
        .value_kind:     hidden_global_offset_z
      - .offset:         520
        .size:           2
        .value_kind:     hidden_grid_dims
    .group_segment_fixed_size: 0
    .kernarg_segment_align: 8
    .kernarg_segment_size: 712
    .language:       OpenCL C
    .language_version:
      - 2
      - 0
    .max_flat_workgroup_size: 128
    .name:           _ZN2at6native16triu_tril_kernelIhiLb1ELi4ELb1EEEvNS_4cuda6detail10TensorInfoIT_T0_EENS4_IKS5_S6_EEllS6_
    .private_segment_fixed_size: 0
    .sgpr_count:     58
    .sgpr_spill_count: 0
    .symbol:         _ZN2at6native16triu_tril_kernelIhiLb1ELi4ELb1EEEvNS_4cuda6detail10TensorInfoIT_T0_EENS4_IKS5_S6_EEllS6_.kd
    .uniform_work_group_size: 1
    .uses_dynamic_stack: false
    .vgpr_count:     31
    .vgpr_spill_count: 0
    .wavefront_size: 32
    .workgroup_processor_mode: 1
  - .args:
      - .offset:         0
        .size:           216
        .value_kind:     by_value
      - .offset:         216
        .size:           216
        .value_kind:     by_value
      - .offset:         432
        .size:           8
        .value_kind:     by_value
      - .offset:         440
        .size:           8
        .value_kind:     by_value
      - .offset:         448
        .size:           4
        .value_kind:     by_value
      - .offset:         456
        .size:           4
        .value_kind:     hidden_block_count_x
      - .offset:         460
        .size:           4
        .value_kind:     hidden_block_count_y
      - .offset:         464
        .size:           4
        .value_kind:     hidden_block_count_z
      - .offset:         468
        .size:           2
        .value_kind:     hidden_group_size_x
      - .offset:         470
        .size:           2
        .value_kind:     hidden_group_size_y
      - .offset:         472
        .size:           2
        .value_kind:     hidden_group_size_z
      - .offset:         474
        .size:           2
        .value_kind:     hidden_remainder_x
      - .offset:         476
        .size:           2
        .value_kind:     hidden_remainder_y
      - .offset:         478
        .size:           2
        .value_kind:     hidden_remainder_z
      - .offset:         496
        .size:           8
        .value_kind:     hidden_global_offset_x
      - .offset:         504
        .size:           8
        .value_kind:     hidden_global_offset_y
      - .offset:         512
        .size:           8
        .value_kind:     hidden_global_offset_z
      - .offset:         520
        .size:           2
        .value_kind:     hidden_grid_dims
    .group_segment_fixed_size: 0
    .kernarg_segment_align: 8
    .kernarg_segment_size: 712
    .language:       OpenCL C
    .language_version:
      - 2
      - 0
    .max_flat_workgroup_size: 128
    .name:           _ZN2at6native16triu_tril_kernelIhiLb1ELi4ELb0EEEvNS_4cuda6detail10TensorInfoIT_T0_EENS4_IKS5_S6_EEllS6_
    .private_segment_fixed_size: 0
    .sgpr_count:     56
    .sgpr_spill_count: 0
    .symbol:         _ZN2at6native16triu_tril_kernelIhiLb1ELi4ELb0EEEvNS_4cuda6detail10TensorInfoIT_T0_EENS4_IKS5_S6_EEllS6_.kd
    .uniform_work_group_size: 1
    .uses_dynamic_stack: false
    .vgpr_count:     25
    .vgpr_spill_count: 0
    .wavefront_size: 32
    .workgroup_processor_mode: 1
  - .args:
      - .offset:         0
        .size:           416
        .value_kind:     by_value
      - .offset:         416
        .size:           416
        .value_kind:     by_value
      - .offset:         832
        .size:           8
        .value_kind:     by_value
      - .offset:         840
        .size:           8
        .value_kind:     by_value
      - .offset:         848
        .size:           8
        .value_kind:     by_value
      - .offset:         856
        .size:           4
        .value_kind:     hidden_block_count_x
      - .offset:         860
        .size:           4
        .value_kind:     hidden_block_count_y
      - .offset:         864
        .size:           4
        .value_kind:     hidden_block_count_z
      - .offset:         868
        .size:           2
        .value_kind:     hidden_group_size_x
      - .offset:         870
        .size:           2
        .value_kind:     hidden_group_size_y
      - .offset:         872
        .size:           2
        .value_kind:     hidden_group_size_z
      - .offset:         874
        .size:           2
        .value_kind:     hidden_remainder_x
      - .offset:         876
        .size:           2
        .value_kind:     hidden_remainder_y
      - .offset:         878
        .size:           2
        .value_kind:     hidden_remainder_z
      - .offset:         896
        .size:           8
        .value_kind:     hidden_global_offset_x
      - .offset:         904
        .size:           8
        .value_kind:     hidden_global_offset_y
      - .offset:         912
        .size:           8
        .value_kind:     hidden_global_offset_z
      - .offset:         920
        .size:           2
        .value_kind:     hidden_grid_dims
    .group_segment_fixed_size: 0
    .kernarg_segment_align: 8
    .kernarg_segment_size: 1112
    .language:       OpenCL C
    .language_version:
      - 2
      - 0
    .max_flat_workgroup_size: 128
    .name:           _ZN2at6native16triu_tril_kernelIhlLb1ELi4ELb1EEEvNS_4cuda6detail10TensorInfoIT_T0_EENS4_IKS5_S6_EEllS6_
    .private_segment_fixed_size: 0
    .sgpr_count:     48
    .sgpr_spill_count: 0
    .symbol:         _ZN2at6native16triu_tril_kernelIhlLb1ELi4ELb1EEEvNS_4cuda6detail10TensorInfoIT_T0_EENS4_IKS5_S6_EEllS6_.kd
    .uniform_work_group_size: 1
    .uses_dynamic_stack: false
    .vgpr_count:     24
    .vgpr_spill_count: 0
    .wavefront_size: 32
    .workgroup_processor_mode: 1
  - .args:
      - .offset:         0
        .size:           416
        .value_kind:     by_value
      - .offset:         416
        .size:           416
        .value_kind:     by_value
      - .offset:         832
        .size:           8
        .value_kind:     by_value
      - .offset:         840
        .size:           8
        .value_kind:     by_value
      - .offset:         848
        .size:           8
        .value_kind:     by_value
      - .offset:         856
        .size:           4
        .value_kind:     hidden_block_count_x
      - .offset:         860
        .size:           4
        .value_kind:     hidden_block_count_y
      - .offset:         864
        .size:           4
        .value_kind:     hidden_block_count_z
      - .offset:         868
        .size:           2
        .value_kind:     hidden_group_size_x
      - .offset:         870
        .size:           2
        .value_kind:     hidden_group_size_y
      - .offset:         872
        .size:           2
        .value_kind:     hidden_group_size_z
      - .offset:         874
        .size:           2
        .value_kind:     hidden_remainder_x
      - .offset:         876
        .size:           2
        .value_kind:     hidden_remainder_y
      - .offset:         878
        .size:           2
        .value_kind:     hidden_remainder_z
      - .offset:         896
        .size:           8
        .value_kind:     hidden_global_offset_x
      - .offset:         904
        .size:           8
        .value_kind:     hidden_global_offset_y
      - .offset:         912
        .size:           8
        .value_kind:     hidden_global_offset_z
      - .offset:         920
        .size:           2
        .value_kind:     hidden_grid_dims
    .group_segment_fixed_size: 0
    .kernarg_segment_align: 8
    .kernarg_segment_size: 1112
    .language:       OpenCL C
    .language_version:
      - 2
      - 0
    .max_flat_workgroup_size: 128
    .name:           _ZN2at6native16triu_tril_kernelIhlLb1ELi4ELb0EEEvNS_4cuda6detail10TensorInfoIT_T0_EENS4_IKS5_S6_EEllS6_
    .private_segment_fixed_size: 0
    .sgpr_count:     49
    .sgpr_spill_count: 0
    .symbol:         _ZN2at6native16triu_tril_kernelIhlLb1ELi4ELb0EEEvNS_4cuda6detail10TensorInfoIT_T0_EENS4_IKS5_S6_EEllS6_.kd
    .uniform_work_group_size: 1
    .uses_dynamic_stack: false
    .vgpr_count:     26
    .vgpr_spill_count: 0
    .wavefront_size: 32
    .workgroup_processor_mode: 1
  - .args:
      - .offset:         0
        .size:           216
        .value_kind:     by_value
      - .offset:         216
        .size:           216
        .value_kind:     by_value
      - .offset:         432
        .size:           8
        .value_kind:     by_value
      - .offset:         440
        .size:           8
        .value_kind:     by_value
      - .offset:         448
        .size:           4
        .value_kind:     by_value
      - .offset:         456
        .size:           4
        .value_kind:     hidden_block_count_x
      - .offset:         460
        .size:           4
        .value_kind:     hidden_block_count_y
      - .offset:         464
        .size:           4
        .value_kind:     hidden_block_count_z
      - .offset:         468
        .size:           2
        .value_kind:     hidden_group_size_x
      - .offset:         470
        .size:           2
        .value_kind:     hidden_group_size_y
      - .offset:         472
        .size:           2
        .value_kind:     hidden_group_size_z
      - .offset:         474
        .size:           2
        .value_kind:     hidden_remainder_x
      - .offset:         476
        .size:           2
        .value_kind:     hidden_remainder_y
      - .offset:         478
        .size:           2
        .value_kind:     hidden_remainder_z
      - .offset:         496
        .size:           8
        .value_kind:     hidden_global_offset_x
      - .offset:         504
        .size:           8
        .value_kind:     hidden_global_offset_y
      - .offset:         512
        .size:           8
        .value_kind:     hidden_global_offset_z
      - .offset:         520
        .size:           2
        .value_kind:     hidden_grid_dims
    .group_segment_fixed_size: 0
    .kernarg_segment_align: 8
    .kernarg_segment_size: 712
    .language:       OpenCL C
    .language_version:
      - 2
      - 0
    .max_flat_workgroup_size: 128
    .name:           _ZN2at6native16triu_tril_kernelIaiLb1ELi4ELb1EEEvNS_4cuda6detail10TensorInfoIT_T0_EENS4_IKS5_S6_EEllS6_
    .private_segment_fixed_size: 0
    .sgpr_count:     58
    .sgpr_spill_count: 0
    .symbol:         _ZN2at6native16triu_tril_kernelIaiLb1ELi4ELb1EEEvNS_4cuda6detail10TensorInfoIT_T0_EENS4_IKS5_S6_EEllS6_.kd
    .uniform_work_group_size: 1
    .uses_dynamic_stack: false
    .vgpr_count:     31
    .vgpr_spill_count: 0
    .wavefront_size: 32
    .workgroup_processor_mode: 1
  - .args:
      - .offset:         0
        .size:           216
        .value_kind:     by_value
      - .offset:         216
        .size:           216
        .value_kind:     by_value
      - .offset:         432
        .size:           8
        .value_kind:     by_value
      - .offset:         440
        .size:           8
        .value_kind:     by_value
      - .offset:         448
        .size:           4
        .value_kind:     by_value
      - .offset:         456
        .size:           4
        .value_kind:     hidden_block_count_x
      - .offset:         460
        .size:           4
        .value_kind:     hidden_block_count_y
      - .offset:         464
        .size:           4
        .value_kind:     hidden_block_count_z
      - .offset:         468
        .size:           2
        .value_kind:     hidden_group_size_x
      - .offset:         470
        .size:           2
        .value_kind:     hidden_group_size_y
      - .offset:         472
        .size:           2
        .value_kind:     hidden_group_size_z
      - .offset:         474
        .size:           2
        .value_kind:     hidden_remainder_x
      - .offset:         476
        .size:           2
        .value_kind:     hidden_remainder_y
      - .offset:         478
        .size:           2
        .value_kind:     hidden_remainder_z
      - .offset:         496
        .size:           8
        .value_kind:     hidden_global_offset_x
      - .offset:         504
        .size:           8
        .value_kind:     hidden_global_offset_y
      - .offset:         512
        .size:           8
        .value_kind:     hidden_global_offset_z
      - .offset:         520
        .size:           2
        .value_kind:     hidden_grid_dims
    .group_segment_fixed_size: 0
    .kernarg_segment_align: 8
    .kernarg_segment_size: 712
    .language:       OpenCL C
    .language_version:
      - 2
      - 0
    .max_flat_workgroup_size: 128
    .name:           _ZN2at6native16triu_tril_kernelIaiLb1ELi4ELb0EEEvNS_4cuda6detail10TensorInfoIT_T0_EENS4_IKS5_S6_EEllS6_
    .private_segment_fixed_size: 0
    .sgpr_count:     56
    .sgpr_spill_count: 0
    .symbol:         _ZN2at6native16triu_tril_kernelIaiLb1ELi4ELb0EEEvNS_4cuda6detail10TensorInfoIT_T0_EENS4_IKS5_S6_EEllS6_.kd
    .uniform_work_group_size: 1
    .uses_dynamic_stack: false
    .vgpr_count:     25
    .vgpr_spill_count: 0
    .wavefront_size: 32
    .workgroup_processor_mode: 1
  - .args:
      - .offset:         0
        .size:           416
        .value_kind:     by_value
      - .offset:         416
        .size:           416
        .value_kind:     by_value
      - .offset:         832
        .size:           8
        .value_kind:     by_value
      - .offset:         840
        .size:           8
        .value_kind:     by_value
      - .offset:         848
        .size:           8
        .value_kind:     by_value
      - .offset:         856
        .size:           4
        .value_kind:     hidden_block_count_x
      - .offset:         860
        .size:           4
        .value_kind:     hidden_block_count_y
      - .offset:         864
        .size:           4
        .value_kind:     hidden_block_count_z
      - .offset:         868
        .size:           2
        .value_kind:     hidden_group_size_x
      - .offset:         870
        .size:           2
        .value_kind:     hidden_group_size_y
      - .offset:         872
        .size:           2
        .value_kind:     hidden_group_size_z
      - .offset:         874
        .size:           2
        .value_kind:     hidden_remainder_x
      - .offset:         876
        .size:           2
        .value_kind:     hidden_remainder_y
      - .offset:         878
        .size:           2
        .value_kind:     hidden_remainder_z
      - .offset:         896
        .size:           8
        .value_kind:     hidden_global_offset_x
      - .offset:         904
        .size:           8
        .value_kind:     hidden_global_offset_y
      - .offset:         912
        .size:           8
        .value_kind:     hidden_global_offset_z
      - .offset:         920
        .size:           2
        .value_kind:     hidden_grid_dims
    .group_segment_fixed_size: 0
    .kernarg_segment_align: 8
    .kernarg_segment_size: 1112
    .language:       OpenCL C
    .language_version:
      - 2
      - 0
    .max_flat_workgroup_size: 128
    .name:           _ZN2at6native16triu_tril_kernelIalLb1ELi4ELb1EEEvNS_4cuda6detail10TensorInfoIT_T0_EENS4_IKS5_S6_EEllS6_
    .private_segment_fixed_size: 0
    .sgpr_count:     48
    .sgpr_spill_count: 0
    .symbol:         _ZN2at6native16triu_tril_kernelIalLb1ELi4ELb1EEEvNS_4cuda6detail10TensorInfoIT_T0_EENS4_IKS5_S6_EEllS6_.kd
    .uniform_work_group_size: 1
    .uses_dynamic_stack: false
    .vgpr_count:     24
    .vgpr_spill_count: 0
    .wavefront_size: 32
    .workgroup_processor_mode: 1
  - .args:
      - .offset:         0
        .size:           416
        .value_kind:     by_value
      - .offset:         416
        .size:           416
        .value_kind:     by_value
      - .offset:         832
        .size:           8
        .value_kind:     by_value
      - .offset:         840
        .size:           8
        .value_kind:     by_value
      - .offset:         848
        .size:           8
        .value_kind:     by_value
      - .offset:         856
        .size:           4
        .value_kind:     hidden_block_count_x
      - .offset:         860
        .size:           4
        .value_kind:     hidden_block_count_y
      - .offset:         864
        .size:           4
        .value_kind:     hidden_block_count_z
      - .offset:         868
        .size:           2
        .value_kind:     hidden_group_size_x
      - .offset:         870
        .size:           2
        .value_kind:     hidden_group_size_y
      - .offset:         872
        .size:           2
        .value_kind:     hidden_group_size_z
      - .offset:         874
        .size:           2
        .value_kind:     hidden_remainder_x
      - .offset:         876
        .size:           2
        .value_kind:     hidden_remainder_y
      - .offset:         878
        .size:           2
        .value_kind:     hidden_remainder_z
      - .offset:         896
        .size:           8
        .value_kind:     hidden_global_offset_x
      - .offset:         904
        .size:           8
        .value_kind:     hidden_global_offset_y
      - .offset:         912
        .size:           8
        .value_kind:     hidden_global_offset_z
      - .offset:         920
        .size:           2
        .value_kind:     hidden_grid_dims
    .group_segment_fixed_size: 0
    .kernarg_segment_align: 8
    .kernarg_segment_size: 1112
    .language:       OpenCL C
    .language_version:
      - 2
      - 0
    .max_flat_workgroup_size: 128
    .name:           _ZN2at6native16triu_tril_kernelIalLb1ELi4ELb0EEEvNS_4cuda6detail10TensorInfoIT_T0_EENS4_IKS5_S6_EEllS6_
    .private_segment_fixed_size: 0
    .sgpr_count:     49
    .sgpr_spill_count: 0
    .symbol:         _ZN2at6native16triu_tril_kernelIalLb1ELi4ELb0EEEvNS_4cuda6detail10TensorInfoIT_T0_EENS4_IKS5_S6_EEllS6_.kd
    .uniform_work_group_size: 1
    .uses_dynamic_stack: false
    .vgpr_count:     26
    .vgpr_spill_count: 0
    .wavefront_size: 32
    .workgroup_processor_mode: 1
  - .args:
      - .offset:         0
        .size:           216
        .value_kind:     by_value
      - .offset:         216
        .size:           216
        .value_kind:     by_value
      - .offset:         432
        .size:           8
        .value_kind:     by_value
      - .offset:         440
        .size:           8
        .value_kind:     by_value
      - .offset:         448
        .size:           4
        .value_kind:     by_value
      - .offset:         456
        .size:           4
        .value_kind:     hidden_block_count_x
      - .offset:         460
        .size:           4
        .value_kind:     hidden_block_count_y
      - .offset:         464
        .size:           4
        .value_kind:     hidden_block_count_z
      - .offset:         468
        .size:           2
        .value_kind:     hidden_group_size_x
      - .offset:         470
        .size:           2
        .value_kind:     hidden_group_size_y
      - .offset:         472
        .size:           2
        .value_kind:     hidden_group_size_z
      - .offset:         474
        .size:           2
        .value_kind:     hidden_remainder_x
      - .offset:         476
        .size:           2
        .value_kind:     hidden_remainder_y
      - .offset:         478
        .size:           2
        .value_kind:     hidden_remainder_z
      - .offset:         496
        .size:           8
        .value_kind:     hidden_global_offset_x
      - .offset:         504
        .size:           8
        .value_kind:     hidden_global_offset_y
      - .offset:         512
        .size:           8
        .value_kind:     hidden_global_offset_z
      - .offset:         520
        .size:           2
        .value_kind:     hidden_grid_dims
    .group_segment_fixed_size: 0
    .kernarg_segment_align: 8
    .kernarg_segment_size: 712
    .language:       OpenCL C
    .language_version:
      - 2
      - 0
    .max_flat_workgroup_size: 128
    .name:           _ZN2at6native16triu_tril_kernelIiiLb1ELi2ELb1EEEvNS_4cuda6detail10TensorInfoIT_T0_EENS4_IKS5_S6_EEllS6_
    .private_segment_fixed_size: 0
    .sgpr_count:     58
    .sgpr_spill_count: 0
    .symbol:         _ZN2at6native16triu_tril_kernelIiiLb1ELi2ELb1EEEvNS_4cuda6detail10TensorInfoIT_T0_EENS4_IKS5_S6_EEllS6_.kd
    .uniform_work_group_size: 1
    .uses_dynamic_stack: false
    .vgpr_count:     31
    .vgpr_spill_count: 0
    .wavefront_size: 32
    .workgroup_processor_mode: 1
  - .args:
      - .offset:         0
        .size:           216
        .value_kind:     by_value
      - .offset:         216
        .size:           216
        .value_kind:     by_value
      - .offset:         432
        .size:           8
        .value_kind:     by_value
      - .offset:         440
        .size:           8
        .value_kind:     by_value
      - .offset:         448
        .size:           4
        .value_kind:     by_value
      - .offset:         456
        .size:           4
        .value_kind:     hidden_block_count_x
      - .offset:         460
        .size:           4
        .value_kind:     hidden_block_count_y
      - .offset:         464
        .size:           4
        .value_kind:     hidden_block_count_z
      - .offset:         468
        .size:           2
        .value_kind:     hidden_group_size_x
      - .offset:         470
        .size:           2
        .value_kind:     hidden_group_size_y
      - .offset:         472
        .size:           2
        .value_kind:     hidden_group_size_z
      - .offset:         474
        .size:           2
        .value_kind:     hidden_remainder_x
      - .offset:         476
        .size:           2
        .value_kind:     hidden_remainder_y
      - .offset:         478
        .size:           2
        .value_kind:     hidden_remainder_z
      - .offset:         496
        .size:           8
        .value_kind:     hidden_global_offset_x
      - .offset:         504
        .size:           8
        .value_kind:     hidden_global_offset_y
      - .offset:         512
        .size:           8
        .value_kind:     hidden_global_offset_z
      - .offset:         520
        .size:           2
        .value_kind:     hidden_grid_dims
    .group_segment_fixed_size: 0
    .kernarg_segment_align: 8
    .kernarg_segment_size: 712
    .language:       OpenCL C
    .language_version:
      - 2
      - 0
    .max_flat_workgroup_size: 128
    .name:           _ZN2at6native16triu_tril_kernelIiiLb1ELi2ELb0EEEvNS_4cuda6detail10TensorInfoIT_T0_EENS4_IKS5_S6_EEllS6_
    .private_segment_fixed_size: 0
    .sgpr_count:     56
    .sgpr_spill_count: 0
    .symbol:         _ZN2at6native16triu_tril_kernelIiiLb1ELi2ELb0EEEvNS_4cuda6detail10TensorInfoIT_T0_EENS4_IKS5_S6_EEllS6_.kd
    .uniform_work_group_size: 1
    .uses_dynamic_stack: false
    .vgpr_count:     25
    .vgpr_spill_count: 0
    .wavefront_size: 32
    .workgroup_processor_mode: 1
  - .args:
      - .offset:         0
        .size:           416
        .value_kind:     by_value
      - .offset:         416
        .size:           416
        .value_kind:     by_value
      - .offset:         832
        .size:           8
        .value_kind:     by_value
      - .offset:         840
        .size:           8
        .value_kind:     by_value
      - .offset:         848
        .size:           8
        .value_kind:     by_value
      - .offset:         856
        .size:           4
        .value_kind:     hidden_block_count_x
      - .offset:         860
        .size:           4
        .value_kind:     hidden_block_count_y
      - .offset:         864
        .size:           4
        .value_kind:     hidden_block_count_z
      - .offset:         868
        .size:           2
        .value_kind:     hidden_group_size_x
      - .offset:         870
        .size:           2
        .value_kind:     hidden_group_size_y
      - .offset:         872
        .size:           2
        .value_kind:     hidden_group_size_z
      - .offset:         874
        .size:           2
        .value_kind:     hidden_remainder_x
      - .offset:         876
        .size:           2
        .value_kind:     hidden_remainder_y
      - .offset:         878
        .size:           2
        .value_kind:     hidden_remainder_z
      - .offset:         896
        .size:           8
        .value_kind:     hidden_global_offset_x
      - .offset:         904
        .size:           8
        .value_kind:     hidden_global_offset_y
      - .offset:         912
        .size:           8
        .value_kind:     hidden_global_offset_z
      - .offset:         920
        .size:           2
        .value_kind:     hidden_grid_dims
    .group_segment_fixed_size: 0
    .kernarg_segment_align: 8
    .kernarg_segment_size: 1112
    .language:       OpenCL C
    .language_version:
      - 2
      - 0
    .max_flat_workgroup_size: 128
    .name:           _ZN2at6native16triu_tril_kernelIilLb1ELi2ELb1EEEvNS_4cuda6detail10TensorInfoIT_T0_EENS4_IKS5_S6_EEllS6_
    .private_segment_fixed_size: 0
    .sgpr_count:     48
    .sgpr_spill_count: 0
    .symbol:         _ZN2at6native16triu_tril_kernelIilLb1ELi2ELb1EEEvNS_4cuda6detail10TensorInfoIT_T0_EENS4_IKS5_S6_EEllS6_.kd
    .uniform_work_group_size: 1
    .uses_dynamic_stack: false
    .vgpr_count:     24
    .vgpr_spill_count: 0
    .wavefront_size: 32
    .workgroup_processor_mode: 1
  - .args:
      - .offset:         0
        .size:           416
        .value_kind:     by_value
      - .offset:         416
        .size:           416
        .value_kind:     by_value
      - .offset:         832
        .size:           8
        .value_kind:     by_value
      - .offset:         840
        .size:           8
        .value_kind:     by_value
      - .offset:         848
        .size:           8
        .value_kind:     by_value
      - .offset:         856
        .size:           4
        .value_kind:     hidden_block_count_x
      - .offset:         860
        .size:           4
        .value_kind:     hidden_block_count_y
      - .offset:         864
        .size:           4
        .value_kind:     hidden_block_count_z
      - .offset:         868
        .size:           2
        .value_kind:     hidden_group_size_x
      - .offset:         870
        .size:           2
        .value_kind:     hidden_group_size_y
      - .offset:         872
        .size:           2
        .value_kind:     hidden_group_size_z
      - .offset:         874
        .size:           2
        .value_kind:     hidden_remainder_x
      - .offset:         876
        .size:           2
        .value_kind:     hidden_remainder_y
      - .offset:         878
        .size:           2
        .value_kind:     hidden_remainder_z
      - .offset:         896
        .size:           8
        .value_kind:     hidden_global_offset_x
      - .offset:         904
        .size:           8
        .value_kind:     hidden_global_offset_y
      - .offset:         912
        .size:           8
        .value_kind:     hidden_global_offset_z
      - .offset:         920
        .size:           2
        .value_kind:     hidden_grid_dims
    .group_segment_fixed_size: 0
    .kernarg_segment_align: 8
    .kernarg_segment_size: 1112
    .language:       OpenCL C
    .language_version:
      - 2
      - 0
    .max_flat_workgroup_size: 128
    .name:           _ZN2at6native16triu_tril_kernelIilLb1ELi2ELb0EEEvNS_4cuda6detail10TensorInfoIT_T0_EENS4_IKS5_S6_EEllS6_
    .private_segment_fixed_size: 0
    .sgpr_count:     49
    .sgpr_spill_count: 0
    .symbol:         _ZN2at6native16triu_tril_kernelIilLb1ELi2ELb0EEEvNS_4cuda6detail10TensorInfoIT_T0_EENS4_IKS5_S6_EEllS6_.kd
    .uniform_work_group_size: 1
    .uses_dynamic_stack: false
    .vgpr_count:     26
    .vgpr_spill_count: 0
    .wavefront_size: 32
    .workgroup_processor_mode: 1
  - .args:
      - .offset:         0
        .size:           216
        .value_kind:     by_value
      - .offset:         216
        .size:           216
        .value_kind:     by_value
      - .offset:         432
        .size:           8
        .value_kind:     by_value
      - .offset:         440
        .size:           8
        .value_kind:     by_value
      - .offset:         448
        .size:           4
        .value_kind:     by_value
      - .offset:         456
        .size:           4
        .value_kind:     hidden_block_count_x
      - .offset:         460
        .size:           4
        .value_kind:     hidden_block_count_y
      - .offset:         464
        .size:           4
        .value_kind:     hidden_block_count_z
      - .offset:         468
        .size:           2
        .value_kind:     hidden_group_size_x
      - .offset:         470
        .size:           2
        .value_kind:     hidden_group_size_y
      - .offset:         472
        .size:           2
        .value_kind:     hidden_group_size_z
      - .offset:         474
        .size:           2
        .value_kind:     hidden_remainder_x
      - .offset:         476
        .size:           2
        .value_kind:     hidden_remainder_y
      - .offset:         478
        .size:           2
        .value_kind:     hidden_remainder_z
      - .offset:         496
        .size:           8
        .value_kind:     hidden_global_offset_x
      - .offset:         504
        .size:           8
        .value_kind:     hidden_global_offset_y
      - .offset:         512
        .size:           8
        .value_kind:     hidden_global_offset_z
      - .offset:         520
        .size:           2
        .value_kind:     hidden_grid_dims
    .group_segment_fixed_size: 0
    .kernarg_segment_align: 8
    .kernarg_segment_size: 712
    .language:       OpenCL C
    .language_version:
      - 2
      - 0
    .max_flat_workgroup_size: 128
    .name:           _ZN2at6native16triu_tril_kernelIliLb1ELi2ELb1EEEvNS_4cuda6detail10TensorInfoIT_T0_EENS4_IKS5_S6_EEllS6_
    .private_segment_fixed_size: 0
    .sgpr_count:     58
    .sgpr_spill_count: 0
    .symbol:         _ZN2at6native16triu_tril_kernelIliLb1ELi2ELb1EEEvNS_4cuda6detail10TensorInfoIT_T0_EENS4_IKS5_S6_EEllS6_.kd
    .uniform_work_group_size: 1
    .uses_dynamic_stack: false
    .vgpr_count:     31
    .vgpr_spill_count: 0
    .wavefront_size: 32
    .workgroup_processor_mode: 1
  - .args:
      - .offset:         0
        .size:           216
        .value_kind:     by_value
      - .offset:         216
        .size:           216
        .value_kind:     by_value
      - .offset:         432
        .size:           8
        .value_kind:     by_value
      - .offset:         440
        .size:           8
        .value_kind:     by_value
      - .offset:         448
        .size:           4
        .value_kind:     by_value
      - .offset:         456
        .size:           4
        .value_kind:     hidden_block_count_x
      - .offset:         460
        .size:           4
        .value_kind:     hidden_block_count_y
      - .offset:         464
        .size:           4
        .value_kind:     hidden_block_count_z
      - .offset:         468
        .size:           2
        .value_kind:     hidden_group_size_x
      - .offset:         470
        .size:           2
        .value_kind:     hidden_group_size_y
      - .offset:         472
        .size:           2
        .value_kind:     hidden_group_size_z
      - .offset:         474
        .size:           2
        .value_kind:     hidden_remainder_x
      - .offset:         476
        .size:           2
        .value_kind:     hidden_remainder_y
      - .offset:         478
        .size:           2
        .value_kind:     hidden_remainder_z
      - .offset:         496
        .size:           8
        .value_kind:     hidden_global_offset_x
      - .offset:         504
        .size:           8
        .value_kind:     hidden_global_offset_y
      - .offset:         512
        .size:           8
        .value_kind:     hidden_global_offset_z
      - .offset:         520
        .size:           2
        .value_kind:     hidden_grid_dims
    .group_segment_fixed_size: 0
    .kernarg_segment_align: 8
    .kernarg_segment_size: 712
    .language:       OpenCL C
    .language_version:
      - 2
      - 0
    .max_flat_workgroup_size: 128
    .name:           _ZN2at6native16triu_tril_kernelIliLb1ELi2ELb0EEEvNS_4cuda6detail10TensorInfoIT_T0_EENS4_IKS5_S6_EEllS6_
    .private_segment_fixed_size: 0
    .sgpr_count:     56
    .sgpr_spill_count: 0
    .symbol:         _ZN2at6native16triu_tril_kernelIliLb1ELi2ELb0EEEvNS_4cuda6detail10TensorInfoIT_T0_EENS4_IKS5_S6_EEllS6_.kd
    .uniform_work_group_size: 1
    .uses_dynamic_stack: false
    .vgpr_count:     25
    .vgpr_spill_count: 0
    .wavefront_size: 32
    .workgroup_processor_mode: 1
  - .args:
      - .offset:         0
        .size:           416
        .value_kind:     by_value
      - .offset:         416
        .size:           416
        .value_kind:     by_value
      - .offset:         832
        .size:           8
        .value_kind:     by_value
      - .offset:         840
        .size:           8
        .value_kind:     by_value
      - .offset:         848
        .size:           8
        .value_kind:     by_value
      - .offset:         856
        .size:           4
        .value_kind:     hidden_block_count_x
      - .offset:         860
        .size:           4
        .value_kind:     hidden_block_count_y
      - .offset:         864
        .size:           4
        .value_kind:     hidden_block_count_z
      - .offset:         868
        .size:           2
        .value_kind:     hidden_group_size_x
      - .offset:         870
        .size:           2
        .value_kind:     hidden_group_size_y
      - .offset:         872
        .size:           2
        .value_kind:     hidden_group_size_z
      - .offset:         874
        .size:           2
        .value_kind:     hidden_remainder_x
      - .offset:         876
        .size:           2
        .value_kind:     hidden_remainder_y
      - .offset:         878
        .size:           2
        .value_kind:     hidden_remainder_z
      - .offset:         896
        .size:           8
        .value_kind:     hidden_global_offset_x
      - .offset:         904
        .size:           8
        .value_kind:     hidden_global_offset_y
      - .offset:         912
        .size:           8
        .value_kind:     hidden_global_offset_z
      - .offset:         920
        .size:           2
        .value_kind:     hidden_grid_dims
    .group_segment_fixed_size: 0
    .kernarg_segment_align: 8
    .kernarg_segment_size: 1112
    .language:       OpenCL C
    .language_version:
      - 2
      - 0
    .max_flat_workgroup_size: 128
    .name:           _ZN2at6native16triu_tril_kernelIllLb1ELi2ELb1EEEvNS_4cuda6detail10TensorInfoIT_T0_EENS4_IKS5_S6_EEllS6_
    .private_segment_fixed_size: 0
    .sgpr_count:     48
    .sgpr_spill_count: 0
    .symbol:         _ZN2at6native16triu_tril_kernelIllLb1ELi2ELb1EEEvNS_4cuda6detail10TensorInfoIT_T0_EENS4_IKS5_S6_EEllS6_.kd
    .uniform_work_group_size: 1
    .uses_dynamic_stack: false
    .vgpr_count:     24
    .vgpr_spill_count: 0
    .wavefront_size: 32
    .workgroup_processor_mode: 1
  - .args:
      - .offset:         0
        .size:           416
        .value_kind:     by_value
      - .offset:         416
        .size:           416
        .value_kind:     by_value
      - .offset:         832
        .size:           8
        .value_kind:     by_value
      - .offset:         840
        .size:           8
        .value_kind:     by_value
      - .offset:         848
        .size:           8
        .value_kind:     by_value
      - .offset:         856
        .size:           4
        .value_kind:     hidden_block_count_x
      - .offset:         860
        .size:           4
        .value_kind:     hidden_block_count_y
      - .offset:         864
        .size:           4
        .value_kind:     hidden_block_count_z
      - .offset:         868
        .size:           2
        .value_kind:     hidden_group_size_x
      - .offset:         870
        .size:           2
        .value_kind:     hidden_group_size_y
      - .offset:         872
        .size:           2
        .value_kind:     hidden_group_size_z
      - .offset:         874
        .size:           2
        .value_kind:     hidden_remainder_x
      - .offset:         876
        .size:           2
        .value_kind:     hidden_remainder_y
      - .offset:         878
        .size:           2
        .value_kind:     hidden_remainder_z
      - .offset:         896
        .size:           8
        .value_kind:     hidden_global_offset_x
      - .offset:         904
        .size:           8
        .value_kind:     hidden_global_offset_y
      - .offset:         912
        .size:           8
        .value_kind:     hidden_global_offset_z
      - .offset:         920
        .size:           2
        .value_kind:     hidden_grid_dims
    .group_segment_fixed_size: 0
    .kernarg_segment_align: 8
    .kernarg_segment_size: 1112
    .language:       OpenCL C
    .language_version:
      - 2
      - 0
    .max_flat_workgroup_size: 128
    .name:           _ZN2at6native16triu_tril_kernelIllLb1ELi2ELb0EEEvNS_4cuda6detail10TensorInfoIT_T0_EENS4_IKS5_S6_EEllS6_
    .private_segment_fixed_size: 0
    .sgpr_count:     49
    .sgpr_spill_count: 0
    .symbol:         _ZN2at6native16triu_tril_kernelIllLb1ELi2ELb0EEEvNS_4cuda6detail10TensorInfoIT_T0_EENS4_IKS5_S6_EEllS6_.kd
    .uniform_work_group_size: 1
    .uses_dynamic_stack: false
    .vgpr_count:     26
    .vgpr_spill_count: 0
    .wavefront_size: 32
    .workgroup_processor_mode: 1
  - .args:
      - .offset:         0
        .size:           216
        .value_kind:     by_value
      - .offset:         216
        .size:           216
        .value_kind:     by_value
      - .offset:         432
        .size:           8
        .value_kind:     by_value
      - .offset:         440
        .size:           8
        .value_kind:     by_value
      - .offset:         448
        .size:           4
        .value_kind:     by_value
      - .offset:         456
        .size:           4
        .value_kind:     hidden_block_count_x
      - .offset:         460
        .size:           4
        .value_kind:     hidden_block_count_y
      - .offset:         464
        .size:           4
        .value_kind:     hidden_block_count_z
      - .offset:         468
        .size:           2
        .value_kind:     hidden_group_size_x
      - .offset:         470
        .size:           2
        .value_kind:     hidden_group_size_y
      - .offset:         472
        .size:           2
        .value_kind:     hidden_group_size_z
      - .offset:         474
        .size:           2
        .value_kind:     hidden_remainder_x
      - .offset:         476
        .size:           2
        .value_kind:     hidden_remainder_y
      - .offset:         478
        .size:           2
        .value_kind:     hidden_remainder_z
      - .offset:         496
        .size:           8
        .value_kind:     hidden_global_offset_x
      - .offset:         504
        .size:           8
        .value_kind:     hidden_global_offset_y
      - .offset:         512
        .size:           8
        .value_kind:     hidden_global_offset_z
      - .offset:         520
        .size:           2
        .value_kind:     hidden_grid_dims
    .group_segment_fixed_size: 0
    .kernarg_segment_align: 8
    .kernarg_segment_size: 712
    .language:       OpenCL C
    .language_version:
      - 2
      - 0
    .max_flat_workgroup_size: 128
    .name:           _ZN2at6native16triu_tril_kernelIsiLb1ELi4ELb1EEEvNS_4cuda6detail10TensorInfoIT_T0_EENS4_IKS5_S6_EEllS6_
    .private_segment_fixed_size: 0
    .sgpr_count:     58
    .sgpr_spill_count: 0
    .symbol:         _ZN2at6native16triu_tril_kernelIsiLb1ELi4ELb1EEEvNS_4cuda6detail10TensorInfoIT_T0_EENS4_IKS5_S6_EEllS6_.kd
    .uniform_work_group_size: 1
    .uses_dynamic_stack: false
    .vgpr_count:     31
    .vgpr_spill_count: 0
    .wavefront_size: 32
    .workgroup_processor_mode: 1
  - .args:
      - .offset:         0
        .size:           216
        .value_kind:     by_value
      - .offset:         216
        .size:           216
        .value_kind:     by_value
      - .offset:         432
        .size:           8
        .value_kind:     by_value
      - .offset:         440
        .size:           8
        .value_kind:     by_value
      - .offset:         448
        .size:           4
        .value_kind:     by_value
      - .offset:         456
        .size:           4
        .value_kind:     hidden_block_count_x
      - .offset:         460
        .size:           4
        .value_kind:     hidden_block_count_y
      - .offset:         464
        .size:           4
        .value_kind:     hidden_block_count_z
      - .offset:         468
        .size:           2
        .value_kind:     hidden_group_size_x
      - .offset:         470
        .size:           2
        .value_kind:     hidden_group_size_y
      - .offset:         472
        .size:           2
        .value_kind:     hidden_group_size_z
      - .offset:         474
        .size:           2
        .value_kind:     hidden_remainder_x
      - .offset:         476
        .size:           2
        .value_kind:     hidden_remainder_y
      - .offset:         478
        .size:           2
        .value_kind:     hidden_remainder_z
      - .offset:         496
        .size:           8
        .value_kind:     hidden_global_offset_x
      - .offset:         504
        .size:           8
        .value_kind:     hidden_global_offset_y
      - .offset:         512
        .size:           8
        .value_kind:     hidden_global_offset_z
      - .offset:         520
        .size:           2
        .value_kind:     hidden_grid_dims
    .group_segment_fixed_size: 0
    .kernarg_segment_align: 8
    .kernarg_segment_size: 712
    .language:       OpenCL C
    .language_version:
      - 2
      - 0
    .max_flat_workgroup_size: 128
    .name:           _ZN2at6native16triu_tril_kernelIsiLb1ELi4ELb0EEEvNS_4cuda6detail10TensorInfoIT_T0_EENS4_IKS5_S6_EEllS6_
    .private_segment_fixed_size: 0
    .sgpr_count:     64
    .sgpr_spill_count: 0
    .symbol:         _ZN2at6native16triu_tril_kernelIsiLb1ELi4ELb0EEEvNS_4cuda6detail10TensorInfoIT_T0_EENS4_IKS5_S6_EEllS6_.kd
    .uniform_work_group_size: 1
    .uses_dynamic_stack: false
    .vgpr_count:     25
    .vgpr_spill_count: 0
    .wavefront_size: 32
    .workgroup_processor_mode: 1
  - .args:
      - .offset:         0
        .size:           416
        .value_kind:     by_value
      - .offset:         416
        .size:           416
        .value_kind:     by_value
      - .offset:         832
        .size:           8
        .value_kind:     by_value
      - .offset:         840
        .size:           8
        .value_kind:     by_value
      - .offset:         848
        .size:           8
        .value_kind:     by_value
      - .offset:         856
        .size:           4
        .value_kind:     hidden_block_count_x
      - .offset:         860
        .size:           4
        .value_kind:     hidden_block_count_y
      - .offset:         864
        .size:           4
        .value_kind:     hidden_block_count_z
      - .offset:         868
        .size:           2
        .value_kind:     hidden_group_size_x
      - .offset:         870
        .size:           2
        .value_kind:     hidden_group_size_y
      - .offset:         872
        .size:           2
        .value_kind:     hidden_group_size_z
      - .offset:         874
        .size:           2
        .value_kind:     hidden_remainder_x
      - .offset:         876
        .size:           2
        .value_kind:     hidden_remainder_y
      - .offset:         878
        .size:           2
        .value_kind:     hidden_remainder_z
      - .offset:         896
        .size:           8
        .value_kind:     hidden_global_offset_x
      - .offset:         904
        .size:           8
        .value_kind:     hidden_global_offset_y
      - .offset:         912
        .size:           8
        .value_kind:     hidden_global_offset_z
      - .offset:         920
        .size:           2
        .value_kind:     hidden_grid_dims
    .group_segment_fixed_size: 0
    .kernarg_segment_align: 8
    .kernarg_segment_size: 1112
    .language:       OpenCL C
    .language_version:
      - 2
      - 0
    .max_flat_workgroup_size: 128
    .name:           _ZN2at6native16triu_tril_kernelIslLb1ELi4ELb1EEEvNS_4cuda6detail10TensorInfoIT_T0_EENS4_IKS5_S6_EEllS6_
    .private_segment_fixed_size: 0
    .sgpr_count:     48
    .sgpr_spill_count: 0
    .symbol:         _ZN2at6native16triu_tril_kernelIslLb1ELi4ELb1EEEvNS_4cuda6detail10TensorInfoIT_T0_EENS4_IKS5_S6_EEllS6_.kd
    .uniform_work_group_size: 1
    .uses_dynamic_stack: false
    .vgpr_count:     24
    .vgpr_spill_count: 0
    .wavefront_size: 32
    .workgroup_processor_mode: 1
  - .args:
      - .offset:         0
        .size:           416
        .value_kind:     by_value
      - .offset:         416
        .size:           416
        .value_kind:     by_value
      - .offset:         832
        .size:           8
        .value_kind:     by_value
      - .offset:         840
        .size:           8
        .value_kind:     by_value
      - .offset:         848
        .size:           8
        .value_kind:     by_value
      - .offset:         856
        .size:           4
        .value_kind:     hidden_block_count_x
      - .offset:         860
        .size:           4
        .value_kind:     hidden_block_count_y
      - .offset:         864
        .size:           4
        .value_kind:     hidden_block_count_z
      - .offset:         868
        .size:           2
        .value_kind:     hidden_group_size_x
      - .offset:         870
        .size:           2
        .value_kind:     hidden_group_size_y
      - .offset:         872
        .size:           2
        .value_kind:     hidden_group_size_z
      - .offset:         874
        .size:           2
        .value_kind:     hidden_remainder_x
      - .offset:         876
        .size:           2
        .value_kind:     hidden_remainder_y
      - .offset:         878
        .size:           2
        .value_kind:     hidden_remainder_z
      - .offset:         896
        .size:           8
        .value_kind:     hidden_global_offset_x
      - .offset:         904
        .size:           8
        .value_kind:     hidden_global_offset_y
      - .offset:         912
        .size:           8
        .value_kind:     hidden_global_offset_z
      - .offset:         920
        .size:           2
        .value_kind:     hidden_grid_dims
    .group_segment_fixed_size: 0
    .kernarg_segment_align: 8
    .kernarg_segment_size: 1112
    .language:       OpenCL C
    .language_version:
      - 2
      - 0
    .max_flat_workgroup_size: 128
    .name:           _ZN2at6native16triu_tril_kernelIslLb1ELi4ELb0EEEvNS_4cuda6detail10TensorInfoIT_T0_EENS4_IKS5_S6_EEllS6_
    .private_segment_fixed_size: 0
    .sgpr_count:     64
    .sgpr_spill_count: 0
    .symbol:         _ZN2at6native16triu_tril_kernelIslLb1ELi4ELb0EEEvNS_4cuda6detail10TensorInfoIT_T0_EENS4_IKS5_S6_EEllS6_.kd
    .uniform_work_group_size: 1
    .uses_dynamic_stack: false
    .vgpr_count:     26
    .vgpr_spill_count: 0
    .wavefront_size: 32
    .workgroup_processor_mode: 1
  - .args:
      - .offset:         0
        .size:           216
        .value_kind:     by_value
      - .offset:         216
        .size:           216
        .value_kind:     by_value
      - .offset:         432
        .size:           8
        .value_kind:     by_value
      - .offset:         440
        .size:           8
        .value_kind:     by_value
      - .offset:         448
        .size:           4
        .value_kind:     by_value
      - .offset:         456
        .size:           4
        .value_kind:     hidden_block_count_x
      - .offset:         460
        .size:           4
        .value_kind:     hidden_block_count_y
      - .offset:         464
        .size:           4
        .value_kind:     hidden_block_count_z
      - .offset:         468
        .size:           2
        .value_kind:     hidden_group_size_x
      - .offset:         470
        .size:           2
        .value_kind:     hidden_group_size_y
      - .offset:         472
        .size:           2
        .value_kind:     hidden_group_size_z
      - .offset:         474
        .size:           2
        .value_kind:     hidden_remainder_x
      - .offset:         476
        .size:           2
        .value_kind:     hidden_remainder_y
      - .offset:         478
        .size:           2
        .value_kind:     hidden_remainder_z
      - .offset:         496
        .size:           8
        .value_kind:     hidden_global_offset_x
      - .offset:         504
        .size:           8
        .value_kind:     hidden_global_offset_y
      - .offset:         512
        .size:           8
        .value_kind:     hidden_global_offset_z
      - .offset:         520
        .size:           2
        .value_kind:     hidden_grid_dims
    .group_segment_fixed_size: 0
    .kernarg_segment_align: 8
    .kernarg_segment_size: 712
    .language:       OpenCL C
    .language_version:
      - 2
      - 0
    .max_flat_workgroup_size: 128
    .name:           _ZN2at6native16triu_tril_kernelIdiLb1ELi2ELb1EEEvNS_4cuda6detail10TensorInfoIT_T0_EENS4_IKS5_S6_EEllS6_
    .private_segment_fixed_size: 0
    .sgpr_count:     58
    .sgpr_spill_count: 0
    .symbol:         _ZN2at6native16triu_tril_kernelIdiLb1ELi2ELb1EEEvNS_4cuda6detail10TensorInfoIT_T0_EENS4_IKS5_S6_EEllS6_.kd
    .uniform_work_group_size: 1
    .uses_dynamic_stack: false
    .vgpr_count:     31
    .vgpr_spill_count: 0
    .wavefront_size: 32
    .workgroup_processor_mode: 1
  - .args:
      - .offset:         0
        .size:           216
        .value_kind:     by_value
      - .offset:         216
        .size:           216
        .value_kind:     by_value
      - .offset:         432
        .size:           8
        .value_kind:     by_value
      - .offset:         440
        .size:           8
        .value_kind:     by_value
      - .offset:         448
        .size:           4
        .value_kind:     by_value
      - .offset:         456
        .size:           4
        .value_kind:     hidden_block_count_x
      - .offset:         460
        .size:           4
        .value_kind:     hidden_block_count_y
      - .offset:         464
        .size:           4
        .value_kind:     hidden_block_count_z
      - .offset:         468
        .size:           2
        .value_kind:     hidden_group_size_x
      - .offset:         470
        .size:           2
        .value_kind:     hidden_group_size_y
      - .offset:         472
        .size:           2
        .value_kind:     hidden_group_size_z
      - .offset:         474
        .size:           2
        .value_kind:     hidden_remainder_x
      - .offset:         476
        .size:           2
        .value_kind:     hidden_remainder_y
      - .offset:         478
        .size:           2
        .value_kind:     hidden_remainder_z
      - .offset:         496
        .size:           8
        .value_kind:     hidden_global_offset_x
      - .offset:         504
        .size:           8
        .value_kind:     hidden_global_offset_y
      - .offset:         512
        .size:           8
        .value_kind:     hidden_global_offset_z
      - .offset:         520
        .size:           2
        .value_kind:     hidden_grid_dims
    .group_segment_fixed_size: 0
    .kernarg_segment_align: 8
    .kernarg_segment_size: 712
    .language:       OpenCL C
    .language_version:
      - 2
      - 0
    .max_flat_workgroup_size: 128
    .name:           _ZN2at6native16triu_tril_kernelIdiLb1ELi2ELb0EEEvNS_4cuda6detail10TensorInfoIT_T0_EENS4_IKS5_S6_EEllS6_
    .private_segment_fixed_size: 0
    .sgpr_count:     56
    .sgpr_spill_count: 0
    .symbol:         _ZN2at6native16triu_tril_kernelIdiLb1ELi2ELb0EEEvNS_4cuda6detail10TensorInfoIT_T0_EENS4_IKS5_S6_EEllS6_.kd
    .uniform_work_group_size: 1
    .uses_dynamic_stack: false
    .vgpr_count:     25
    .vgpr_spill_count: 0
    .wavefront_size: 32
    .workgroup_processor_mode: 1
  - .args:
      - .offset:         0
        .size:           416
        .value_kind:     by_value
      - .offset:         416
        .size:           416
        .value_kind:     by_value
      - .offset:         832
        .size:           8
        .value_kind:     by_value
      - .offset:         840
        .size:           8
        .value_kind:     by_value
      - .offset:         848
        .size:           8
        .value_kind:     by_value
      - .offset:         856
        .size:           4
        .value_kind:     hidden_block_count_x
      - .offset:         860
        .size:           4
        .value_kind:     hidden_block_count_y
      - .offset:         864
        .size:           4
        .value_kind:     hidden_block_count_z
      - .offset:         868
        .size:           2
        .value_kind:     hidden_group_size_x
      - .offset:         870
        .size:           2
        .value_kind:     hidden_group_size_y
      - .offset:         872
        .size:           2
        .value_kind:     hidden_group_size_z
      - .offset:         874
        .size:           2
        .value_kind:     hidden_remainder_x
      - .offset:         876
        .size:           2
        .value_kind:     hidden_remainder_y
      - .offset:         878
        .size:           2
        .value_kind:     hidden_remainder_z
      - .offset:         896
        .size:           8
        .value_kind:     hidden_global_offset_x
      - .offset:         904
        .size:           8
        .value_kind:     hidden_global_offset_y
      - .offset:         912
        .size:           8
        .value_kind:     hidden_global_offset_z
      - .offset:         920
        .size:           2
        .value_kind:     hidden_grid_dims
    .group_segment_fixed_size: 0
    .kernarg_segment_align: 8
    .kernarg_segment_size: 1112
    .language:       OpenCL C
    .language_version:
      - 2
      - 0
    .max_flat_workgroup_size: 128
    .name:           _ZN2at6native16triu_tril_kernelIdlLb1ELi2ELb1EEEvNS_4cuda6detail10TensorInfoIT_T0_EENS4_IKS5_S6_EEllS6_
    .private_segment_fixed_size: 0
    .sgpr_count:     48
    .sgpr_spill_count: 0
    .symbol:         _ZN2at6native16triu_tril_kernelIdlLb1ELi2ELb1EEEvNS_4cuda6detail10TensorInfoIT_T0_EENS4_IKS5_S6_EEllS6_.kd
    .uniform_work_group_size: 1
    .uses_dynamic_stack: false
    .vgpr_count:     24
    .vgpr_spill_count: 0
    .wavefront_size: 32
    .workgroup_processor_mode: 1
  - .args:
      - .offset:         0
        .size:           416
        .value_kind:     by_value
      - .offset:         416
        .size:           416
        .value_kind:     by_value
      - .offset:         832
        .size:           8
        .value_kind:     by_value
      - .offset:         840
        .size:           8
        .value_kind:     by_value
      - .offset:         848
        .size:           8
        .value_kind:     by_value
      - .offset:         856
        .size:           4
        .value_kind:     hidden_block_count_x
      - .offset:         860
        .size:           4
        .value_kind:     hidden_block_count_y
      - .offset:         864
        .size:           4
        .value_kind:     hidden_block_count_z
      - .offset:         868
        .size:           2
        .value_kind:     hidden_group_size_x
      - .offset:         870
        .size:           2
        .value_kind:     hidden_group_size_y
      - .offset:         872
        .size:           2
        .value_kind:     hidden_group_size_z
      - .offset:         874
        .size:           2
        .value_kind:     hidden_remainder_x
      - .offset:         876
        .size:           2
        .value_kind:     hidden_remainder_y
      - .offset:         878
        .size:           2
        .value_kind:     hidden_remainder_z
      - .offset:         896
        .size:           8
        .value_kind:     hidden_global_offset_x
      - .offset:         904
        .size:           8
        .value_kind:     hidden_global_offset_y
      - .offset:         912
        .size:           8
        .value_kind:     hidden_global_offset_z
      - .offset:         920
        .size:           2
        .value_kind:     hidden_grid_dims
    .group_segment_fixed_size: 0
    .kernarg_segment_align: 8
    .kernarg_segment_size: 1112
    .language:       OpenCL C
    .language_version:
      - 2
      - 0
    .max_flat_workgroup_size: 128
    .name:           _ZN2at6native16triu_tril_kernelIdlLb1ELi2ELb0EEEvNS_4cuda6detail10TensorInfoIT_T0_EENS4_IKS5_S6_EEllS6_
    .private_segment_fixed_size: 0
    .sgpr_count:     49
    .sgpr_spill_count: 0
    .symbol:         _ZN2at6native16triu_tril_kernelIdlLb1ELi2ELb0EEEvNS_4cuda6detail10TensorInfoIT_T0_EENS4_IKS5_S6_EEllS6_.kd
    .uniform_work_group_size: 1
    .uses_dynamic_stack: false
    .vgpr_count:     26
    .vgpr_spill_count: 0
    .wavefront_size: 32
    .workgroup_processor_mode: 1
  - .args:
      - .offset:         0
        .size:           216
        .value_kind:     by_value
      - .offset:         216
        .size:           216
        .value_kind:     by_value
      - .offset:         432
        .size:           8
        .value_kind:     by_value
      - .offset:         440
        .size:           8
        .value_kind:     by_value
      - .offset:         448
        .size:           4
        .value_kind:     by_value
      - .offset:         456
        .size:           4
        .value_kind:     hidden_block_count_x
      - .offset:         460
        .size:           4
        .value_kind:     hidden_block_count_y
      - .offset:         464
        .size:           4
        .value_kind:     hidden_block_count_z
      - .offset:         468
        .size:           2
        .value_kind:     hidden_group_size_x
      - .offset:         470
        .size:           2
        .value_kind:     hidden_group_size_y
      - .offset:         472
        .size:           2
        .value_kind:     hidden_group_size_z
      - .offset:         474
        .size:           2
        .value_kind:     hidden_remainder_x
      - .offset:         476
        .size:           2
        .value_kind:     hidden_remainder_y
      - .offset:         478
        .size:           2
        .value_kind:     hidden_remainder_z
      - .offset:         496
        .size:           8
        .value_kind:     hidden_global_offset_x
      - .offset:         504
        .size:           8
        .value_kind:     hidden_global_offset_y
      - .offset:         512
        .size:           8
        .value_kind:     hidden_global_offset_z
      - .offset:         520
        .size:           2
        .value_kind:     hidden_grid_dims
    .group_segment_fixed_size: 0
    .kernarg_segment_align: 8
    .kernarg_segment_size: 712
    .language:       OpenCL C
    .language_version:
      - 2
      - 0
    .max_flat_workgroup_size: 128
    .name:           _ZN2at6native16triu_tril_kernelIfiLb1ELi2ELb1EEEvNS_4cuda6detail10TensorInfoIT_T0_EENS4_IKS5_S6_EEllS6_
    .private_segment_fixed_size: 0
    .sgpr_count:     58
    .sgpr_spill_count: 0
    .symbol:         _ZN2at6native16triu_tril_kernelIfiLb1ELi2ELb1EEEvNS_4cuda6detail10TensorInfoIT_T0_EENS4_IKS5_S6_EEllS6_.kd
    .uniform_work_group_size: 1
    .uses_dynamic_stack: false
    .vgpr_count:     31
    .vgpr_spill_count: 0
    .wavefront_size: 32
    .workgroup_processor_mode: 1
  - .args:
      - .offset:         0
        .size:           216
        .value_kind:     by_value
      - .offset:         216
        .size:           216
        .value_kind:     by_value
      - .offset:         432
        .size:           8
        .value_kind:     by_value
      - .offset:         440
        .size:           8
        .value_kind:     by_value
      - .offset:         448
        .size:           4
        .value_kind:     by_value
      - .offset:         456
        .size:           4
        .value_kind:     hidden_block_count_x
      - .offset:         460
        .size:           4
        .value_kind:     hidden_block_count_y
      - .offset:         464
        .size:           4
        .value_kind:     hidden_block_count_z
      - .offset:         468
        .size:           2
        .value_kind:     hidden_group_size_x
      - .offset:         470
        .size:           2
        .value_kind:     hidden_group_size_y
      - .offset:         472
        .size:           2
        .value_kind:     hidden_group_size_z
      - .offset:         474
        .size:           2
        .value_kind:     hidden_remainder_x
      - .offset:         476
        .size:           2
        .value_kind:     hidden_remainder_y
      - .offset:         478
        .size:           2
        .value_kind:     hidden_remainder_z
      - .offset:         496
        .size:           8
        .value_kind:     hidden_global_offset_x
      - .offset:         504
        .size:           8
        .value_kind:     hidden_global_offset_y
      - .offset:         512
        .size:           8
        .value_kind:     hidden_global_offset_z
      - .offset:         520
        .size:           2
        .value_kind:     hidden_grid_dims
    .group_segment_fixed_size: 0
    .kernarg_segment_align: 8
    .kernarg_segment_size: 712
    .language:       OpenCL C
    .language_version:
      - 2
      - 0
    .max_flat_workgroup_size: 128
    .name:           _ZN2at6native16triu_tril_kernelIfiLb1ELi2ELb0EEEvNS_4cuda6detail10TensorInfoIT_T0_EENS4_IKS5_S6_EEllS6_
    .private_segment_fixed_size: 0
    .sgpr_count:     56
    .sgpr_spill_count: 0
    .symbol:         _ZN2at6native16triu_tril_kernelIfiLb1ELi2ELb0EEEvNS_4cuda6detail10TensorInfoIT_T0_EENS4_IKS5_S6_EEllS6_.kd
    .uniform_work_group_size: 1
    .uses_dynamic_stack: false
    .vgpr_count:     25
    .vgpr_spill_count: 0
    .wavefront_size: 32
    .workgroup_processor_mode: 1
  - .args:
      - .offset:         0
        .size:           416
        .value_kind:     by_value
      - .offset:         416
        .size:           416
        .value_kind:     by_value
      - .offset:         832
        .size:           8
        .value_kind:     by_value
      - .offset:         840
        .size:           8
        .value_kind:     by_value
      - .offset:         848
        .size:           8
        .value_kind:     by_value
      - .offset:         856
        .size:           4
        .value_kind:     hidden_block_count_x
      - .offset:         860
        .size:           4
        .value_kind:     hidden_block_count_y
      - .offset:         864
        .size:           4
        .value_kind:     hidden_block_count_z
      - .offset:         868
        .size:           2
        .value_kind:     hidden_group_size_x
      - .offset:         870
        .size:           2
        .value_kind:     hidden_group_size_y
      - .offset:         872
        .size:           2
        .value_kind:     hidden_group_size_z
      - .offset:         874
        .size:           2
        .value_kind:     hidden_remainder_x
      - .offset:         876
        .size:           2
        .value_kind:     hidden_remainder_y
      - .offset:         878
        .size:           2
        .value_kind:     hidden_remainder_z
      - .offset:         896
        .size:           8
        .value_kind:     hidden_global_offset_x
      - .offset:         904
        .size:           8
        .value_kind:     hidden_global_offset_y
      - .offset:         912
        .size:           8
        .value_kind:     hidden_global_offset_z
      - .offset:         920
        .size:           2
        .value_kind:     hidden_grid_dims
    .group_segment_fixed_size: 0
    .kernarg_segment_align: 8
    .kernarg_segment_size: 1112
    .language:       OpenCL C
    .language_version:
      - 2
      - 0
    .max_flat_workgroup_size: 128
    .name:           _ZN2at6native16triu_tril_kernelIflLb1ELi2ELb1EEEvNS_4cuda6detail10TensorInfoIT_T0_EENS4_IKS5_S6_EEllS6_
    .private_segment_fixed_size: 0
    .sgpr_count:     48
    .sgpr_spill_count: 0
    .symbol:         _ZN2at6native16triu_tril_kernelIflLb1ELi2ELb1EEEvNS_4cuda6detail10TensorInfoIT_T0_EENS4_IKS5_S6_EEllS6_.kd
    .uniform_work_group_size: 1
    .uses_dynamic_stack: false
    .vgpr_count:     24
    .vgpr_spill_count: 0
    .wavefront_size: 32
    .workgroup_processor_mode: 1
  - .args:
      - .offset:         0
        .size:           416
        .value_kind:     by_value
      - .offset:         416
        .size:           416
        .value_kind:     by_value
      - .offset:         832
        .size:           8
        .value_kind:     by_value
      - .offset:         840
        .size:           8
        .value_kind:     by_value
      - .offset:         848
        .size:           8
        .value_kind:     by_value
      - .offset:         856
        .size:           4
        .value_kind:     hidden_block_count_x
      - .offset:         860
        .size:           4
        .value_kind:     hidden_block_count_y
      - .offset:         864
        .size:           4
        .value_kind:     hidden_block_count_z
      - .offset:         868
        .size:           2
        .value_kind:     hidden_group_size_x
      - .offset:         870
        .size:           2
        .value_kind:     hidden_group_size_y
      - .offset:         872
        .size:           2
        .value_kind:     hidden_group_size_z
      - .offset:         874
        .size:           2
        .value_kind:     hidden_remainder_x
      - .offset:         876
        .size:           2
        .value_kind:     hidden_remainder_y
      - .offset:         878
        .size:           2
        .value_kind:     hidden_remainder_z
      - .offset:         896
        .size:           8
        .value_kind:     hidden_global_offset_x
      - .offset:         904
        .size:           8
        .value_kind:     hidden_global_offset_y
      - .offset:         912
        .size:           8
        .value_kind:     hidden_global_offset_z
      - .offset:         920
        .size:           2
        .value_kind:     hidden_grid_dims
    .group_segment_fixed_size: 0
    .kernarg_segment_align: 8
    .kernarg_segment_size: 1112
    .language:       OpenCL C
    .language_version:
      - 2
      - 0
    .max_flat_workgroup_size: 128
    .name:           _ZN2at6native16triu_tril_kernelIflLb1ELi2ELb0EEEvNS_4cuda6detail10TensorInfoIT_T0_EENS4_IKS5_S6_EEllS6_
    .private_segment_fixed_size: 0
    .sgpr_count:     49
    .sgpr_spill_count: 0
    .symbol:         _ZN2at6native16triu_tril_kernelIflLb1ELi2ELb0EEEvNS_4cuda6detail10TensorInfoIT_T0_EENS4_IKS5_S6_EEllS6_.kd
    .uniform_work_group_size: 1
    .uses_dynamic_stack: false
    .vgpr_count:     26
    .vgpr_spill_count: 0
    .wavefront_size: 32
    .workgroup_processor_mode: 1
  - .args:
      - .offset:         0
        .size:           216
        .value_kind:     by_value
      - .offset:         216
        .size:           216
        .value_kind:     by_value
      - .offset:         432
        .size:           8
        .value_kind:     by_value
      - .offset:         440
        .size:           8
        .value_kind:     by_value
      - .offset:         448
        .size:           4
        .value_kind:     by_value
      - .offset:         456
        .size:           4
        .value_kind:     hidden_block_count_x
      - .offset:         460
        .size:           4
        .value_kind:     hidden_block_count_y
      - .offset:         464
        .size:           4
        .value_kind:     hidden_block_count_z
      - .offset:         468
        .size:           2
        .value_kind:     hidden_group_size_x
      - .offset:         470
        .size:           2
        .value_kind:     hidden_group_size_y
      - .offset:         472
        .size:           2
        .value_kind:     hidden_group_size_z
      - .offset:         474
        .size:           2
        .value_kind:     hidden_remainder_x
      - .offset:         476
        .size:           2
        .value_kind:     hidden_remainder_y
      - .offset:         478
        .size:           2
        .value_kind:     hidden_remainder_z
      - .offset:         496
        .size:           8
        .value_kind:     hidden_global_offset_x
      - .offset:         504
        .size:           8
        .value_kind:     hidden_global_offset_y
      - .offset:         512
        .size:           8
        .value_kind:     hidden_global_offset_z
      - .offset:         520
        .size:           2
        .value_kind:     hidden_grid_dims
    .group_segment_fixed_size: 0
    .kernarg_segment_align: 8
    .kernarg_segment_size: 712
    .language:       OpenCL C
    .language_version:
      - 2
      - 0
    .max_flat_workgroup_size: 128
    .name:           _ZN2at6native16triu_tril_kernelIN3c107complexIdEEiLb1ELi1ELb1EEEvNS_4cuda6detail10TensorInfoIT_T0_EENS7_IKS8_S9_EEllS9_
    .private_segment_fixed_size: 0
    .sgpr_count:     57
    .sgpr_spill_count: 0
    .symbol:         _ZN2at6native16triu_tril_kernelIN3c107complexIdEEiLb1ELi1ELb1EEEvNS_4cuda6detail10TensorInfoIT_T0_EENS7_IKS8_S9_EEllS9_.kd
    .uniform_work_group_size: 1
    .uses_dynamic_stack: false
    .vgpr_count:     30
    .vgpr_spill_count: 0
    .wavefront_size: 32
    .workgroup_processor_mode: 1
  - .args:
      - .offset:         0
        .size:           216
        .value_kind:     by_value
      - .offset:         216
        .size:           216
        .value_kind:     by_value
      - .offset:         432
        .size:           8
        .value_kind:     by_value
      - .offset:         440
        .size:           8
        .value_kind:     by_value
      - .offset:         448
        .size:           4
        .value_kind:     by_value
      - .offset:         456
        .size:           4
        .value_kind:     hidden_block_count_x
      - .offset:         460
        .size:           4
        .value_kind:     hidden_block_count_y
      - .offset:         464
        .size:           4
        .value_kind:     hidden_block_count_z
      - .offset:         468
        .size:           2
        .value_kind:     hidden_group_size_x
      - .offset:         470
        .size:           2
        .value_kind:     hidden_group_size_y
      - .offset:         472
        .size:           2
        .value_kind:     hidden_group_size_z
      - .offset:         474
        .size:           2
        .value_kind:     hidden_remainder_x
      - .offset:         476
        .size:           2
        .value_kind:     hidden_remainder_y
      - .offset:         478
        .size:           2
        .value_kind:     hidden_remainder_z
      - .offset:         496
        .size:           8
        .value_kind:     hidden_global_offset_x
      - .offset:         504
        .size:           8
        .value_kind:     hidden_global_offset_y
      - .offset:         512
        .size:           8
        .value_kind:     hidden_global_offset_z
      - .offset:         520
        .size:           2
        .value_kind:     hidden_grid_dims
    .group_segment_fixed_size: 0
    .kernarg_segment_align: 8
    .kernarg_segment_size: 712
    .language:       OpenCL C
    .language_version:
      - 2
      - 0
    .max_flat_workgroup_size: 128
    .name:           _ZN2at6native16triu_tril_kernelIN3c107complexIdEEiLb1ELi1ELb0EEEvNS_4cuda6detail10TensorInfoIT_T0_EENS7_IKS8_S9_EEllS9_
    .private_segment_fixed_size: 0
    .sgpr_count:     54
    .sgpr_spill_count: 0
    .symbol:         _ZN2at6native16triu_tril_kernelIN3c107complexIdEEiLb1ELi1ELb0EEEvNS_4cuda6detail10TensorInfoIT_T0_EENS7_IKS8_S9_EEllS9_.kd
    .uniform_work_group_size: 1
    .uses_dynamic_stack: false
    .vgpr_count:     25
    .vgpr_spill_count: 0
    .wavefront_size: 32
    .workgroup_processor_mode: 1
  - .args:
      - .offset:         0
        .size:           416
        .value_kind:     by_value
      - .offset:         416
        .size:           416
        .value_kind:     by_value
      - .offset:         832
        .size:           8
        .value_kind:     by_value
      - .offset:         840
        .size:           8
        .value_kind:     by_value
      - .offset:         848
        .size:           8
        .value_kind:     by_value
      - .offset:         856
        .size:           4
        .value_kind:     hidden_block_count_x
      - .offset:         860
        .size:           4
        .value_kind:     hidden_block_count_y
      - .offset:         864
        .size:           4
        .value_kind:     hidden_block_count_z
      - .offset:         868
        .size:           2
        .value_kind:     hidden_group_size_x
      - .offset:         870
        .size:           2
        .value_kind:     hidden_group_size_y
      - .offset:         872
        .size:           2
        .value_kind:     hidden_group_size_z
      - .offset:         874
        .size:           2
        .value_kind:     hidden_remainder_x
      - .offset:         876
        .size:           2
        .value_kind:     hidden_remainder_y
      - .offset:         878
        .size:           2
        .value_kind:     hidden_remainder_z
      - .offset:         896
        .size:           8
        .value_kind:     hidden_global_offset_x
      - .offset:         904
        .size:           8
        .value_kind:     hidden_global_offset_y
      - .offset:         912
        .size:           8
        .value_kind:     hidden_global_offset_z
      - .offset:         920
        .size:           2
        .value_kind:     hidden_grid_dims
    .group_segment_fixed_size: 0
    .kernarg_segment_align: 8
    .kernarg_segment_size: 1112
    .language:       OpenCL C
    .language_version:
      - 2
      - 0
    .max_flat_workgroup_size: 128
    .name:           _ZN2at6native16triu_tril_kernelIN3c107complexIdEElLb1ELi1ELb1EEEvNS_4cuda6detail10TensorInfoIT_T0_EENS7_IKS8_S9_EEllS9_
    .private_segment_fixed_size: 0
    .sgpr_count:     45
    .sgpr_spill_count: 0
    .symbol:         _ZN2at6native16triu_tril_kernelIN3c107complexIdEElLb1ELi1ELb1EEEvNS_4cuda6detail10TensorInfoIT_T0_EENS7_IKS8_S9_EEllS9_.kd
    .uniform_work_group_size: 1
    .uses_dynamic_stack: false
    .vgpr_count:     22
    .vgpr_spill_count: 0
    .wavefront_size: 32
    .workgroup_processor_mode: 1
  - .args:
      - .offset:         0
        .size:           416
        .value_kind:     by_value
      - .offset:         416
        .size:           416
        .value_kind:     by_value
      - .offset:         832
        .size:           8
        .value_kind:     by_value
      - .offset:         840
        .size:           8
        .value_kind:     by_value
      - .offset:         848
        .size:           8
        .value_kind:     by_value
      - .offset:         856
        .size:           4
        .value_kind:     hidden_block_count_x
      - .offset:         860
        .size:           4
        .value_kind:     hidden_block_count_y
      - .offset:         864
        .size:           4
        .value_kind:     hidden_block_count_z
      - .offset:         868
        .size:           2
        .value_kind:     hidden_group_size_x
      - .offset:         870
        .size:           2
        .value_kind:     hidden_group_size_y
      - .offset:         872
        .size:           2
        .value_kind:     hidden_group_size_z
      - .offset:         874
        .size:           2
        .value_kind:     hidden_remainder_x
      - .offset:         876
        .size:           2
        .value_kind:     hidden_remainder_y
      - .offset:         878
        .size:           2
        .value_kind:     hidden_remainder_z
      - .offset:         896
        .size:           8
        .value_kind:     hidden_global_offset_x
      - .offset:         904
        .size:           8
        .value_kind:     hidden_global_offset_y
      - .offset:         912
        .size:           8
        .value_kind:     hidden_global_offset_z
      - .offset:         920
        .size:           2
        .value_kind:     hidden_grid_dims
    .group_segment_fixed_size: 0
    .kernarg_segment_align: 8
    .kernarg_segment_size: 1112
    .language:       OpenCL C
    .language_version:
      - 2
      - 0
    .max_flat_workgroup_size: 128
    .name:           _ZN2at6native16triu_tril_kernelIN3c107complexIdEElLb1ELi1ELb0EEEvNS_4cuda6detail10TensorInfoIT_T0_EENS7_IKS8_S9_EEllS9_
    .private_segment_fixed_size: 0
    .sgpr_count:     49
    .sgpr_spill_count: 0
    .symbol:         _ZN2at6native16triu_tril_kernelIN3c107complexIdEElLb1ELi1ELb0EEEvNS_4cuda6detail10TensorInfoIT_T0_EENS7_IKS8_S9_EEllS9_.kd
    .uniform_work_group_size: 1
    .uses_dynamic_stack: false
    .vgpr_count:     26
    .vgpr_spill_count: 0
    .wavefront_size: 32
    .workgroup_processor_mode: 1
  - .args:
      - .offset:         0
        .size:           216
        .value_kind:     by_value
      - .offset:         216
        .size:           216
        .value_kind:     by_value
      - .offset:         432
        .size:           8
        .value_kind:     by_value
      - .offset:         440
        .size:           8
        .value_kind:     by_value
      - .offset:         448
        .size:           4
        .value_kind:     by_value
      - .offset:         456
        .size:           4
        .value_kind:     hidden_block_count_x
      - .offset:         460
        .size:           4
        .value_kind:     hidden_block_count_y
      - .offset:         464
        .size:           4
        .value_kind:     hidden_block_count_z
      - .offset:         468
        .size:           2
        .value_kind:     hidden_group_size_x
      - .offset:         470
        .size:           2
        .value_kind:     hidden_group_size_y
      - .offset:         472
        .size:           2
        .value_kind:     hidden_group_size_z
      - .offset:         474
        .size:           2
        .value_kind:     hidden_remainder_x
      - .offset:         476
        .size:           2
        .value_kind:     hidden_remainder_y
      - .offset:         478
        .size:           2
        .value_kind:     hidden_remainder_z
      - .offset:         496
        .size:           8
        .value_kind:     hidden_global_offset_x
      - .offset:         504
        .size:           8
        .value_kind:     hidden_global_offset_y
      - .offset:         512
        .size:           8
        .value_kind:     hidden_global_offset_z
      - .offset:         520
        .size:           2
        .value_kind:     hidden_grid_dims
    .group_segment_fixed_size: 0
    .kernarg_segment_align: 8
    .kernarg_segment_size: 712
    .language:       OpenCL C
    .language_version:
      - 2
      - 0
    .max_flat_workgroup_size: 128
    .name:           _ZN2at6native16triu_tril_kernelIN3c107complexIfEEiLb1ELi2ELb1EEEvNS_4cuda6detail10TensorInfoIT_T0_EENS7_IKS8_S9_EEllS9_
    .private_segment_fixed_size: 0
    .sgpr_count:     58
    .sgpr_spill_count: 0
    .symbol:         _ZN2at6native16triu_tril_kernelIN3c107complexIfEEiLb1ELi2ELb1EEEvNS_4cuda6detail10TensorInfoIT_T0_EENS7_IKS8_S9_EEllS9_.kd
    .uniform_work_group_size: 1
    .uses_dynamic_stack: false
    .vgpr_count:     31
    .vgpr_spill_count: 0
    .wavefront_size: 32
    .workgroup_processor_mode: 1
  - .args:
      - .offset:         0
        .size:           216
        .value_kind:     by_value
      - .offset:         216
        .size:           216
        .value_kind:     by_value
      - .offset:         432
        .size:           8
        .value_kind:     by_value
      - .offset:         440
        .size:           8
        .value_kind:     by_value
      - .offset:         448
        .size:           4
        .value_kind:     by_value
      - .offset:         456
        .size:           4
        .value_kind:     hidden_block_count_x
      - .offset:         460
        .size:           4
        .value_kind:     hidden_block_count_y
      - .offset:         464
        .size:           4
        .value_kind:     hidden_block_count_z
      - .offset:         468
        .size:           2
        .value_kind:     hidden_group_size_x
      - .offset:         470
        .size:           2
        .value_kind:     hidden_group_size_y
      - .offset:         472
        .size:           2
        .value_kind:     hidden_group_size_z
      - .offset:         474
        .size:           2
        .value_kind:     hidden_remainder_x
      - .offset:         476
        .size:           2
        .value_kind:     hidden_remainder_y
      - .offset:         478
        .size:           2
        .value_kind:     hidden_remainder_z
      - .offset:         496
        .size:           8
        .value_kind:     hidden_global_offset_x
      - .offset:         504
        .size:           8
        .value_kind:     hidden_global_offset_y
      - .offset:         512
        .size:           8
        .value_kind:     hidden_global_offset_z
      - .offset:         520
        .size:           2
        .value_kind:     hidden_grid_dims
    .group_segment_fixed_size: 0
    .kernarg_segment_align: 8
    .kernarg_segment_size: 712
    .language:       OpenCL C
    .language_version:
      - 2
      - 0
    .max_flat_workgroup_size: 128
    .name:           _ZN2at6native16triu_tril_kernelIN3c107complexIfEEiLb1ELi2ELb0EEEvNS_4cuda6detail10TensorInfoIT_T0_EENS7_IKS8_S9_EEllS9_
    .private_segment_fixed_size: 0
    .sgpr_count:     56
    .sgpr_spill_count: 0
    .symbol:         _ZN2at6native16triu_tril_kernelIN3c107complexIfEEiLb1ELi2ELb0EEEvNS_4cuda6detail10TensorInfoIT_T0_EENS7_IKS8_S9_EEllS9_.kd
    .uniform_work_group_size: 1
    .uses_dynamic_stack: false
    .vgpr_count:     25
    .vgpr_spill_count: 0
    .wavefront_size: 32
    .workgroup_processor_mode: 1
  - .args:
      - .offset:         0
        .size:           416
        .value_kind:     by_value
      - .offset:         416
        .size:           416
        .value_kind:     by_value
      - .offset:         832
        .size:           8
        .value_kind:     by_value
      - .offset:         840
        .size:           8
        .value_kind:     by_value
      - .offset:         848
        .size:           8
        .value_kind:     by_value
      - .offset:         856
        .size:           4
        .value_kind:     hidden_block_count_x
      - .offset:         860
        .size:           4
        .value_kind:     hidden_block_count_y
      - .offset:         864
        .size:           4
        .value_kind:     hidden_block_count_z
      - .offset:         868
        .size:           2
        .value_kind:     hidden_group_size_x
      - .offset:         870
        .size:           2
        .value_kind:     hidden_group_size_y
      - .offset:         872
        .size:           2
        .value_kind:     hidden_group_size_z
      - .offset:         874
        .size:           2
        .value_kind:     hidden_remainder_x
      - .offset:         876
        .size:           2
        .value_kind:     hidden_remainder_y
      - .offset:         878
        .size:           2
        .value_kind:     hidden_remainder_z
      - .offset:         896
        .size:           8
        .value_kind:     hidden_global_offset_x
      - .offset:         904
        .size:           8
        .value_kind:     hidden_global_offset_y
      - .offset:         912
        .size:           8
        .value_kind:     hidden_global_offset_z
      - .offset:         920
        .size:           2
        .value_kind:     hidden_grid_dims
    .group_segment_fixed_size: 0
    .kernarg_segment_align: 8
    .kernarg_segment_size: 1112
    .language:       OpenCL C
    .language_version:
      - 2
      - 0
    .max_flat_workgroup_size: 128
    .name:           _ZN2at6native16triu_tril_kernelIN3c107complexIfEElLb1ELi2ELb1EEEvNS_4cuda6detail10TensorInfoIT_T0_EENS7_IKS8_S9_EEllS9_
    .private_segment_fixed_size: 0
    .sgpr_count:     48
    .sgpr_spill_count: 0
    .symbol:         _ZN2at6native16triu_tril_kernelIN3c107complexIfEElLb1ELi2ELb1EEEvNS_4cuda6detail10TensorInfoIT_T0_EENS7_IKS8_S9_EEllS9_.kd
    .uniform_work_group_size: 1
    .uses_dynamic_stack: false
    .vgpr_count:     24
    .vgpr_spill_count: 0
    .wavefront_size: 32
    .workgroup_processor_mode: 1
  - .args:
      - .offset:         0
        .size:           416
        .value_kind:     by_value
      - .offset:         416
        .size:           416
        .value_kind:     by_value
      - .offset:         832
        .size:           8
        .value_kind:     by_value
      - .offset:         840
        .size:           8
        .value_kind:     by_value
      - .offset:         848
        .size:           8
        .value_kind:     by_value
      - .offset:         856
        .size:           4
        .value_kind:     hidden_block_count_x
      - .offset:         860
        .size:           4
        .value_kind:     hidden_block_count_y
      - .offset:         864
        .size:           4
        .value_kind:     hidden_block_count_z
      - .offset:         868
        .size:           2
        .value_kind:     hidden_group_size_x
      - .offset:         870
        .size:           2
        .value_kind:     hidden_group_size_y
      - .offset:         872
        .size:           2
        .value_kind:     hidden_group_size_z
      - .offset:         874
        .size:           2
        .value_kind:     hidden_remainder_x
      - .offset:         876
        .size:           2
        .value_kind:     hidden_remainder_y
      - .offset:         878
        .size:           2
        .value_kind:     hidden_remainder_z
      - .offset:         896
        .size:           8
        .value_kind:     hidden_global_offset_x
      - .offset:         904
        .size:           8
        .value_kind:     hidden_global_offset_y
      - .offset:         912
        .size:           8
        .value_kind:     hidden_global_offset_z
      - .offset:         920
        .size:           2
        .value_kind:     hidden_grid_dims
    .group_segment_fixed_size: 0
    .kernarg_segment_align: 8
    .kernarg_segment_size: 1112
    .language:       OpenCL C
    .language_version:
      - 2
      - 0
    .max_flat_workgroup_size: 128
    .name:           _ZN2at6native16triu_tril_kernelIN3c107complexIfEElLb1ELi2ELb0EEEvNS_4cuda6detail10TensorInfoIT_T0_EENS7_IKS8_S9_EEllS9_
    .private_segment_fixed_size: 0
    .sgpr_count:     49
    .sgpr_spill_count: 0
    .symbol:         _ZN2at6native16triu_tril_kernelIN3c107complexIfEElLb1ELi2ELb0EEEvNS_4cuda6detail10TensorInfoIT_T0_EENS7_IKS8_S9_EEllS9_.kd
    .uniform_work_group_size: 1
    .uses_dynamic_stack: false
    .vgpr_count:     26
    .vgpr_spill_count: 0
    .wavefront_size: 32
    .workgroup_processor_mode: 1
  - .args:
      - .offset:         0
        .size:           216
        .value_kind:     by_value
      - .offset:         216
        .size:           216
        .value_kind:     by_value
      - .offset:         432
        .size:           8
        .value_kind:     by_value
      - .offset:         440
        .size:           8
        .value_kind:     by_value
      - .offset:         448
        .size:           4
        .value_kind:     by_value
      - .offset:         456
        .size:           4
        .value_kind:     hidden_block_count_x
      - .offset:         460
        .size:           4
        .value_kind:     hidden_block_count_y
      - .offset:         464
        .size:           4
        .value_kind:     hidden_block_count_z
      - .offset:         468
        .size:           2
        .value_kind:     hidden_group_size_x
      - .offset:         470
        .size:           2
        .value_kind:     hidden_group_size_y
      - .offset:         472
        .size:           2
        .value_kind:     hidden_group_size_z
      - .offset:         474
        .size:           2
        .value_kind:     hidden_remainder_x
      - .offset:         476
        .size:           2
        .value_kind:     hidden_remainder_y
      - .offset:         478
        .size:           2
        .value_kind:     hidden_remainder_z
      - .offset:         496
        .size:           8
        .value_kind:     hidden_global_offset_x
      - .offset:         504
        .size:           8
        .value_kind:     hidden_global_offset_y
      - .offset:         512
        .size:           8
        .value_kind:     hidden_global_offset_z
      - .offset:         520
        .size:           2
        .value_kind:     hidden_grid_dims
    .group_segment_fixed_size: 0
    .kernarg_segment_align: 8
    .kernarg_segment_size: 712
    .language:       OpenCL C
    .language_version:
      - 2
      - 0
    .max_flat_workgroup_size: 128
    .name:           _ZN2at6native16triu_tril_kernelIN3c107complexINS2_4HalfEEEiLb1ELi2ELb1EEEvNS_4cuda6detail10TensorInfoIT_T0_EENS8_IKS9_SA_EEllSA_
    .private_segment_fixed_size: 0
    .sgpr_count:     58
    .sgpr_spill_count: 0
    .symbol:         _ZN2at6native16triu_tril_kernelIN3c107complexINS2_4HalfEEEiLb1ELi2ELb1EEEvNS_4cuda6detail10TensorInfoIT_T0_EENS8_IKS9_SA_EEllSA_.kd
    .uniform_work_group_size: 1
    .uses_dynamic_stack: false
    .vgpr_count:     31
    .vgpr_spill_count: 0
    .wavefront_size: 32
    .workgroup_processor_mode: 1
  - .args:
      - .offset:         0
        .size:           216
        .value_kind:     by_value
      - .offset:         216
        .size:           216
        .value_kind:     by_value
      - .offset:         432
        .size:           8
        .value_kind:     by_value
      - .offset:         440
        .size:           8
        .value_kind:     by_value
      - .offset:         448
        .size:           4
        .value_kind:     by_value
      - .offset:         456
        .size:           4
        .value_kind:     hidden_block_count_x
      - .offset:         460
        .size:           4
        .value_kind:     hidden_block_count_y
      - .offset:         464
        .size:           4
        .value_kind:     hidden_block_count_z
      - .offset:         468
        .size:           2
        .value_kind:     hidden_group_size_x
      - .offset:         470
        .size:           2
        .value_kind:     hidden_group_size_y
      - .offset:         472
        .size:           2
        .value_kind:     hidden_group_size_z
      - .offset:         474
        .size:           2
        .value_kind:     hidden_remainder_x
      - .offset:         476
        .size:           2
        .value_kind:     hidden_remainder_y
      - .offset:         478
        .size:           2
        .value_kind:     hidden_remainder_z
      - .offset:         496
        .size:           8
        .value_kind:     hidden_global_offset_x
      - .offset:         504
        .size:           8
        .value_kind:     hidden_global_offset_y
      - .offset:         512
        .size:           8
        .value_kind:     hidden_global_offset_z
      - .offset:         520
        .size:           2
        .value_kind:     hidden_grid_dims
    .group_segment_fixed_size: 0
    .kernarg_segment_align: 8
    .kernarg_segment_size: 712
    .language:       OpenCL C
    .language_version:
      - 2
      - 0
    .max_flat_workgroup_size: 128
    .name:           _ZN2at6native16triu_tril_kernelIN3c107complexINS2_4HalfEEEiLb1ELi2ELb0EEEvNS_4cuda6detail10TensorInfoIT_T0_EENS8_IKS9_SA_EEllSA_
    .private_segment_fixed_size: 0
    .sgpr_count:     56
    .sgpr_spill_count: 0
    .symbol:         _ZN2at6native16triu_tril_kernelIN3c107complexINS2_4HalfEEEiLb1ELi2ELb0EEEvNS_4cuda6detail10TensorInfoIT_T0_EENS8_IKS9_SA_EEllSA_.kd
    .uniform_work_group_size: 1
    .uses_dynamic_stack: false
    .vgpr_count:     25
    .vgpr_spill_count: 0
    .wavefront_size: 32
    .workgroup_processor_mode: 1
  - .args:
      - .offset:         0
        .size:           416
        .value_kind:     by_value
      - .offset:         416
        .size:           416
        .value_kind:     by_value
      - .offset:         832
        .size:           8
        .value_kind:     by_value
      - .offset:         840
        .size:           8
        .value_kind:     by_value
      - .offset:         848
        .size:           8
        .value_kind:     by_value
      - .offset:         856
        .size:           4
        .value_kind:     hidden_block_count_x
      - .offset:         860
        .size:           4
        .value_kind:     hidden_block_count_y
      - .offset:         864
        .size:           4
        .value_kind:     hidden_block_count_z
      - .offset:         868
        .size:           2
        .value_kind:     hidden_group_size_x
      - .offset:         870
        .size:           2
        .value_kind:     hidden_group_size_y
      - .offset:         872
        .size:           2
        .value_kind:     hidden_group_size_z
      - .offset:         874
        .size:           2
        .value_kind:     hidden_remainder_x
      - .offset:         876
        .size:           2
        .value_kind:     hidden_remainder_y
      - .offset:         878
        .size:           2
        .value_kind:     hidden_remainder_z
      - .offset:         896
        .size:           8
        .value_kind:     hidden_global_offset_x
      - .offset:         904
        .size:           8
        .value_kind:     hidden_global_offset_y
      - .offset:         912
        .size:           8
        .value_kind:     hidden_global_offset_z
      - .offset:         920
        .size:           2
        .value_kind:     hidden_grid_dims
    .group_segment_fixed_size: 0
    .kernarg_segment_align: 8
    .kernarg_segment_size: 1112
    .language:       OpenCL C
    .language_version:
      - 2
      - 0
    .max_flat_workgroup_size: 128
    .name:           _ZN2at6native16triu_tril_kernelIN3c107complexINS2_4HalfEEElLb1ELi2ELb1EEEvNS_4cuda6detail10TensorInfoIT_T0_EENS8_IKS9_SA_EEllSA_
    .private_segment_fixed_size: 0
    .sgpr_count:     48
    .sgpr_spill_count: 0
    .symbol:         _ZN2at6native16triu_tril_kernelIN3c107complexINS2_4HalfEEElLb1ELi2ELb1EEEvNS_4cuda6detail10TensorInfoIT_T0_EENS8_IKS9_SA_EEllSA_.kd
    .uniform_work_group_size: 1
    .uses_dynamic_stack: false
    .vgpr_count:     24
    .vgpr_spill_count: 0
    .wavefront_size: 32
    .workgroup_processor_mode: 1
  - .args:
      - .offset:         0
        .size:           416
        .value_kind:     by_value
      - .offset:         416
        .size:           416
        .value_kind:     by_value
      - .offset:         832
        .size:           8
        .value_kind:     by_value
      - .offset:         840
        .size:           8
        .value_kind:     by_value
      - .offset:         848
        .size:           8
        .value_kind:     by_value
      - .offset:         856
        .size:           4
        .value_kind:     hidden_block_count_x
      - .offset:         860
        .size:           4
        .value_kind:     hidden_block_count_y
      - .offset:         864
        .size:           4
        .value_kind:     hidden_block_count_z
      - .offset:         868
        .size:           2
        .value_kind:     hidden_group_size_x
      - .offset:         870
        .size:           2
        .value_kind:     hidden_group_size_y
      - .offset:         872
        .size:           2
        .value_kind:     hidden_group_size_z
      - .offset:         874
        .size:           2
        .value_kind:     hidden_remainder_x
      - .offset:         876
        .size:           2
        .value_kind:     hidden_remainder_y
      - .offset:         878
        .size:           2
        .value_kind:     hidden_remainder_z
      - .offset:         896
        .size:           8
        .value_kind:     hidden_global_offset_x
      - .offset:         904
        .size:           8
        .value_kind:     hidden_global_offset_y
      - .offset:         912
        .size:           8
        .value_kind:     hidden_global_offset_z
      - .offset:         920
        .size:           2
        .value_kind:     hidden_grid_dims
    .group_segment_fixed_size: 0
    .kernarg_segment_align: 8
    .kernarg_segment_size: 1112
    .language:       OpenCL C
    .language_version:
      - 2
      - 0
    .max_flat_workgroup_size: 128
    .name:           _ZN2at6native16triu_tril_kernelIN3c107complexINS2_4HalfEEElLb1ELi2ELb0EEEvNS_4cuda6detail10TensorInfoIT_T0_EENS8_IKS9_SA_EEllSA_
    .private_segment_fixed_size: 0
    .sgpr_count:     49
    .sgpr_spill_count: 0
    .symbol:         _ZN2at6native16triu_tril_kernelIN3c107complexINS2_4HalfEEElLb1ELi2ELb0EEEvNS_4cuda6detail10TensorInfoIT_T0_EENS8_IKS9_SA_EEllSA_.kd
    .uniform_work_group_size: 1
    .uses_dynamic_stack: false
    .vgpr_count:     26
    .vgpr_spill_count: 0
    .wavefront_size: 32
    .workgroup_processor_mode: 1
  - .args:
      - .offset:         0
        .size:           216
        .value_kind:     by_value
      - .offset:         216
        .size:           216
        .value_kind:     by_value
      - .offset:         432
        .size:           8
        .value_kind:     by_value
      - .offset:         440
        .size:           8
        .value_kind:     by_value
      - .offset:         448
        .size:           4
        .value_kind:     by_value
      - .offset:         456
        .size:           4
        .value_kind:     hidden_block_count_x
      - .offset:         460
        .size:           4
        .value_kind:     hidden_block_count_y
      - .offset:         464
        .size:           4
        .value_kind:     hidden_block_count_z
      - .offset:         468
        .size:           2
        .value_kind:     hidden_group_size_x
      - .offset:         470
        .size:           2
        .value_kind:     hidden_group_size_y
      - .offset:         472
        .size:           2
        .value_kind:     hidden_group_size_z
      - .offset:         474
        .size:           2
        .value_kind:     hidden_remainder_x
      - .offset:         476
        .size:           2
        .value_kind:     hidden_remainder_y
      - .offset:         478
        .size:           2
        .value_kind:     hidden_remainder_z
      - .offset:         496
        .size:           8
        .value_kind:     hidden_global_offset_x
      - .offset:         504
        .size:           8
        .value_kind:     hidden_global_offset_y
      - .offset:         512
        .size:           8
        .value_kind:     hidden_global_offset_z
      - .offset:         520
        .size:           2
        .value_kind:     hidden_grid_dims
    .group_segment_fixed_size: 0
    .kernarg_segment_align: 8
    .kernarg_segment_size: 712
    .language:       OpenCL C
    .language_version:
      - 2
      - 0
    .max_flat_workgroup_size: 128
    .name:           _ZN2at6native16triu_tril_kernelIN3c104HalfEiLb1ELi4ELb1EEEvNS_4cuda6detail10TensorInfoIT_T0_EENS6_IKS7_S8_EEllS8_
    .private_segment_fixed_size: 0
    .sgpr_count:     58
    .sgpr_spill_count: 0
    .symbol:         _ZN2at6native16triu_tril_kernelIN3c104HalfEiLb1ELi4ELb1EEEvNS_4cuda6detail10TensorInfoIT_T0_EENS6_IKS7_S8_EEllS8_.kd
    .uniform_work_group_size: 1
    .uses_dynamic_stack: false
    .vgpr_count:     31
    .vgpr_spill_count: 0
    .wavefront_size: 32
    .workgroup_processor_mode: 1
  - .args:
      - .offset:         0
        .size:           216
        .value_kind:     by_value
      - .offset:         216
        .size:           216
        .value_kind:     by_value
      - .offset:         432
        .size:           8
        .value_kind:     by_value
      - .offset:         440
        .size:           8
        .value_kind:     by_value
      - .offset:         448
        .size:           4
        .value_kind:     by_value
      - .offset:         456
        .size:           4
        .value_kind:     hidden_block_count_x
      - .offset:         460
        .size:           4
        .value_kind:     hidden_block_count_y
      - .offset:         464
        .size:           4
        .value_kind:     hidden_block_count_z
      - .offset:         468
        .size:           2
        .value_kind:     hidden_group_size_x
      - .offset:         470
        .size:           2
        .value_kind:     hidden_group_size_y
      - .offset:         472
        .size:           2
        .value_kind:     hidden_group_size_z
      - .offset:         474
        .size:           2
        .value_kind:     hidden_remainder_x
      - .offset:         476
        .size:           2
        .value_kind:     hidden_remainder_y
      - .offset:         478
        .size:           2
        .value_kind:     hidden_remainder_z
      - .offset:         496
        .size:           8
        .value_kind:     hidden_global_offset_x
      - .offset:         504
        .size:           8
        .value_kind:     hidden_global_offset_y
      - .offset:         512
        .size:           8
        .value_kind:     hidden_global_offset_z
      - .offset:         520
        .size:           2
        .value_kind:     hidden_grid_dims
    .group_segment_fixed_size: 0
    .kernarg_segment_align: 8
    .kernarg_segment_size: 712
    .language:       OpenCL C
    .language_version:
      - 2
      - 0
    .max_flat_workgroup_size: 128
    .name:           _ZN2at6native16triu_tril_kernelIN3c104HalfEiLb1ELi4ELb0EEEvNS_4cuda6detail10TensorInfoIT_T0_EENS6_IKS7_S8_EEllS8_
    .private_segment_fixed_size: 0
    .sgpr_count:     56
    .sgpr_spill_count: 0
    .symbol:         _ZN2at6native16triu_tril_kernelIN3c104HalfEiLb1ELi4ELb0EEEvNS_4cuda6detail10TensorInfoIT_T0_EENS6_IKS7_S8_EEllS8_.kd
    .uniform_work_group_size: 1
    .uses_dynamic_stack: false
    .vgpr_count:     25
    .vgpr_spill_count: 0
    .wavefront_size: 32
    .workgroup_processor_mode: 1
  - .args:
      - .offset:         0
        .size:           416
        .value_kind:     by_value
      - .offset:         416
        .size:           416
        .value_kind:     by_value
      - .offset:         832
        .size:           8
        .value_kind:     by_value
      - .offset:         840
        .size:           8
        .value_kind:     by_value
      - .offset:         848
        .size:           8
        .value_kind:     by_value
      - .offset:         856
        .size:           4
        .value_kind:     hidden_block_count_x
      - .offset:         860
        .size:           4
        .value_kind:     hidden_block_count_y
      - .offset:         864
        .size:           4
        .value_kind:     hidden_block_count_z
      - .offset:         868
        .size:           2
        .value_kind:     hidden_group_size_x
      - .offset:         870
        .size:           2
        .value_kind:     hidden_group_size_y
      - .offset:         872
        .size:           2
        .value_kind:     hidden_group_size_z
      - .offset:         874
        .size:           2
        .value_kind:     hidden_remainder_x
      - .offset:         876
        .size:           2
        .value_kind:     hidden_remainder_y
      - .offset:         878
        .size:           2
        .value_kind:     hidden_remainder_z
      - .offset:         896
        .size:           8
        .value_kind:     hidden_global_offset_x
      - .offset:         904
        .size:           8
        .value_kind:     hidden_global_offset_y
      - .offset:         912
        .size:           8
        .value_kind:     hidden_global_offset_z
      - .offset:         920
        .size:           2
        .value_kind:     hidden_grid_dims
    .group_segment_fixed_size: 0
    .kernarg_segment_align: 8
    .kernarg_segment_size: 1112
    .language:       OpenCL C
    .language_version:
      - 2
      - 0
    .max_flat_workgroup_size: 128
    .name:           _ZN2at6native16triu_tril_kernelIN3c104HalfElLb1ELi4ELb1EEEvNS_4cuda6detail10TensorInfoIT_T0_EENS6_IKS7_S8_EEllS8_
    .private_segment_fixed_size: 0
    .sgpr_count:     48
    .sgpr_spill_count: 0
    .symbol:         _ZN2at6native16triu_tril_kernelIN3c104HalfElLb1ELi4ELb1EEEvNS_4cuda6detail10TensorInfoIT_T0_EENS6_IKS7_S8_EEllS8_.kd
    .uniform_work_group_size: 1
    .uses_dynamic_stack: false
    .vgpr_count:     24
    .vgpr_spill_count: 0
    .wavefront_size: 32
    .workgroup_processor_mode: 1
  - .args:
      - .offset:         0
        .size:           416
        .value_kind:     by_value
      - .offset:         416
        .size:           416
        .value_kind:     by_value
      - .offset:         832
        .size:           8
        .value_kind:     by_value
      - .offset:         840
        .size:           8
        .value_kind:     by_value
      - .offset:         848
        .size:           8
        .value_kind:     by_value
      - .offset:         856
        .size:           4
        .value_kind:     hidden_block_count_x
      - .offset:         860
        .size:           4
        .value_kind:     hidden_block_count_y
      - .offset:         864
        .size:           4
        .value_kind:     hidden_block_count_z
      - .offset:         868
        .size:           2
        .value_kind:     hidden_group_size_x
      - .offset:         870
        .size:           2
        .value_kind:     hidden_group_size_y
      - .offset:         872
        .size:           2
        .value_kind:     hidden_group_size_z
      - .offset:         874
        .size:           2
        .value_kind:     hidden_remainder_x
      - .offset:         876
        .size:           2
        .value_kind:     hidden_remainder_y
      - .offset:         878
        .size:           2
        .value_kind:     hidden_remainder_z
      - .offset:         896
        .size:           8
        .value_kind:     hidden_global_offset_x
      - .offset:         904
        .size:           8
        .value_kind:     hidden_global_offset_y
      - .offset:         912
        .size:           8
        .value_kind:     hidden_global_offset_z
      - .offset:         920
        .size:           2
        .value_kind:     hidden_grid_dims
    .group_segment_fixed_size: 0
    .kernarg_segment_align: 8
    .kernarg_segment_size: 1112
    .language:       OpenCL C
    .language_version:
      - 2
      - 0
    .max_flat_workgroup_size: 128
    .name:           _ZN2at6native16triu_tril_kernelIN3c104HalfElLb1ELi4ELb0EEEvNS_4cuda6detail10TensorInfoIT_T0_EENS6_IKS7_S8_EEllS8_
    .private_segment_fixed_size: 0
    .sgpr_count:     57
    .sgpr_spill_count: 0
    .symbol:         _ZN2at6native16triu_tril_kernelIN3c104HalfElLb1ELi4ELb0EEEvNS_4cuda6detail10TensorInfoIT_T0_EENS6_IKS7_S8_EEllS8_.kd
    .uniform_work_group_size: 1
    .uses_dynamic_stack: false
    .vgpr_count:     26
    .vgpr_spill_count: 0
    .wavefront_size: 32
    .workgroup_processor_mode: 1
  - .args:
      - .offset:         0
        .size:           216
        .value_kind:     by_value
      - .offset:         216
        .size:           216
        .value_kind:     by_value
      - .offset:         432
        .size:           8
        .value_kind:     by_value
      - .offset:         440
        .size:           8
        .value_kind:     by_value
      - .offset:         448
        .size:           4
        .value_kind:     by_value
      - .offset:         456
        .size:           4
        .value_kind:     hidden_block_count_x
      - .offset:         460
        .size:           4
        .value_kind:     hidden_block_count_y
      - .offset:         464
        .size:           4
        .value_kind:     hidden_block_count_z
      - .offset:         468
        .size:           2
        .value_kind:     hidden_group_size_x
      - .offset:         470
        .size:           2
        .value_kind:     hidden_group_size_y
      - .offset:         472
        .size:           2
        .value_kind:     hidden_group_size_z
      - .offset:         474
        .size:           2
        .value_kind:     hidden_remainder_x
      - .offset:         476
        .size:           2
        .value_kind:     hidden_remainder_y
      - .offset:         478
        .size:           2
        .value_kind:     hidden_remainder_z
      - .offset:         496
        .size:           8
        .value_kind:     hidden_global_offset_x
      - .offset:         504
        .size:           8
        .value_kind:     hidden_global_offset_y
      - .offset:         512
        .size:           8
        .value_kind:     hidden_global_offset_z
      - .offset:         520
        .size:           2
        .value_kind:     hidden_grid_dims
    .group_segment_fixed_size: 0
    .kernarg_segment_align: 8
    .kernarg_segment_size: 712
    .language:       OpenCL C
    .language_version:
      - 2
      - 0
    .max_flat_workgroup_size: 128
    .name:           _ZN2at6native16triu_tril_kernelIN3c108BFloat16EiLb1ELi4ELb1EEEvNS_4cuda6detail10TensorInfoIT_T0_EENS6_IKS7_S8_EEllS8_
    .private_segment_fixed_size: 0
    .sgpr_count:     58
    .sgpr_spill_count: 0
    .symbol:         _ZN2at6native16triu_tril_kernelIN3c108BFloat16EiLb1ELi4ELb1EEEvNS_4cuda6detail10TensorInfoIT_T0_EENS6_IKS7_S8_EEllS8_.kd
    .uniform_work_group_size: 1
    .uses_dynamic_stack: false
    .vgpr_count:     31
    .vgpr_spill_count: 0
    .wavefront_size: 32
    .workgroup_processor_mode: 1
  - .args:
      - .offset:         0
        .size:           216
        .value_kind:     by_value
      - .offset:         216
        .size:           216
        .value_kind:     by_value
      - .offset:         432
        .size:           8
        .value_kind:     by_value
      - .offset:         440
        .size:           8
        .value_kind:     by_value
      - .offset:         448
        .size:           4
        .value_kind:     by_value
      - .offset:         456
        .size:           4
        .value_kind:     hidden_block_count_x
      - .offset:         460
        .size:           4
        .value_kind:     hidden_block_count_y
      - .offset:         464
        .size:           4
        .value_kind:     hidden_block_count_z
      - .offset:         468
        .size:           2
        .value_kind:     hidden_group_size_x
      - .offset:         470
        .size:           2
        .value_kind:     hidden_group_size_y
      - .offset:         472
        .size:           2
        .value_kind:     hidden_group_size_z
      - .offset:         474
        .size:           2
        .value_kind:     hidden_remainder_x
      - .offset:         476
        .size:           2
        .value_kind:     hidden_remainder_y
      - .offset:         478
        .size:           2
        .value_kind:     hidden_remainder_z
      - .offset:         496
        .size:           8
        .value_kind:     hidden_global_offset_x
      - .offset:         504
        .size:           8
        .value_kind:     hidden_global_offset_y
      - .offset:         512
        .size:           8
        .value_kind:     hidden_global_offset_z
      - .offset:         520
        .size:           2
        .value_kind:     hidden_grid_dims
    .group_segment_fixed_size: 0
    .kernarg_segment_align: 8
    .kernarg_segment_size: 712
    .language:       OpenCL C
    .language_version:
      - 2
      - 0
    .max_flat_workgroup_size: 128
    .name:           _ZN2at6native16triu_tril_kernelIN3c108BFloat16EiLb1ELi4ELb0EEEvNS_4cuda6detail10TensorInfoIT_T0_EENS6_IKS7_S8_EEllS8_
    .private_segment_fixed_size: 0
    .sgpr_count:     56
    .sgpr_spill_count: 0
    .symbol:         _ZN2at6native16triu_tril_kernelIN3c108BFloat16EiLb1ELi4ELb0EEEvNS_4cuda6detail10TensorInfoIT_T0_EENS6_IKS7_S8_EEllS8_.kd
    .uniform_work_group_size: 1
    .uses_dynamic_stack: false
    .vgpr_count:     25
    .vgpr_spill_count: 0
    .wavefront_size: 32
    .workgroup_processor_mode: 1
  - .args:
      - .offset:         0
        .size:           416
        .value_kind:     by_value
      - .offset:         416
        .size:           416
        .value_kind:     by_value
      - .offset:         832
        .size:           8
        .value_kind:     by_value
      - .offset:         840
        .size:           8
        .value_kind:     by_value
      - .offset:         848
        .size:           8
        .value_kind:     by_value
      - .offset:         856
        .size:           4
        .value_kind:     hidden_block_count_x
      - .offset:         860
        .size:           4
        .value_kind:     hidden_block_count_y
      - .offset:         864
        .size:           4
        .value_kind:     hidden_block_count_z
      - .offset:         868
        .size:           2
        .value_kind:     hidden_group_size_x
      - .offset:         870
        .size:           2
        .value_kind:     hidden_group_size_y
      - .offset:         872
        .size:           2
        .value_kind:     hidden_group_size_z
      - .offset:         874
        .size:           2
        .value_kind:     hidden_remainder_x
      - .offset:         876
        .size:           2
        .value_kind:     hidden_remainder_y
      - .offset:         878
        .size:           2
        .value_kind:     hidden_remainder_z
      - .offset:         896
        .size:           8
        .value_kind:     hidden_global_offset_x
      - .offset:         904
        .size:           8
        .value_kind:     hidden_global_offset_y
      - .offset:         912
        .size:           8
        .value_kind:     hidden_global_offset_z
      - .offset:         920
        .size:           2
        .value_kind:     hidden_grid_dims
    .group_segment_fixed_size: 0
    .kernarg_segment_align: 8
    .kernarg_segment_size: 1112
    .language:       OpenCL C
    .language_version:
      - 2
      - 0
    .max_flat_workgroup_size: 128
    .name:           _ZN2at6native16triu_tril_kernelIN3c108BFloat16ElLb1ELi4ELb1EEEvNS_4cuda6detail10TensorInfoIT_T0_EENS6_IKS7_S8_EEllS8_
    .private_segment_fixed_size: 0
    .sgpr_count:     48
    .sgpr_spill_count: 0
    .symbol:         _ZN2at6native16triu_tril_kernelIN3c108BFloat16ElLb1ELi4ELb1EEEvNS_4cuda6detail10TensorInfoIT_T0_EENS6_IKS7_S8_EEllS8_.kd
    .uniform_work_group_size: 1
    .uses_dynamic_stack: false
    .vgpr_count:     24
    .vgpr_spill_count: 0
    .wavefront_size: 32
    .workgroup_processor_mode: 1
  - .args:
      - .offset:         0
        .size:           416
        .value_kind:     by_value
      - .offset:         416
        .size:           416
        .value_kind:     by_value
      - .offset:         832
        .size:           8
        .value_kind:     by_value
      - .offset:         840
        .size:           8
        .value_kind:     by_value
      - .offset:         848
        .size:           8
        .value_kind:     by_value
      - .offset:         856
        .size:           4
        .value_kind:     hidden_block_count_x
      - .offset:         860
        .size:           4
        .value_kind:     hidden_block_count_y
      - .offset:         864
        .size:           4
        .value_kind:     hidden_block_count_z
      - .offset:         868
        .size:           2
        .value_kind:     hidden_group_size_x
      - .offset:         870
        .size:           2
        .value_kind:     hidden_group_size_y
      - .offset:         872
        .size:           2
        .value_kind:     hidden_group_size_z
      - .offset:         874
        .size:           2
        .value_kind:     hidden_remainder_x
      - .offset:         876
        .size:           2
        .value_kind:     hidden_remainder_y
      - .offset:         878
        .size:           2
        .value_kind:     hidden_remainder_z
      - .offset:         896
        .size:           8
        .value_kind:     hidden_global_offset_x
      - .offset:         904
        .size:           8
        .value_kind:     hidden_global_offset_y
      - .offset:         912
        .size:           8
        .value_kind:     hidden_global_offset_z
      - .offset:         920
        .size:           2
        .value_kind:     hidden_grid_dims
    .group_segment_fixed_size: 0
    .kernarg_segment_align: 8
    .kernarg_segment_size: 1112
    .language:       OpenCL C
    .language_version:
      - 2
      - 0
    .max_flat_workgroup_size: 128
    .name:           _ZN2at6native16triu_tril_kernelIN3c108BFloat16ElLb1ELi4ELb0EEEvNS_4cuda6detail10TensorInfoIT_T0_EENS6_IKS7_S8_EEllS8_
    .private_segment_fixed_size: 0
    .sgpr_count:     57
    .sgpr_spill_count: 0
    .symbol:         _ZN2at6native16triu_tril_kernelIN3c108BFloat16ElLb1ELi4ELb0EEEvNS_4cuda6detail10TensorInfoIT_T0_EENS6_IKS7_S8_EEllS8_.kd
    .uniform_work_group_size: 1
    .uses_dynamic_stack: false
    .vgpr_count:     26
    .vgpr_spill_count: 0
    .wavefront_size: 32
    .workgroup_processor_mode: 1
  - .args:
      - .offset:         0
        .size:           216
        .value_kind:     by_value
      - .offset:         216
        .size:           216
        .value_kind:     by_value
      - .offset:         432
        .size:           8
        .value_kind:     by_value
      - .offset:         440
        .size:           8
        .value_kind:     by_value
      - .offset:         448
        .size:           4
        .value_kind:     by_value
      - .offset:         456
        .size:           4
        .value_kind:     hidden_block_count_x
      - .offset:         460
        .size:           4
        .value_kind:     hidden_block_count_y
      - .offset:         464
        .size:           4
        .value_kind:     hidden_block_count_z
      - .offset:         468
        .size:           2
        .value_kind:     hidden_group_size_x
      - .offset:         470
        .size:           2
        .value_kind:     hidden_group_size_y
      - .offset:         472
        .size:           2
        .value_kind:     hidden_group_size_z
      - .offset:         474
        .size:           2
        .value_kind:     hidden_remainder_x
      - .offset:         476
        .size:           2
        .value_kind:     hidden_remainder_y
      - .offset:         478
        .size:           2
        .value_kind:     hidden_remainder_z
      - .offset:         496
        .size:           8
        .value_kind:     hidden_global_offset_x
      - .offset:         504
        .size:           8
        .value_kind:     hidden_global_offset_y
      - .offset:         512
        .size:           8
        .value_kind:     hidden_global_offset_z
      - .offset:         520
        .size:           2
        .value_kind:     hidden_grid_dims
    .group_segment_fixed_size: 0
    .kernarg_segment_align: 8
    .kernarg_segment_size: 712
    .language:       OpenCL C
    .language_version:
      - 2
      - 0
    .max_flat_workgroup_size: 128
    .name:           _ZN2at6native16triu_tril_kernelIbiLb1ELi4ELb1EEEvNS_4cuda6detail10TensorInfoIT_T0_EENS4_IKS5_S6_EEllS6_
    .private_segment_fixed_size: 0
    .sgpr_count:     58
    .sgpr_spill_count: 0
    .symbol:         _ZN2at6native16triu_tril_kernelIbiLb1ELi4ELb1EEEvNS_4cuda6detail10TensorInfoIT_T0_EENS4_IKS5_S6_EEllS6_.kd
    .uniform_work_group_size: 1
    .uses_dynamic_stack: false
    .vgpr_count:     31
    .vgpr_spill_count: 0
    .wavefront_size: 32
    .workgroup_processor_mode: 1
  - .args:
      - .offset:         0
        .size:           216
        .value_kind:     by_value
      - .offset:         216
        .size:           216
        .value_kind:     by_value
      - .offset:         432
        .size:           8
        .value_kind:     by_value
      - .offset:         440
        .size:           8
        .value_kind:     by_value
      - .offset:         448
        .size:           4
        .value_kind:     by_value
      - .offset:         456
        .size:           4
        .value_kind:     hidden_block_count_x
      - .offset:         460
        .size:           4
        .value_kind:     hidden_block_count_y
      - .offset:         464
        .size:           4
        .value_kind:     hidden_block_count_z
      - .offset:         468
        .size:           2
        .value_kind:     hidden_group_size_x
      - .offset:         470
        .size:           2
        .value_kind:     hidden_group_size_y
      - .offset:         472
        .size:           2
        .value_kind:     hidden_group_size_z
      - .offset:         474
        .size:           2
        .value_kind:     hidden_remainder_x
      - .offset:         476
        .size:           2
        .value_kind:     hidden_remainder_y
      - .offset:         478
        .size:           2
        .value_kind:     hidden_remainder_z
      - .offset:         496
        .size:           8
        .value_kind:     hidden_global_offset_x
      - .offset:         504
        .size:           8
        .value_kind:     hidden_global_offset_y
      - .offset:         512
        .size:           8
        .value_kind:     hidden_global_offset_z
      - .offset:         520
        .size:           2
        .value_kind:     hidden_grid_dims
    .group_segment_fixed_size: 0
    .kernarg_segment_align: 8
    .kernarg_segment_size: 712
    .language:       OpenCL C
    .language_version:
      - 2
      - 0
    .max_flat_workgroup_size: 128
    .name:           _ZN2at6native16triu_tril_kernelIbiLb1ELi4ELb0EEEvNS_4cuda6detail10TensorInfoIT_T0_EENS4_IKS5_S6_EEllS6_
    .private_segment_fixed_size: 0
    .sgpr_count:     56
    .sgpr_spill_count: 0
    .symbol:         _ZN2at6native16triu_tril_kernelIbiLb1ELi4ELb0EEEvNS_4cuda6detail10TensorInfoIT_T0_EENS4_IKS5_S6_EEllS6_.kd
    .uniform_work_group_size: 1
    .uses_dynamic_stack: false
    .vgpr_count:     25
    .vgpr_spill_count: 0
    .wavefront_size: 32
    .workgroup_processor_mode: 1
  - .args:
      - .offset:         0
        .size:           416
        .value_kind:     by_value
      - .offset:         416
        .size:           416
        .value_kind:     by_value
      - .offset:         832
        .size:           8
        .value_kind:     by_value
      - .offset:         840
        .size:           8
        .value_kind:     by_value
      - .offset:         848
        .size:           8
        .value_kind:     by_value
      - .offset:         856
        .size:           4
        .value_kind:     hidden_block_count_x
      - .offset:         860
        .size:           4
        .value_kind:     hidden_block_count_y
      - .offset:         864
        .size:           4
        .value_kind:     hidden_block_count_z
      - .offset:         868
        .size:           2
        .value_kind:     hidden_group_size_x
      - .offset:         870
        .size:           2
        .value_kind:     hidden_group_size_y
      - .offset:         872
        .size:           2
        .value_kind:     hidden_group_size_z
      - .offset:         874
        .size:           2
        .value_kind:     hidden_remainder_x
      - .offset:         876
        .size:           2
        .value_kind:     hidden_remainder_y
      - .offset:         878
        .size:           2
        .value_kind:     hidden_remainder_z
      - .offset:         896
        .size:           8
        .value_kind:     hidden_global_offset_x
      - .offset:         904
        .size:           8
        .value_kind:     hidden_global_offset_y
      - .offset:         912
        .size:           8
        .value_kind:     hidden_global_offset_z
      - .offset:         920
        .size:           2
        .value_kind:     hidden_grid_dims
    .group_segment_fixed_size: 0
    .kernarg_segment_align: 8
    .kernarg_segment_size: 1112
    .language:       OpenCL C
    .language_version:
      - 2
      - 0
    .max_flat_workgroup_size: 128
    .name:           _ZN2at6native16triu_tril_kernelIblLb1ELi4ELb1EEEvNS_4cuda6detail10TensorInfoIT_T0_EENS4_IKS5_S6_EEllS6_
    .private_segment_fixed_size: 0
    .sgpr_count:     48
    .sgpr_spill_count: 0
    .symbol:         _ZN2at6native16triu_tril_kernelIblLb1ELi4ELb1EEEvNS_4cuda6detail10TensorInfoIT_T0_EENS4_IKS5_S6_EEllS6_.kd
    .uniform_work_group_size: 1
    .uses_dynamic_stack: false
    .vgpr_count:     24
    .vgpr_spill_count: 0
    .wavefront_size: 32
    .workgroup_processor_mode: 1
  - .args:
      - .offset:         0
        .size:           416
        .value_kind:     by_value
      - .offset:         416
        .size:           416
        .value_kind:     by_value
      - .offset:         832
        .size:           8
        .value_kind:     by_value
      - .offset:         840
        .size:           8
        .value_kind:     by_value
      - .offset:         848
        .size:           8
        .value_kind:     by_value
      - .offset:         856
        .size:           4
        .value_kind:     hidden_block_count_x
      - .offset:         860
        .size:           4
        .value_kind:     hidden_block_count_y
      - .offset:         864
        .size:           4
        .value_kind:     hidden_block_count_z
      - .offset:         868
        .size:           2
        .value_kind:     hidden_group_size_x
      - .offset:         870
        .size:           2
        .value_kind:     hidden_group_size_y
      - .offset:         872
        .size:           2
        .value_kind:     hidden_group_size_z
      - .offset:         874
        .size:           2
        .value_kind:     hidden_remainder_x
      - .offset:         876
        .size:           2
        .value_kind:     hidden_remainder_y
      - .offset:         878
        .size:           2
        .value_kind:     hidden_remainder_z
      - .offset:         896
        .size:           8
        .value_kind:     hidden_global_offset_x
      - .offset:         904
        .size:           8
        .value_kind:     hidden_global_offset_y
      - .offset:         912
        .size:           8
        .value_kind:     hidden_global_offset_z
      - .offset:         920
        .size:           2
        .value_kind:     hidden_grid_dims
    .group_segment_fixed_size: 0
    .kernarg_segment_align: 8
    .kernarg_segment_size: 1112
    .language:       OpenCL C
    .language_version:
      - 2
      - 0
    .max_flat_workgroup_size: 128
    .name:           _ZN2at6native16triu_tril_kernelIblLb1ELi4ELb0EEEvNS_4cuda6detail10TensorInfoIT_T0_EENS4_IKS5_S6_EEllS6_
    .private_segment_fixed_size: 0
    .sgpr_count:     50
    .sgpr_spill_count: 0
    .symbol:         _ZN2at6native16triu_tril_kernelIblLb1ELi4ELb0EEEvNS_4cuda6detail10TensorInfoIT_T0_EENS4_IKS5_S6_EEllS6_.kd
    .uniform_work_group_size: 1
    .uses_dynamic_stack: false
    .vgpr_count:     26
    .vgpr_spill_count: 0
    .wavefront_size: 32
    .workgroup_processor_mode: 1
amdhsa.target:   amdgcn-amd-amdhsa--gfx1100
amdhsa.version:
  - 1
  - 2
...

	.end_amdgpu_metadata
